;; amdgpu-corpus repo=ROCm/rocThrust kind=compiled arch=gfx90a opt=O3
	.text
	.amdgcn_target "amdgcn-amd-amdhsa--gfx90a"
	.amdhsa_code_object_version 6
	.section	.text._ZN6thrust23THRUST_200600_302600_NS11hip_rocprim14__parallel_for6kernelILj256ENS1_20__uninitialized_fill7functorINS0_10device_ptrIaEEaEEmLj1EEEvT0_T1_SA_,"axG",@progbits,_ZN6thrust23THRUST_200600_302600_NS11hip_rocprim14__parallel_for6kernelILj256ENS1_20__uninitialized_fill7functorINS0_10device_ptrIaEEaEEmLj1EEEvT0_T1_SA_,comdat
	.protected	_ZN6thrust23THRUST_200600_302600_NS11hip_rocprim14__parallel_for6kernelILj256ENS1_20__uninitialized_fill7functorINS0_10device_ptrIaEEaEEmLj1EEEvT0_T1_SA_ ; -- Begin function _ZN6thrust23THRUST_200600_302600_NS11hip_rocprim14__parallel_for6kernelILj256ENS1_20__uninitialized_fill7functorINS0_10device_ptrIaEEaEEmLj1EEEvT0_T1_SA_
	.globl	_ZN6thrust23THRUST_200600_302600_NS11hip_rocprim14__parallel_for6kernelILj256ENS1_20__uninitialized_fill7functorINS0_10device_ptrIaEEaEEmLj1EEEvT0_T1_SA_
	.p2align	8
	.type	_ZN6thrust23THRUST_200600_302600_NS11hip_rocprim14__parallel_for6kernelILj256ENS1_20__uninitialized_fill7functorINS0_10device_ptrIaEEaEEmLj1EEEvT0_T1_SA_,@function
_ZN6thrust23THRUST_200600_302600_NS11hip_rocprim14__parallel_for6kernelILj256ENS1_20__uninitialized_fill7functorINS0_10device_ptrIaEEaEEmLj1EEEvT0_T1_SA_: ; @_ZN6thrust23THRUST_200600_302600_NS11hip_rocprim14__parallel_for6kernelILj256ENS1_20__uninitialized_fill7functorINS0_10device_ptrIaEEaEEmLj1EEEvT0_T1_SA_
; %bb.0:
	s_load_dwordx4 s[0:3], s[4:5], 0x10
	s_lshl_b32 s6, s6, 8
	v_mov_b32_e32 v2, 0x100
	v_mov_b32_e32 v3, 0
	s_waitcnt lgkmcnt(0)
	s_add_u32 s6, s6, s2
	s_addc_u32 s7, 0, s3
	s_sub_u32 s0, s0, s6
	s_subb_u32 s1, s1, s7
	v_cmp_lt_u64_e32 vcc, s[0:1], v[2:3]
	s_cbranch_vccz .LBB0_2
; %bb.1:
	v_cmp_gt_u32_e32 vcc, s0, v0
	s_and_b64 s[0:1], vcc, exec
	s_cbranch_execz .LBB0_3
	s_branch .LBB0_4
.LBB0_2:
	s_mov_b64 s[0:1], 0
.LBB0_3:
	s_or_b64 s[0:1], s[0:1], exec
.LBB0_4:
	s_and_saveexec_b64 s[2:3], s[0:1]
	s_cbranch_execnz .LBB0_6
; %bb.5:
	s_endpgm
.LBB0_6:
	s_load_dwordx2 s[0:1], s[4:5], 0x0
	s_load_dword s2, s[4:5], 0x8
	s_waitcnt lgkmcnt(0)
	s_add_u32 s0, s0, s6
	s_addc_u32 s1, s1, s7
	v_mov_b32_e32 v1, s1
	v_add_co_u32_e32 v0, vcc, s0, v0
	v_addc_co_u32_e32 v1, vcc, 0, v1, vcc
	v_mov_b32_e32 v2, s2
	flat_store_byte v[0:1], v2
	s_endpgm
	.section	.rodata,"a",@progbits
	.p2align	6, 0x0
	.amdhsa_kernel _ZN6thrust23THRUST_200600_302600_NS11hip_rocprim14__parallel_for6kernelILj256ENS1_20__uninitialized_fill7functorINS0_10device_ptrIaEEaEEmLj1EEEvT0_T1_SA_
		.amdhsa_group_segment_fixed_size 0
		.amdhsa_private_segment_fixed_size 0
		.amdhsa_kernarg_size 32
		.amdhsa_user_sgpr_count 6
		.amdhsa_user_sgpr_private_segment_buffer 1
		.amdhsa_user_sgpr_dispatch_ptr 0
		.amdhsa_user_sgpr_queue_ptr 0
		.amdhsa_user_sgpr_kernarg_segment_ptr 1
		.amdhsa_user_sgpr_dispatch_id 0
		.amdhsa_user_sgpr_flat_scratch_init 0
		.amdhsa_user_sgpr_kernarg_preload_length 0
		.amdhsa_user_sgpr_kernarg_preload_offset 0
		.amdhsa_user_sgpr_private_segment_size 0
		.amdhsa_uses_dynamic_stack 0
		.amdhsa_system_sgpr_private_segment_wavefront_offset 0
		.amdhsa_system_sgpr_workgroup_id_x 1
		.amdhsa_system_sgpr_workgroup_id_y 0
		.amdhsa_system_sgpr_workgroup_id_z 0
		.amdhsa_system_sgpr_workgroup_info 0
		.amdhsa_system_vgpr_workitem_id 0
		.amdhsa_next_free_vgpr 4
		.amdhsa_next_free_sgpr 8
		.amdhsa_accum_offset 4
		.amdhsa_reserve_vcc 1
		.amdhsa_reserve_flat_scratch 0
		.amdhsa_float_round_mode_32 0
		.amdhsa_float_round_mode_16_64 0
		.amdhsa_float_denorm_mode_32 3
		.amdhsa_float_denorm_mode_16_64 3
		.amdhsa_dx10_clamp 1
		.amdhsa_ieee_mode 1
		.amdhsa_fp16_overflow 0
		.amdhsa_tg_split 0
		.amdhsa_exception_fp_ieee_invalid_op 0
		.amdhsa_exception_fp_denorm_src 0
		.amdhsa_exception_fp_ieee_div_zero 0
		.amdhsa_exception_fp_ieee_overflow 0
		.amdhsa_exception_fp_ieee_underflow 0
		.amdhsa_exception_fp_ieee_inexact 0
		.amdhsa_exception_int_div_zero 0
	.end_amdhsa_kernel
	.section	.text._ZN6thrust23THRUST_200600_302600_NS11hip_rocprim14__parallel_for6kernelILj256ENS1_20__uninitialized_fill7functorINS0_10device_ptrIaEEaEEmLj1EEEvT0_T1_SA_,"axG",@progbits,_ZN6thrust23THRUST_200600_302600_NS11hip_rocprim14__parallel_for6kernelILj256ENS1_20__uninitialized_fill7functorINS0_10device_ptrIaEEaEEmLj1EEEvT0_T1_SA_,comdat
.Lfunc_end0:
	.size	_ZN6thrust23THRUST_200600_302600_NS11hip_rocprim14__parallel_for6kernelILj256ENS1_20__uninitialized_fill7functorINS0_10device_ptrIaEEaEEmLj1EEEvT0_T1_SA_, .Lfunc_end0-_ZN6thrust23THRUST_200600_302600_NS11hip_rocprim14__parallel_for6kernelILj256ENS1_20__uninitialized_fill7functorINS0_10device_ptrIaEEaEEmLj1EEEvT0_T1_SA_
                                        ; -- End function
	.section	.AMDGPU.csdata,"",@progbits
; Kernel info:
; codeLenInByte = 144
; NumSgprs: 12
; NumVgprs: 4
; NumAgprs: 0
; TotalNumVgprs: 4
; ScratchSize: 0
; MemoryBound: 0
; FloatMode: 240
; IeeeMode: 1
; LDSByteSize: 0 bytes/workgroup (compile time only)
; SGPRBlocks: 1
; VGPRBlocks: 0
; NumSGPRsForWavesPerEU: 12
; NumVGPRsForWavesPerEU: 4
; AccumOffset: 4
; Occupancy: 8
; WaveLimiterHint : 0
; COMPUTE_PGM_RSRC2:SCRATCH_EN: 0
; COMPUTE_PGM_RSRC2:USER_SGPR: 6
; COMPUTE_PGM_RSRC2:TRAP_HANDLER: 0
; COMPUTE_PGM_RSRC2:TGID_X_EN: 1
; COMPUTE_PGM_RSRC2:TGID_Y_EN: 0
; COMPUTE_PGM_RSRC2:TGID_Z_EN: 0
; COMPUTE_PGM_RSRC2:TIDIG_COMP_CNT: 0
; COMPUTE_PGM_RSRC3_GFX90A:ACCUM_OFFSET: 0
; COMPUTE_PGM_RSRC3_GFX90A:TG_SPLIT: 0
	.section	.text._ZN7rocprim17ROCPRIM_400000_NS6detail17trampoline_kernelINS0_14default_configENS1_35adjacent_difference_config_selectorILb0EaEEZNS1_24adjacent_difference_implIS3_Lb0ELb0EPaS7_N6thrust23THRUST_200600_302600_NS5minusIaEEEE10hipError_tPvRmT2_T3_mT4_P12ihipStream_tbEUlT_E_NS1_11comp_targetILNS1_3genE0ELNS1_11target_archE4294967295ELNS1_3gpuE0ELNS1_3repE0EEENS1_30default_config_static_selectorELNS0_4arch9wavefront6targetE1EEEvT1_,"axG",@progbits,_ZN7rocprim17ROCPRIM_400000_NS6detail17trampoline_kernelINS0_14default_configENS1_35adjacent_difference_config_selectorILb0EaEEZNS1_24adjacent_difference_implIS3_Lb0ELb0EPaS7_N6thrust23THRUST_200600_302600_NS5minusIaEEEE10hipError_tPvRmT2_T3_mT4_P12ihipStream_tbEUlT_E_NS1_11comp_targetILNS1_3genE0ELNS1_11target_archE4294967295ELNS1_3gpuE0ELNS1_3repE0EEENS1_30default_config_static_selectorELNS0_4arch9wavefront6targetE1EEEvT1_,comdat
	.protected	_ZN7rocprim17ROCPRIM_400000_NS6detail17trampoline_kernelINS0_14default_configENS1_35adjacent_difference_config_selectorILb0EaEEZNS1_24adjacent_difference_implIS3_Lb0ELb0EPaS7_N6thrust23THRUST_200600_302600_NS5minusIaEEEE10hipError_tPvRmT2_T3_mT4_P12ihipStream_tbEUlT_E_NS1_11comp_targetILNS1_3genE0ELNS1_11target_archE4294967295ELNS1_3gpuE0ELNS1_3repE0EEENS1_30default_config_static_selectorELNS0_4arch9wavefront6targetE1EEEvT1_ ; -- Begin function _ZN7rocprim17ROCPRIM_400000_NS6detail17trampoline_kernelINS0_14default_configENS1_35adjacent_difference_config_selectorILb0EaEEZNS1_24adjacent_difference_implIS3_Lb0ELb0EPaS7_N6thrust23THRUST_200600_302600_NS5minusIaEEEE10hipError_tPvRmT2_T3_mT4_P12ihipStream_tbEUlT_E_NS1_11comp_targetILNS1_3genE0ELNS1_11target_archE4294967295ELNS1_3gpuE0ELNS1_3repE0EEENS1_30default_config_static_selectorELNS0_4arch9wavefront6targetE1EEEvT1_
	.globl	_ZN7rocprim17ROCPRIM_400000_NS6detail17trampoline_kernelINS0_14default_configENS1_35adjacent_difference_config_selectorILb0EaEEZNS1_24adjacent_difference_implIS3_Lb0ELb0EPaS7_N6thrust23THRUST_200600_302600_NS5minusIaEEEE10hipError_tPvRmT2_T3_mT4_P12ihipStream_tbEUlT_E_NS1_11comp_targetILNS1_3genE0ELNS1_11target_archE4294967295ELNS1_3gpuE0ELNS1_3repE0EEENS1_30default_config_static_selectorELNS0_4arch9wavefront6targetE1EEEvT1_
	.p2align	8
	.type	_ZN7rocprim17ROCPRIM_400000_NS6detail17trampoline_kernelINS0_14default_configENS1_35adjacent_difference_config_selectorILb0EaEEZNS1_24adjacent_difference_implIS3_Lb0ELb0EPaS7_N6thrust23THRUST_200600_302600_NS5minusIaEEEE10hipError_tPvRmT2_T3_mT4_P12ihipStream_tbEUlT_E_NS1_11comp_targetILNS1_3genE0ELNS1_11target_archE4294967295ELNS1_3gpuE0ELNS1_3repE0EEENS1_30default_config_static_selectorELNS0_4arch9wavefront6targetE1EEEvT1_,@function
_ZN7rocprim17ROCPRIM_400000_NS6detail17trampoline_kernelINS0_14default_configENS1_35adjacent_difference_config_selectorILb0EaEEZNS1_24adjacent_difference_implIS3_Lb0ELb0EPaS7_N6thrust23THRUST_200600_302600_NS5minusIaEEEE10hipError_tPvRmT2_T3_mT4_P12ihipStream_tbEUlT_E_NS1_11comp_targetILNS1_3genE0ELNS1_11target_archE4294967295ELNS1_3gpuE0ELNS1_3repE0EEENS1_30default_config_static_selectorELNS0_4arch9wavefront6targetE1EEEvT1_: ; @_ZN7rocprim17ROCPRIM_400000_NS6detail17trampoline_kernelINS0_14default_configENS1_35adjacent_difference_config_selectorILb0EaEEZNS1_24adjacent_difference_implIS3_Lb0ELb0EPaS7_N6thrust23THRUST_200600_302600_NS5minusIaEEEE10hipError_tPvRmT2_T3_mT4_P12ihipStream_tbEUlT_E_NS1_11comp_targetILNS1_3genE0ELNS1_11target_archE4294967295ELNS1_3gpuE0ELNS1_3repE0EEENS1_30default_config_static_selectorELNS0_4arch9wavefront6targetE1EEEvT1_
; %bb.0:
	.section	.rodata,"a",@progbits
	.p2align	6, 0x0
	.amdhsa_kernel _ZN7rocprim17ROCPRIM_400000_NS6detail17trampoline_kernelINS0_14default_configENS1_35adjacent_difference_config_selectorILb0EaEEZNS1_24adjacent_difference_implIS3_Lb0ELb0EPaS7_N6thrust23THRUST_200600_302600_NS5minusIaEEEE10hipError_tPvRmT2_T3_mT4_P12ihipStream_tbEUlT_E_NS1_11comp_targetILNS1_3genE0ELNS1_11target_archE4294967295ELNS1_3gpuE0ELNS1_3repE0EEENS1_30default_config_static_selectorELNS0_4arch9wavefront6targetE1EEEvT1_
		.amdhsa_group_segment_fixed_size 0
		.amdhsa_private_segment_fixed_size 0
		.amdhsa_kernarg_size 56
		.amdhsa_user_sgpr_count 6
		.amdhsa_user_sgpr_private_segment_buffer 1
		.amdhsa_user_sgpr_dispatch_ptr 0
		.amdhsa_user_sgpr_queue_ptr 0
		.amdhsa_user_sgpr_kernarg_segment_ptr 1
		.amdhsa_user_sgpr_dispatch_id 0
		.amdhsa_user_sgpr_flat_scratch_init 0
		.amdhsa_user_sgpr_kernarg_preload_length 0
		.amdhsa_user_sgpr_kernarg_preload_offset 0
		.amdhsa_user_sgpr_private_segment_size 0
		.amdhsa_uses_dynamic_stack 0
		.amdhsa_system_sgpr_private_segment_wavefront_offset 0
		.amdhsa_system_sgpr_workgroup_id_x 1
		.amdhsa_system_sgpr_workgroup_id_y 0
		.amdhsa_system_sgpr_workgroup_id_z 0
		.amdhsa_system_sgpr_workgroup_info 0
		.amdhsa_system_vgpr_workitem_id 0
		.amdhsa_next_free_vgpr 1
		.amdhsa_next_free_sgpr 0
		.amdhsa_accum_offset 4
		.amdhsa_reserve_vcc 0
		.amdhsa_reserve_flat_scratch 0
		.amdhsa_float_round_mode_32 0
		.amdhsa_float_round_mode_16_64 0
		.amdhsa_float_denorm_mode_32 3
		.amdhsa_float_denorm_mode_16_64 3
		.amdhsa_dx10_clamp 1
		.amdhsa_ieee_mode 1
		.amdhsa_fp16_overflow 0
		.amdhsa_tg_split 0
		.amdhsa_exception_fp_ieee_invalid_op 0
		.amdhsa_exception_fp_denorm_src 0
		.amdhsa_exception_fp_ieee_div_zero 0
		.amdhsa_exception_fp_ieee_overflow 0
		.amdhsa_exception_fp_ieee_underflow 0
		.amdhsa_exception_fp_ieee_inexact 0
		.amdhsa_exception_int_div_zero 0
	.end_amdhsa_kernel
	.section	.text._ZN7rocprim17ROCPRIM_400000_NS6detail17trampoline_kernelINS0_14default_configENS1_35adjacent_difference_config_selectorILb0EaEEZNS1_24adjacent_difference_implIS3_Lb0ELb0EPaS7_N6thrust23THRUST_200600_302600_NS5minusIaEEEE10hipError_tPvRmT2_T3_mT4_P12ihipStream_tbEUlT_E_NS1_11comp_targetILNS1_3genE0ELNS1_11target_archE4294967295ELNS1_3gpuE0ELNS1_3repE0EEENS1_30default_config_static_selectorELNS0_4arch9wavefront6targetE1EEEvT1_,"axG",@progbits,_ZN7rocprim17ROCPRIM_400000_NS6detail17trampoline_kernelINS0_14default_configENS1_35adjacent_difference_config_selectorILb0EaEEZNS1_24adjacent_difference_implIS3_Lb0ELb0EPaS7_N6thrust23THRUST_200600_302600_NS5minusIaEEEE10hipError_tPvRmT2_T3_mT4_P12ihipStream_tbEUlT_E_NS1_11comp_targetILNS1_3genE0ELNS1_11target_archE4294967295ELNS1_3gpuE0ELNS1_3repE0EEENS1_30default_config_static_selectorELNS0_4arch9wavefront6targetE1EEEvT1_,comdat
.Lfunc_end1:
	.size	_ZN7rocprim17ROCPRIM_400000_NS6detail17trampoline_kernelINS0_14default_configENS1_35adjacent_difference_config_selectorILb0EaEEZNS1_24adjacent_difference_implIS3_Lb0ELb0EPaS7_N6thrust23THRUST_200600_302600_NS5minusIaEEEE10hipError_tPvRmT2_T3_mT4_P12ihipStream_tbEUlT_E_NS1_11comp_targetILNS1_3genE0ELNS1_11target_archE4294967295ELNS1_3gpuE0ELNS1_3repE0EEENS1_30default_config_static_selectorELNS0_4arch9wavefront6targetE1EEEvT1_, .Lfunc_end1-_ZN7rocprim17ROCPRIM_400000_NS6detail17trampoline_kernelINS0_14default_configENS1_35adjacent_difference_config_selectorILb0EaEEZNS1_24adjacent_difference_implIS3_Lb0ELb0EPaS7_N6thrust23THRUST_200600_302600_NS5minusIaEEEE10hipError_tPvRmT2_T3_mT4_P12ihipStream_tbEUlT_E_NS1_11comp_targetILNS1_3genE0ELNS1_11target_archE4294967295ELNS1_3gpuE0ELNS1_3repE0EEENS1_30default_config_static_selectorELNS0_4arch9wavefront6targetE1EEEvT1_
                                        ; -- End function
	.section	.AMDGPU.csdata,"",@progbits
; Kernel info:
; codeLenInByte = 0
; NumSgprs: 4
; NumVgprs: 0
; NumAgprs: 0
; TotalNumVgprs: 0
; ScratchSize: 0
; MemoryBound: 0
; FloatMode: 240
; IeeeMode: 1
; LDSByteSize: 0 bytes/workgroup (compile time only)
; SGPRBlocks: 0
; VGPRBlocks: 0
; NumSGPRsForWavesPerEU: 4
; NumVGPRsForWavesPerEU: 1
; AccumOffset: 4
; Occupancy: 8
; WaveLimiterHint : 0
; COMPUTE_PGM_RSRC2:SCRATCH_EN: 0
; COMPUTE_PGM_RSRC2:USER_SGPR: 6
; COMPUTE_PGM_RSRC2:TRAP_HANDLER: 0
; COMPUTE_PGM_RSRC2:TGID_X_EN: 1
; COMPUTE_PGM_RSRC2:TGID_Y_EN: 0
; COMPUTE_PGM_RSRC2:TGID_Z_EN: 0
; COMPUTE_PGM_RSRC2:TIDIG_COMP_CNT: 0
; COMPUTE_PGM_RSRC3_GFX90A:ACCUM_OFFSET: 0
; COMPUTE_PGM_RSRC3_GFX90A:TG_SPLIT: 0
	.section	.text._ZN7rocprim17ROCPRIM_400000_NS6detail17trampoline_kernelINS0_14default_configENS1_35adjacent_difference_config_selectorILb0EaEEZNS1_24adjacent_difference_implIS3_Lb0ELb0EPaS7_N6thrust23THRUST_200600_302600_NS5minusIaEEEE10hipError_tPvRmT2_T3_mT4_P12ihipStream_tbEUlT_E_NS1_11comp_targetILNS1_3genE10ELNS1_11target_archE1201ELNS1_3gpuE5ELNS1_3repE0EEENS1_30default_config_static_selectorELNS0_4arch9wavefront6targetE1EEEvT1_,"axG",@progbits,_ZN7rocprim17ROCPRIM_400000_NS6detail17trampoline_kernelINS0_14default_configENS1_35adjacent_difference_config_selectorILb0EaEEZNS1_24adjacent_difference_implIS3_Lb0ELb0EPaS7_N6thrust23THRUST_200600_302600_NS5minusIaEEEE10hipError_tPvRmT2_T3_mT4_P12ihipStream_tbEUlT_E_NS1_11comp_targetILNS1_3genE10ELNS1_11target_archE1201ELNS1_3gpuE5ELNS1_3repE0EEENS1_30default_config_static_selectorELNS0_4arch9wavefront6targetE1EEEvT1_,comdat
	.protected	_ZN7rocprim17ROCPRIM_400000_NS6detail17trampoline_kernelINS0_14default_configENS1_35adjacent_difference_config_selectorILb0EaEEZNS1_24adjacent_difference_implIS3_Lb0ELb0EPaS7_N6thrust23THRUST_200600_302600_NS5minusIaEEEE10hipError_tPvRmT2_T3_mT4_P12ihipStream_tbEUlT_E_NS1_11comp_targetILNS1_3genE10ELNS1_11target_archE1201ELNS1_3gpuE5ELNS1_3repE0EEENS1_30default_config_static_selectorELNS0_4arch9wavefront6targetE1EEEvT1_ ; -- Begin function _ZN7rocprim17ROCPRIM_400000_NS6detail17trampoline_kernelINS0_14default_configENS1_35adjacent_difference_config_selectorILb0EaEEZNS1_24adjacent_difference_implIS3_Lb0ELb0EPaS7_N6thrust23THRUST_200600_302600_NS5minusIaEEEE10hipError_tPvRmT2_T3_mT4_P12ihipStream_tbEUlT_E_NS1_11comp_targetILNS1_3genE10ELNS1_11target_archE1201ELNS1_3gpuE5ELNS1_3repE0EEENS1_30default_config_static_selectorELNS0_4arch9wavefront6targetE1EEEvT1_
	.globl	_ZN7rocprim17ROCPRIM_400000_NS6detail17trampoline_kernelINS0_14default_configENS1_35adjacent_difference_config_selectorILb0EaEEZNS1_24adjacent_difference_implIS3_Lb0ELb0EPaS7_N6thrust23THRUST_200600_302600_NS5minusIaEEEE10hipError_tPvRmT2_T3_mT4_P12ihipStream_tbEUlT_E_NS1_11comp_targetILNS1_3genE10ELNS1_11target_archE1201ELNS1_3gpuE5ELNS1_3repE0EEENS1_30default_config_static_selectorELNS0_4arch9wavefront6targetE1EEEvT1_
	.p2align	8
	.type	_ZN7rocprim17ROCPRIM_400000_NS6detail17trampoline_kernelINS0_14default_configENS1_35adjacent_difference_config_selectorILb0EaEEZNS1_24adjacent_difference_implIS3_Lb0ELb0EPaS7_N6thrust23THRUST_200600_302600_NS5minusIaEEEE10hipError_tPvRmT2_T3_mT4_P12ihipStream_tbEUlT_E_NS1_11comp_targetILNS1_3genE10ELNS1_11target_archE1201ELNS1_3gpuE5ELNS1_3repE0EEENS1_30default_config_static_selectorELNS0_4arch9wavefront6targetE1EEEvT1_,@function
_ZN7rocprim17ROCPRIM_400000_NS6detail17trampoline_kernelINS0_14default_configENS1_35adjacent_difference_config_selectorILb0EaEEZNS1_24adjacent_difference_implIS3_Lb0ELb0EPaS7_N6thrust23THRUST_200600_302600_NS5minusIaEEEE10hipError_tPvRmT2_T3_mT4_P12ihipStream_tbEUlT_E_NS1_11comp_targetILNS1_3genE10ELNS1_11target_archE1201ELNS1_3gpuE5ELNS1_3repE0EEENS1_30default_config_static_selectorELNS0_4arch9wavefront6targetE1EEEvT1_: ; @_ZN7rocprim17ROCPRIM_400000_NS6detail17trampoline_kernelINS0_14default_configENS1_35adjacent_difference_config_selectorILb0EaEEZNS1_24adjacent_difference_implIS3_Lb0ELb0EPaS7_N6thrust23THRUST_200600_302600_NS5minusIaEEEE10hipError_tPvRmT2_T3_mT4_P12ihipStream_tbEUlT_E_NS1_11comp_targetILNS1_3genE10ELNS1_11target_archE1201ELNS1_3gpuE5ELNS1_3repE0EEENS1_30default_config_static_selectorELNS0_4arch9wavefront6targetE1EEEvT1_
; %bb.0:
	.section	.rodata,"a",@progbits
	.p2align	6, 0x0
	.amdhsa_kernel _ZN7rocprim17ROCPRIM_400000_NS6detail17trampoline_kernelINS0_14default_configENS1_35adjacent_difference_config_selectorILb0EaEEZNS1_24adjacent_difference_implIS3_Lb0ELb0EPaS7_N6thrust23THRUST_200600_302600_NS5minusIaEEEE10hipError_tPvRmT2_T3_mT4_P12ihipStream_tbEUlT_E_NS1_11comp_targetILNS1_3genE10ELNS1_11target_archE1201ELNS1_3gpuE5ELNS1_3repE0EEENS1_30default_config_static_selectorELNS0_4arch9wavefront6targetE1EEEvT1_
		.amdhsa_group_segment_fixed_size 0
		.amdhsa_private_segment_fixed_size 0
		.amdhsa_kernarg_size 56
		.amdhsa_user_sgpr_count 6
		.amdhsa_user_sgpr_private_segment_buffer 1
		.amdhsa_user_sgpr_dispatch_ptr 0
		.amdhsa_user_sgpr_queue_ptr 0
		.amdhsa_user_sgpr_kernarg_segment_ptr 1
		.amdhsa_user_sgpr_dispatch_id 0
		.amdhsa_user_sgpr_flat_scratch_init 0
		.amdhsa_user_sgpr_kernarg_preload_length 0
		.amdhsa_user_sgpr_kernarg_preload_offset 0
		.amdhsa_user_sgpr_private_segment_size 0
		.amdhsa_uses_dynamic_stack 0
		.amdhsa_system_sgpr_private_segment_wavefront_offset 0
		.amdhsa_system_sgpr_workgroup_id_x 1
		.amdhsa_system_sgpr_workgroup_id_y 0
		.amdhsa_system_sgpr_workgroup_id_z 0
		.amdhsa_system_sgpr_workgroup_info 0
		.amdhsa_system_vgpr_workitem_id 0
		.amdhsa_next_free_vgpr 1
		.amdhsa_next_free_sgpr 0
		.amdhsa_accum_offset 4
		.amdhsa_reserve_vcc 0
		.amdhsa_reserve_flat_scratch 0
		.amdhsa_float_round_mode_32 0
		.amdhsa_float_round_mode_16_64 0
		.amdhsa_float_denorm_mode_32 3
		.amdhsa_float_denorm_mode_16_64 3
		.amdhsa_dx10_clamp 1
		.amdhsa_ieee_mode 1
		.amdhsa_fp16_overflow 0
		.amdhsa_tg_split 0
		.amdhsa_exception_fp_ieee_invalid_op 0
		.amdhsa_exception_fp_denorm_src 0
		.amdhsa_exception_fp_ieee_div_zero 0
		.amdhsa_exception_fp_ieee_overflow 0
		.amdhsa_exception_fp_ieee_underflow 0
		.amdhsa_exception_fp_ieee_inexact 0
		.amdhsa_exception_int_div_zero 0
	.end_amdhsa_kernel
	.section	.text._ZN7rocprim17ROCPRIM_400000_NS6detail17trampoline_kernelINS0_14default_configENS1_35adjacent_difference_config_selectorILb0EaEEZNS1_24adjacent_difference_implIS3_Lb0ELb0EPaS7_N6thrust23THRUST_200600_302600_NS5minusIaEEEE10hipError_tPvRmT2_T3_mT4_P12ihipStream_tbEUlT_E_NS1_11comp_targetILNS1_3genE10ELNS1_11target_archE1201ELNS1_3gpuE5ELNS1_3repE0EEENS1_30default_config_static_selectorELNS0_4arch9wavefront6targetE1EEEvT1_,"axG",@progbits,_ZN7rocprim17ROCPRIM_400000_NS6detail17trampoline_kernelINS0_14default_configENS1_35adjacent_difference_config_selectorILb0EaEEZNS1_24adjacent_difference_implIS3_Lb0ELb0EPaS7_N6thrust23THRUST_200600_302600_NS5minusIaEEEE10hipError_tPvRmT2_T3_mT4_P12ihipStream_tbEUlT_E_NS1_11comp_targetILNS1_3genE10ELNS1_11target_archE1201ELNS1_3gpuE5ELNS1_3repE0EEENS1_30default_config_static_selectorELNS0_4arch9wavefront6targetE1EEEvT1_,comdat
.Lfunc_end2:
	.size	_ZN7rocprim17ROCPRIM_400000_NS6detail17trampoline_kernelINS0_14default_configENS1_35adjacent_difference_config_selectorILb0EaEEZNS1_24adjacent_difference_implIS3_Lb0ELb0EPaS7_N6thrust23THRUST_200600_302600_NS5minusIaEEEE10hipError_tPvRmT2_T3_mT4_P12ihipStream_tbEUlT_E_NS1_11comp_targetILNS1_3genE10ELNS1_11target_archE1201ELNS1_3gpuE5ELNS1_3repE0EEENS1_30default_config_static_selectorELNS0_4arch9wavefront6targetE1EEEvT1_, .Lfunc_end2-_ZN7rocprim17ROCPRIM_400000_NS6detail17trampoline_kernelINS0_14default_configENS1_35adjacent_difference_config_selectorILb0EaEEZNS1_24adjacent_difference_implIS3_Lb0ELb0EPaS7_N6thrust23THRUST_200600_302600_NS5minusIaEEEE10hipError_tPvRmT2_T3_mT4_P12ihipStream_tbEUlT_E_NS1_11comp_targetILNS1_3genE10ELNS1_11target_archE1201ELNS1_3gpuE5ELNS1_3repE0EEENS1_30default_config_static_selectorELNS0_4arch9wavefront6targetE1EEEvT1_
                                        ; -- End function
	.section	.AMDGPU.csdata,"",@progbits
; Kernel info:
; codeLenInByte = 0
; NumSgprs: 4
; NumVgprs: 0
; NumAgprs: 0
; TotalNumVgprs: 0
; ScratchSize: 0
; MemoryBound: 0
; FloatMode: 240
; IeeeMode: 1
; LDSByteSize: 0 bytes/workgroup (compile time only)
; SGPRBlocks: 0
; VGPRBlocks: 0
; NumSGPRsForWavesPerEU: 4
; NumVGPRsForWavesPerEU: 1
; AccumOffset: 4
; Occupancy: 8
; WaveLimiterHint : 0
; COMPUTE_PGM_RSRC2:SCRATCH_EN: 0
; COMPUTE_PGM_RSRC2:USER_SGPR: 6
; COMPUTE_PGM_RSRC2:TRAP_HANDLER: 0
; COMPUTE_PGM_RSRC2:TGID_X_EN: 1
; COMPUTE_PGM_RSRC2:TGID_Y_EN: 0
; COMPUTE_PGM_RSRC2:TGID_Z_EN: 0
; COMPUTE_PGM_RSRC2:TIDIG_COMP_CNT: 0
; COMPUTE_PGM_RSRC3_GFX90A:ACCUM_OFFSET: 0
; COMPUTE_PGM_RSRC3_GFX90A:TG_SPLIT: 0
	.section	.text._ZN7rocprim17ROCPRIM_400000_NS6detail17trampoline_kernelINS0_14default_configENS1_35adjacent_difference_config_selectorILb0EaEEZNS1_24adjacent_difference_implIS3_Lb0ELb0EPaS7_N6thrust23THRUST_200600_302600_NS5minusIaEEEE10hipError_tPvRmT2_T3_mT4_P12ihipStream_tbEUlT_E_NS1_11comp_targetILNS1_3genE5ELNS1_11target_archE942ELNS1_3gpuE9ELNS1_3repE0EEENS1_30default_config_static_selectorELNS0_4arch9wavefront6targetE1EEEvT1_,"axG",@progbits,_ZN7rocprim17ROCPRIM_400000_NS6detail17trampoline_kernelINS0_14default_configENS1_35adjacent_difference_config_selectorILb0EaEEZNS1_24adjacent_difference_implIS3_Lb0ELb0EPaS7_N6thrust23THRUST_200600_302600_NS5minusIaEEEE10hipError_tPvRmT2_T3_mT4_P12ihipStream_tbEUlT_E_NS1_11comp_targetILNS1_3genE5ELNS1_11target_archE942ELNS1_3gpuE9ELNS1_3repE0EEENS1_30default_config_static_selectorELNS0_4arch9wavefront6targetE1EEEvT1_,comdat
	.protected	_ZN7rocprim17ROCPRIM_400000_NS6detail17trampoline_kernelINS0_14default_configENS1_35adjacent_difference_config_selectorILb0EaEEZNS1_24adjacent_difference_implIS3_Lb0ELb0EPaS7_N6thrust23THRUST_200600_302600_NS5minusIaEEEE10hipError_tPvRmT2_T3_mT4_P12ihipStream_tbEUlT_E_NS1_11comp_targetILNS1_3genE5ELNS1_11target_archE942ELNS1_3gpuE9ELNS1_3repE0EEENS1_30default_config_static_selectorELNS0_4arch9wavefront6targetE1EEEvT1_ ; -- Begin function _ZN7rocprim17ROCPRIM_400000_NS6detail17trampoline_kernelINS0_14default_configENS1_35adjacent_difference_config_selectorILb0EaEEZNS1_24adjacent_difference_implIS3_Lb0ELb0EPaS7_N6thrust23THRUST_200600_302600_NS5minusIaEEEE10hipError_tPvRmT2_T3_mT4_P12ihipStream_tbEUlT_E_NS1_11comp_targetILNS1_3genE5ELNS1_11target_archE942ELNS1_3gpuE9ELNS1_3repE0EEENS1_30default_config_static_selectorELNS0_4arch9wavefront6targetE1EEEvT1_
	.globl	_ZN7rocprim17ROCPRIM_400000_NS6detail17trampoline_kernelINS0_14default_configENS1_35adjacent_difference_config_selectorILb0EaEEZNS1_24adjacent_difference_implIS3_Lb0ELb0EPaS7_N6thrust23THRUST_200600_302600_NS5minusIaEEEE10hipError_tPvRmT2_T3_mT4_P12ihipStream_tbEUlT_E_NS1_11comp_targetILNS1_3genE5ELNS1_11target_archE942ELNS1_3gpuE9ELNS1_3repE0EEENS1_30default_config_static_selectorELNS0_4arch9wavefront6targetE1EEEvT1_
	.p2align	8
	.type	_ZN7rocprim17ROCPRIM_400000_NS6detail17trampoline_kernelINS0_14default_configENS1_35adjacent_difference_config_selectorILb0EaEEZNS1_24adjacent_difference_implIS3_Lb0ELb0EPaS7_N6thrust23THRUST_200600_302600_NS5minusIaEEEE10hipError_tPvRmT2_T3_mT4_P12ihipStream_tbEUlT_E_NS1_11comp_targetILNS1_3genE5ELNS1_11target_archE942ELNS1_3gpuE9ELNS1_3repE0EEENS1_30default_config_static_selectorELNS0_4arch9wavefront6targetE1EEEvT1_,@function
_ZN7rocprim17ROCPRIM_400000_NS6detail17trampoline_kernelINS0_14default_configENS1_35adjacent_difference_config_selectorILb0EaEEZNS1_24adjacent_difference_implIS3_Lb0ELb0EPaS7_N6thrust23THRUST_200600_302600_NS5minusIaEEEE10hipError_tPvRmT2_T3_mT4_P12ihipStream_tbEUlT_E_NS1_11comp_targetILNS1_3genE5ELNS1_11target_archE942ELNS1_3gpuE9ELNS1_3repE0EEENS1_30default_config_static_selectorELNS0_4arch9wavefront6targetE1EEEvT1_: ; @_ZN7rocprim17ROCPRIM_400000_NS6detail17trampoline_kernelINS0_14default_configENS1_35adjacent_difference_config_selectorILb0EaEEZNS1_24adjacent_difference_implIS3_Lb0ELb0EPaS7_N6thrust23THRUST_200600_302600_NS5minusIaEEEE10hipError_tPvRmT2_T3_mT4_P12ihipStream_tbEUlT_E_NS1_11comp_targetILNS1_3genE5ELNS1_11target_archE942ELNS1_3gpuE9ELNS1_3repE0EEENS1_30default_config_static_selectorELNS0_4arch9wavefront6targetE1EEEvT1_
; %bb.0:
	.section	.rodata,"a",@progbits
	.p2align	6, 0x0
	.amdhsa_kernel _ZN7rocprim17ROCPRIM_400000_NS6detail17trampoline_kernelINS0_14default_configENS1_35adjacent_difference_config_selectorILb0EaEEZNS1_24adjacent_difference_implIS3_Lb0ELb0EPaS7_N6thrust23THRUST_200600_302600_NS5minusIaEEEE10hipError_tPvRmT2_T3_mT4_P12ihipStream_tbEUlT_E_NS1_11comp_targetILNS1_3genE5ELNS1_11target_archE942ELNS1_3gpuE9ELNS1_3repE0EEENS1_30default_config_static_selectorELNS0_4arch9wavefront6targetE1EEEvT1_
		.amdhsa_group_segment_fixed_size 0
		.amdhsa_private_segment_fixed_size 0
		.amdhsa_kernarg_size 56
		.amdhsa_user_sgpr_count 6
		.amdhsa_user_sgpr_private_segment_buffer 1
		.amdhsa_user_sgpr_dispatch_ptr 0
		.amdhsa_user_sgpr_queue_ptr 0
		.amdhsa_user_sgpr_kernarg_segment_ptr 1
		.amdhsa_user_sgpr_dispatch_id 0
		.amdhsa_user_sgpr_flat_scratch_init 0
		.amdhsa_user_sgpr_kernarg_preload_length 0
		.amdhsa_user_sgpr_kernarg_preload_offset 0
		.amdhsa_user_sgpr_private_segment_size 0
		.amdhsa_uses_dynamic_stack 0
		.amdhsa_system_sgpr_private_segment_wavefront_offset 0
		.amdhsa_system_sgpr_workgroup_id_x 1
		.amdhsa_system_sgpr_workgroup_id_y 0
		.amdhsa_system_sgpr_workgroup_id_z 0
		.amdhsa_system_sgpr_workgroup_info 0
		.amdhsa_system_vgpr_workitem_id 0
		.amdhsa_next_free_vgpr 1
		.amdhsa_next_free_sgpr 0
		.amdhsa_accum_offset 4
		.amdhsa_reserve_vcc 0
		.amdhsa_reserve_flat_scratch 0
		.amdhsa_float_round_mode_32 0
		.amdhsa_float_round_mode_16_64 0
		.amdhsa_float_denorm_mode_32 3
		.amdhsa_float_denorm_mode_16_64 3
		.amdhsa_dx10_clamp 1
		.amdhsa_ieee_mode 1
		.amdhsa_fp16_overflow 0
		.amdhsa_tg_split 0
		.amdhsa_exception_fp_ieee_invalid_op 0
		.amdhsa_exception_fp_denorm_src 0
		.amdhsa_exception_fp_ieee_div_zero 0
		.amdhsa_exception_fp_ieee_overflow 0
		.amdhsa_exception_fp_ieee_underflow 0
		.amdhsa_exception_fp_ieee_inexact 0
		.amdhsa_exception_int_div_zero 0
	.end_amdhsa_kernel
	.section	.text._ZN7rocprim17ROCPRIM_400000_NS6detail17trampoline_kernelINS0_14default_configENS1_35adjacent_difference_config_selectorILb0EaEEZNS1_24adjacent_difference_implIS3_Lb0ELb0EPaS7_N6thrust23THRUST_200600_302600_NS5minusIaEEEE10hipError_tPvRmT2_T3_mT4_P12ihipStream_tbEUlT_E_NS1_11comp_targetILNS1_3genE5ELNS1_11target_archE942ELNS1_3gpuE9ELNS1_3repE0EEENS1_30default_config_static_selectorELNS0_4arch9wavefront6targetE1EEEvT1_,"axG",@progbits,_ZN7rocprim17ROCPRIM_400000_NS6detail17trampoline_kernelINS0_14default_configENS1_35adjacent_difference_config_selectorILb0EaEEZNS1_24adjacent_difference_implIS3_Lb0ELb0EPaS7_N6thrust23THRUST_200600_302600_NS5minusIaEEEE10hipError_tPvRmT2_T3_mT4_P12ihipStream_tbEUlT_E_NS1_11comp_targetILNS1_3genE5ELNS1_11target_archE942ELNS1_3gpuE9ELNS1_3repE0EEENS1_30default_config_static_selectorELNS0_4arch9wavefront6targetE1EEEvT1_,comdat
.Lfunc_end3:
	.size	_ZN7rocprim17ROCPRIM_400000_NS6detail17trampoline_kernelINS0_14default_configENS1_35adjacent_difference_config_selectorILb0EaEEZNS1_24adjacent_difference_implIS3_Lb0ELb0EPaS7_N6thrust23THRUST_200600_302600_NS5minusIaEEEE10hipError_tPvRmT2_T3_mT4_P12ihipStream_tbEUlT_E_NS1_11comp_targetILNS1_3genE5ELNS1_11target_archE942ELNS1_3gpuE9ELNS1_3repE0EEENS1_30default_config_static_selectorELNS0_4arch9wavefront6targetE1EEEvT1_, .Lfunc_end3-_ZN7rocprim17ROCPRIM_400000_NS6detail17trampoline_kernelINS0_14default_configENS1_35adjacent_difference_config_selectorILb0EaEEZNS1_24adjacent_difference_implIS3_Lb0ELb0EPaS7_N6thrust23THRUST_200600_302600_NS5minusIaEEEE10hipError_tPvRmT2_T3_mT4_P12ihipStream_tbEUlT_E_NS1_11comp_targetILNS1_3genE5ELNS1_11target_archE942ELNS1_3gpuE9ELNS1_3repE0EEENS1_30default_config_static_selectorELNS0_4arch9wavefront6targetE1EEEvT1_
                                        ; -- End function
	.section	.AMDGPU.csdata,"",@progbits
; Kernel info:
; codeLenInByte = 0
; NumSgprs: 4
; NumVgprs: 0
; NumAgprs: 0
; TotalNumVgprs: 0
; ScratchSize: 0
; MemoryBound: 0
; FloatMode: 240
; IeeeMode: 1
; LDSByteSize: 0 bytes/workgroup (compile time only)
; SGPRBlocks: 0
; VGPRBlocks: 0
; NumSGPRsForWavesPerEU: 4
; NumVGPRsForWavesPerEU: 1
; AccumOffset: 4
; Occupancy: 8
; WaveLimiterHint : 0
; COMPUTE_PGM_RSRC2:SCRATCH_EN: 0
; COMPUTE_PGM_RSRC2:USER_SGPR: 6
; COMPUTE_PGM_RSRC2:TRAP_HANDLER: 0
; COMPUTE_PGM_RSRC2:TGID_X_EN: 1
; COMPUTE_PGM_RSRC2:TGID_Y_EN: 0
; COMPUTE_PGM_RSRC2:TGID_Z_EN: 0
; COMPUTE_PGM_RSRC2:TIDIG_COMP_CNT: 0
; COMPUTE_PGM_RSRC3_GFX90A:ACCUM_OFFSET: 0
; COMPUTE_PGM_RSRC3_GFX90A:TG_SPLIT: 0
	.section	.text._ZN7rocprim17ROCPRIM_400000_NS6detail17trampoline_kernelINS0_14default_configENS1_35adjacent_difference_config_selectorILb0EaEEZNS1_24adjacent_difference_implIS3_Lb0ELb0EPaS7_N6thrust23THRUST_200600_302600_NS5minusIaEEEE10hipError_tPvRmT2_T3_mT4_P12ihipStream_tbEUlT_E_NS1_11comp_targetILNS1_3genE4ELNS1_11target_archE910ELNS1_3gpuE8ELNS1_3repE0EEENS1_30default_config_static_selectorELNS0_4arch9wavefront6targetE1EEEvT1_,"axG",@progbits,_ZN7rocprim17ROCPRIM_400000_NS6detail17trampoline_kernelINS0_14default_configENS1_35adjacent_difference_config_selectorILb0EaEEZNS1_24adjacent_difference_implIS3_Lb0ELb0EPaS7_N6thrust23THRUST_200600_302600_NS5minusIaEEEE10hipError_tPvRmT2_T3_mT4_P12ihipStream_tbEUlT_E_NS1_11comp_targetILNS1_3genE4ELNS1_11target_archE910ELNS1_3gpuE8ELNS1_3repE0EEENS1_30default_config_static_selectorELNS0_4arch9wavefront6targetE1EEEvT1_,comdat
	.protected	_ZN7rocprim17ROCPRIM_400000_NS6detail17trampoline_kernelINS0_14default_configENS1_35adjacent_difference_config_selectorILb0EaEEZNS1_24adjacent_difference_implIS3_Lb0ELb0EPaS7_N6thrust23THRUST_200600_302600_NS5minusIaEEEE10hipError_tPvRmT2_T3_mT4_P12ihipStream_tbEUlT_E_NS1_11comp_targetILNS1_3genE4ELNS1_11target_archE910ELNS1_3gpuE8ELNS1_3repE0EEENS1_30default_config_static_selectorELNS0_4arch9wavefront6targetE1EEEvT1_ ; -- Begin function _ZN7rocprim17ROCPRIM_400000_NS6detail17trampoline_kernelINS0_14default_configENS1_35adjacent_difference_config_selectorILb0EaEEZNS1_24adjacent_difference_implIS3_Lb0ELb0EPaS7_N6thrust23THRUST_200600_302600_NS5minusIaEEEE10hipError_tPvRmT2_T3_mT4_P12ihipStream_tbEUlT_E_NS1_11comp_targetILNS1_3genE4ELNS1_11target_archE910ELNS1_3gpuE8ELNS1_3repE0EEENS1_30default_config_static_selectorELNS0_4arch9wavefront6targetE1EEEvT1_
	.globl	_ZN7rocprim17ROCPRIM_400000_NS6detail17trampoline_kernelINS0_14default_configENS1_35adjacent_difference_config_selectorILb0EaEEZNS1_24adjacent_difference_implIS3_Lb0ELb0EPaS7_N6thrust23THRUST_200600_302600_NS5minusIaEEEE10hipError_tPvRmT2_T3_mT4_P12ihipStream_tbEUlT_E_NS1_11comp_targetILNS1_3genE4ELNS1_11target_archE910ELNS1_3gpuE8ELNS1_3repE0EEENS1_30default_config_static_selectorELNS0_4arch9wavefront6targetE1EEEvT1_
	.p2align	8
	.type	_ZN7rocprim17ROCPRIM_400000_NS6detail17trampoline_kernelINS0_14default_configENS1_35adjacent_difference_config_selectorILb0EaEEZNS1_24adjacent_difference_implIS3_Lb0ELb0EPaS7_N6thrust23THRUST_200600_302600_NS5minusIaEEEE10hipError_tPvRmT2_T3_mT4_P12ihipStream_tbEUlT_E_NS1_11comp_targetILNS1_3genE4ELNS1_11target_archE910ELNS1_3gpuE8ELNS1_3repE0EEENS1_30default_config_static_selectorELNS0_4arch9wavefront6targetE1EEEvT1_,@function
_ZN7rocprim17ROCPRIM_400000_NS6detail17trampoline_kernelINS0_14default_configENS1_35adjacent_difference_config_selectorILb0EaEEZNS1_24adjacent_difference_implIS3_Lb0ELb0EPaS7_N6thrust23THRUST_200600_302600_NS5minusIaEEEE10hipError_tPvRmT2_T3_mT4_P12ihipStream_tbEUlT_E_NS1_11comp_targetILNS1_3genE4ELNS1_11target_archE910ELNS1_3gpuE8ELNS1_3repE0EEENS1_30default_config_static_selectorELNS0_4arch9wavefront6targetE1EEEvT1_: ; @_ZN7rocprim17ROCPRIM_400000_NS6detail17trampoline_kernelINS0_14default_configENS1_35adjacent_difference_config_selectorILb0EaEEZNS1_24adjacent_difference_implIS3_Lb0ELb0EPaS7_N6thrust23THRUST_200600_302600_NS5minusIaEEEE10hipError_tPvRmT2_T3_mT4_P12ihipStream_tbEUlT_E_NS1_11comp_targetILNS1_3genE4ELNS1_11target_archE910ELNS1_3gpuE8ELNS1_3repE0EEENS1_30default_config_static_selectorELNS0_4arch9wavefront6targetE1EEEvT1_
; %bb.0:
	s_load_dwordx8 s[8:15], s[4:5], 0x0
	s_mov_b32 s2, 0xb9435940
	s_load_dwordx2 s[0:1], s[4:5], 0x30
	s_movk_i32 s7, 0x4c0
	s_mul_i32 s20, s6, 0x4c0
	s_waitcnt lgkmcnt(0)
	s_add_u32 s8, s8, s10
	s_addc_u32 s9, s9, s11
	s_add_u32 s2, 0x294, s2
	s_addc_u32 s4, 0, 0
	v_add_co_u32_e64 v1, s[2:3], s2, -2.0
	s_cmp_lg_u64 s[2:3], 0
	s_addc_u32 s2, s4, 0x35e50c
	v_readfirstlane_b32 s4, v1
	s_mul_hi_u32 s5, s4, 0xfffffb40
	s_mul_i32 s3, s2, 0xfffffb40
	s_sub_i32 s5, s5, s4
	s_add_i32 s5, s5, s3
	s_mul_i32 s17, s4, 0xfffffb40
	s_mul_hi_u32 s3, s4, s5
	s_mul_i32 s16, s4, s5
	s_mul_hi_u32 s4, s4, s17
	s_add_u32 s4, s4, s16
	s_addc_u32 s3, 0, s3
	s_mul_hi_u32 s18, s2, s17
	s_mul_i32 s17, s2, s17
	s_add_u32 s4, s4, s17
	s_mul_hi_u32 s16, s2, s5
	s_addc_u32 s3, s3, s18
	s_addc_u32 s4, s16, 0
	s_mul_i32 s5, s2, s5
	s_add_u32 s3, s3, s5
	s_addc_u32 s4, 0, s4
	v_add_co_u32_e32 v1, vcc, s3, v1
	s_cmp_lg_u64 vcc, 0
	s_addc_u32 s2, s2, s4
	v_readfirstlane_b32 s5, v1
	s_mul_i32 s4, s14, s2
	s_mul_hi_u32 s16, s14, s5
	s_mul_hi_u32 s3, s14, s2
	s_add_u32 s4, s16, s4
	s_addc_u32 s3, 0, s3
	s_mul_hi_u32 s17, s15, s5
	s_mul_i32 s5, s15, s5
	s_add_u32 s4, s4, s5
	s_mul_hi_u32 s16, s15, s2
	s_addc_u32 s3, s3, s17
	s_addc_u32 s4, s16, 0
	s_mul_i32 s2, s15, s2
	s_add_u32 s2, s3, s2
	s_addc_u32 s3, 0, s4
	s_add_u32 s4, s2, 1
	s_addc_u32 s5, s3, 0
	s_add_u32 s16, s2, 2
	s_mul_i32 s18, s3, 0x4c0
	s_mul_hi_u32 s19, s2, 0x4c0
	s_addc_u32 s17, s3, 0
	s_add_i32 s19, s19, s18
	s_mul_i32 s18, s2, 0x4c0
	v_mov_b32_e32 v1, s18
	v_sub_co_u32_e32 v1, vcc, s14, v1
	s_cmp_lg_u64 vcc, 0
	s_subb_u32 s18, s15, s19
	v_subrev_co_u32_e32 v2, vcc, s7, v1
	s_cmp_lg_u64 vcc, 0
	s_subb_u32 s7, s18, 0
	v_readfirstlane_b32 s19, v2
	s_cmpk_gt_u32 s19, 0x4bf
	s_cselect_b32 s19, -1, 0
	s_cmp_eq_u32 s7, 0
	s_cselect_b32 s7, s19, -1
	s_cmp_lg_u32 s7, 0
	v_readfirstlane_b32 s7, v1
	s_cselect_b32 s4, s16, s4
	s_cselect_b32 s5, s17, s5
	s_cmpk_gt_u32 s7, 0x4bf
	s_cselect_b32 s7, -1, 0
	s_cmp_eq_u32 s18, 0
	s_cselect_b32 s7, s7, -1
	s_cmp_lg_u32 s7, 0
	s_cselect_b32 s5, s5, s3
	s_cselect_b32 s4, s4, s2
	s_mul_i32 s2, s5, 0x4c0
	s_mul_hi_u32 s3, s4, 0x4c0
	s_add_i32 s3, s3, s2
	s_mul_i32 s2, s4, 0x4c0
	s_sub_u32 s2, s14, s2
	s_subb_u32 s3, s15, s3
	s_cmp_lg_u64 s[2:3], 0
	s_cselect_b64 s[2:3], -1, 0
	v_cndmask_b32_e64 v1, 0, 1, s[2:3]
	v_readfirstlane_b32 s2, v1
	s_add_u32 s2, s4, s2
	s_addc_u32 s3, s5, 0
	s_add_u32 s4, s0, s6
	s_addc_u32 s5, s1, 0
	s_add_u32 s6, s2, -1
	s_addc_u32 s7, s3, -1
	v_pk_mov_b32 v[2:3], s[6:7], s[6:7] op_sel:[0,1]
	v_cmp_ge_u64_e64 s[0:1], s[4:5], v[2:3]
	s_mov_b64 s[16:17], -1
	s_and_b64 vcc, exec, s[0:1]
	s_mul_i32 s15, s6, 0xfffffb40
	s_cbranch_vccz .LBB4_40
; %bb.1:
	s_add_i32 s21, s15, s14
	s_add_u32 s16, s8, s20
	s_addc_u32 s17, s9, 0
	v_cmp_gt_u32_e32 vcc, s21, v0
                                        ; implicit-def: $vgpr1
	s_and_saveexec_b64 s[18:19], vcc
	s_cbranch_execz .LBB4_3
; %bb.2:
	global_load_ubyte v1, v0, s[16:17]
.LBB4_3:
	s_or_b64 exec, exec, s[18:19]
	v_or_b32_e32 v2, 64, v0
	v_cmp_gt_u32_e32 vcc, s21, v2
                                        ; implicit-def: $vgpr2
	s_and_saveexec_b64 s[18:19], vcc
	s_cbranch_execz .LBB4_5
; %bb.4:
	global_load_ubyte v2, v0, s[16:17] offset:64
.LBB4_5:
	s_or_b64 exec, exec, s[18:19]
	v_or_b32_e32 v3, 0x80, v0
	v_cmp_gt_u32_e32 vcc, s21, v3
                                        ; implicit-def: $vgpr3
	s_and_saveexec_b64 s[18:19], vcc
	s_cbranch_execz .LBB4_7
; %bb.6:
	global_load_ubyte v3, v0, s[16:17] offset:128
.LBB4_7:
	s_or_b64 exec, exec, s[18:19]
	v_or_b32_e32 v4, 0xc0, v0
	v_cmp_gt_u32_e32 vcc, s21, v4
                                        ; implicit-def: $vgpr4
	s_and_saveexec_b64 s[18:19], vcc
	s_cbranch_execz .LBB4_9
; %bb.8:
	global_load_ubyte v4, v0, s[16:17] offset:192
.LBB4_9:
	s_or_b64 exec, exec, s[18:19]
	v_or_b32_e32 v5, 0x100, v0
	v_cmp_gt_u32_e32 vcc, s21, v5
                                        ; implicit-def: $vgpr5
	s_and_saveexec_b64 s[18:19], vcc
	s_cbranch_execz .LBB4_11
; %bb.10:
	global_load_ubyte v5, v0, s[16:17] offset:256
.LBB4_11:
	s_or_b64 exec, exec, s[18:19]
	v_or_b32_e32 v6, 0x140, v0
	v_cmp_gt_u32_e32 vcc, s21, v6
                                        ; implicit-def: $vgpr6
	s_and_saveexec_b64 s[18:19], vcc
	s_cbranch_execz .LBB4_13
; %bb.12:
	global_load_ubyte v6, v0, s[16:17] offset:320
.LBB4_13:
	s_or_b64 exec, exec, s[18:19]
	v_or_b32_e32 v7, 0x180, v0
	v_cmp_gt_u32_e32 vcc, s21, v7
                                        ; implicit-def: $vgpr7
	s_and_saveexec_b64 s[18:19], vcc
	s_cbranch_execz .LBB4_15
; %bb.14:
	global_load_ubyte v7, v0, s[16:17] offset:384
.LBB4_15:
	s_or_b64 exec, exec, s[18:19]
	v_or_b32_e32 v8, 0x1c0, v0
	v_cmp_gt_u32_e32 vcc, s21, v8
                                        ; implicit-def: $vgpr8
	s_and_saveexec_b64 s[18:19], vcc
	s_cbranch_execz .LBB4_17
; %bb.16:
	global_load_ubyte v8, v0, s[16:17] offset:448
.LBB4_17:
	s_or_b64 exec, exec, s[18:19]
	v_or_b32_e32 v9, 0x200, v0
	v_cmp_gt_u32_e32 vcc, s21, v9
                                        ; implicit-def: $vgpr9
	s_and_saveexec_b64 s[18:19], vcc
	s_cbranch_execz .LBB4_19
; %bb.18:
	global_load_ubyte v9, v0, s[16:17] offset:512
.LBB4_19:
	s_or_b64 exec, exec, s[18:19]
	v_or_b32_e32 v10, 0x240, v0
	v_cmp_gt_u32_e32 vcc, s21, v10
                                        ; implicit-def: $vgpr10
	s_and_saveexec_b64 s[18:19], vcc
	s_cbranch_execz .LBB4_21
; %bb.20:
	global_load_ubyte v10, v0, s[16:17] offset:576
.LBB4_21:
	s_or_b64 exec, exec, s[18:19]
	v_or_b32_e32 v11, 0x280, v0
	v_cmp_gt_u32_e32 vcc, s21, v11
                                        ; implicit-def: $vgpr11
	s_and_saveexec_b64 s[18:19], vcc
	s_cbranch_execz .LBB4_23
; %bb.22:
	global_load_ubyte v11, v0, s[16:17] offset:640
.LBB4_23:
	s_or_b64 exec, exec, s[18:19]
	v_or_b32_e32 v12, 0x2c0, v0
	v_cmp_gt_u32_e32 vcc, s21, v12
                                        ; implicit-def: $vgpr12
	s_and_saveexec_b64 s[18:19], vcc
	s_cbranch_execz .LBB4_25
; %bb.24:
	global_load_ubyte v12, v0, s[16:17] offset:704
.LBB4_25:
	s_or_b64 exec, exec, s[18:19]
	v_or_b32_e32 v13, 0x300, v0
	v_cmp_gt_u32_e32 vcc, s21, v13
                                        ; implicit-def: $vgpr13
	s_and_saveexec_b64 s[18:19], vcc
	s_cbranch_execz .LBB4_27
; %bb.26:
	global_load_ubyte v13, v0, s[16:17] offset:768
.LBB4_27:
	s_or_b64 exec, exec, s[18:19]
	v_or_b32_e32 v14, 0x340, v0
	v_cmp_gt_u32_e32 vcc, s21, v14
                                        ; implicit-def: $vgpr14
	s_and_saveexec_b64 s[18:19], vcc
	s_cbranch_execz .LBB4_29
; %bb.28:
	global_load_ubyte v14, v0, s[16:17] offset:832
.LBB4_29:
	s_or_b64 exec, exec, s[18:19]
	v_or_b32_e32 v15, 0x380, v0
	v_cmp_gt_u32_e32 vcc, s21, v15
                                        ; implicit-def: $vgpr15
	s_and_saveexec_b64 s[18:19], vcc
	s_cbranch_execz .LBB4_31
; %bb.30:
	global_load_ubyte v15, v0, s[16:17] offset:896
.LBB4_31:
	s_or_b64 exec, exec, s[18:19]
	v_or_b32_e32 v16, 0x3c0, v0
	v_cmp_gt_u32_e32 vcc, s21, v16
                                        ; implicit-def: $vgpr16
	s_and_saveexec_b64 s[18:19], vcc
	s_cbranch_execz .LBB4_33
; %bb.32:
	global_load_ubyte v16, v0, s[16:17] offset:960
.LBB4_33:
	s_or_b64 exec, exec, s[18:19]
	v_or_b32_e32 v17, 0x400, v0
	v_cmp_gt_u32_e32 vcc, s21, v17
                                        ; implicit-def: $vgpr17
	s_and_saveexec_b64 s[18:19], vcc
	s_cbranch_execz .LBB4_35
; %bb.34:
	global_load_ubyte v17, v0, s[16:17] offset:1024
.LBB4_35:
	s_or_b64 exec, exec, s[18:19]
	v_or_b32_e32 v18, 0x440, v0
	v_cmp_gt_u32_e32 vcc, s21, v18
                                        ; implicit-def: $vgpr18
	s_and_saveexec_b64 s[18:19], vcc
	s_cbranch_execz .LBB4_37
; %bb.36:
	global_load_ubyte v18, v0, s[16:17] offset:1088
.LBB4_37:
	s_or_b64 exec, exec, s[18:19]
	v_or_b32_e32 v19, 0x480, v0
	v_cmp_gt_u32_e32 vcc, s21, v19
                                        ; implicit-def: $vgpr19
	s_and_saveexec_b64 s[18:19], vcc
	s_cbranch_execz .LBB4_39
; %bb.38:
	global_load_ubyte v19, v0, s[16:17] offset:1152
.LBB4_39:
	s_or_b64 exec, exec, s[18:19]
	s_mov_b64 s[16:17], 0
	s_waitcnt vmcnt(0)
	ds_write_b8 v0, v1
	ds_write_b8 v0, v2 offset:64
	ds_write_b8 v0, v3 offset:128
	;; [unrolled: 1-line block ×18, first 2 shown]
	s_waitcnt lgkmcnt(0)
	; wave barrier
.LBB4_40:
	s_and_b64 vcc, exec, s[16:17]
	s_cbranch_vccz .LBB4_42
; %bb.41:
	s_add_u32 s16, s8, s20
	s_addc_u32 s17, s9, 0
	global_load_ubyte v1, v0, s[16:17]
	global_load_ubyte v2, v0, s[16:17] offset:64
	global_load_ubyte v3, v0, s[16:17] offset:128
	;; [unrolled: 1-line block ×18, first 2 shown]
	s_waitcnt vmcnt(18)
	ds_write_b8 v0, v1
	s_waitcnt vmcnt(17)
	ds_write_b8 v0, v2 offset:64
	s_waitcnt vmcnt(16)
	ds_write_b8 v0, v3 offset:128
	;; [unrolled: 2-line block ×18, first 2 shown]
	s_waitcnt lgkmcnt(0)
	; wave barrier
.LBB4_42:
	v_mul_u32_u24_e32 v1, 19, v0
	s_waitcnt lgkmcnt(0)
	ds_read_u8 v7, v1
	ds_read_b64 v[4:5], v1 offset:1
	ds_read_u8 v6, v1 offset:9
	ds_read_b64 v[2:3], v1 offset:10
	ds_read_u8 v1, v1 offset:18
	s_cmp_eq_u64 s[4:5], 0
	s_waitcnt lgkmcnt(0)
	; wave barrier
	s_waitcnt lgkmcnt(0)
	s_cbranch_scc1 .LBB4_47
; %bb.43:
	v_mov_b32_e32 v8, s20
	global_load_ubyte v12, v8, s[8:9] offset:-1
	s_cmp_eq_u64 s[4:5], s[6:7]
	s_cbranch_scc1 .LBB4_48
; %bb.44:
	v_cmp_ne_u32_e32 vcc, 0, v0
	s_waitcnt vmcnt(0)
	v_mov_b32_e32 v8, v12
	ds_write_b8 v0, v1
	s_waitcnt lgkmcnt(0)
	; wave barrier
	s_waitcnt lgkmcnt(0)
	s_and_saveexec_b64 s[6:7], vcc
	s_cbranch_execz .LBB4_46
; %bb.45:
	v_add_u32_e32 v8, -1, v0
	ds_read_u8 v8, v8
.LBB4_46:
	s_or_b64 exec, exec, s[6:7]
	v_lshrrev_b32_e32 v9, 16, v4
	v_lshlrev_b16_e32 v13, 8, v4
	v_lshlrev_b16_e32 v15, 8, v9
	v_mov_b32_e32 v18, 8
	v_lshrrev_b32_e32 v9, 16, v2
	v_lshrrev_b32_sdwa v13, v18, v13 dst_sel:BYTE_1 dst_unused:UNUSED_PAD src0_sel:DWORD src1_sel:DWORD
	v_lshrrev_b32_sdwa v15, v18, v15 dst_sel:BYTE_1 dst_unused:UNUSED_PAD src0_sel:DWORD src1_sel:DWORD
	v_lshlrev_b16_e32 v16, 8, v2
	v_lshlrev_b16_e32 v17, 8, v9
	v_or_b32_sdwa v13, v7, v13 dst_sel:DWORD dst_unused:UNUSED_PAD src0_sel:BYTE_0 src1_sel:DWORD
	v_or_b32_sdwa v15, v4, v15 dst_sel:WORD_1 dst_unused:UNUSED_PAD src0_sel:BYTE_1 src1_sel:DWORD
	v_or_b32_sdwa v15, v13, v15 dst_sel:DWORD dst_unused:UNUSED_PAD src0_sel:WORD_0 src1_sel:DWORD
	v_lshrrev_b32_sdwa v13, v18, v16 dst_sel:BYTE_1 dst_unused:UNUSED_PAD src0_sel:DWORD src1_sel:DWORD
	v_lshrrev_b32_sdwa v16, v18, v17 dst_sel:BYTE_1 dst_unused:UNUSED_PAD src0_sel:DWORD src1_sel:DWORD
	s_mov_b32 s5, 0x2010007
	v_or_b32_sdwa v13, v6, v13 dst_sel:DWORD dst_unused:UNUSED_PAD src0_sel:BYTE_0 src1_sel:DWORD
	v_or_b32_sdwa v16, v2, v16 dst_sel:WORD_1 dst_unused:UNUSED_PAD src0_sel:BYTE_1 src1_sel:DWORD
	s_waitcnt lgkmcnt(0)
	v_sub_u16_e32 v8, v7, v8
	v_perm_b32 v14, v4, v5, s5
	v_lshrrev_b32_e32 v10, 24, v5
	v_perm_b32 v11, v2, v3, s5
	v_lshrrev_b32_e32 v9, 24, v3
	v_or_b32_sdwa v13, v13, v16 dst_sel:DWORD dst_unused:UNUSED_PAD src0_sel:WORD_0 src1_sel:DWORD
	s_branch .LBB4_52
.LBB4_47:
                                        ; implicit-def: $vgpr11
                                        ; implicit-def: $vgpr13
                                        ; implicit-def: $vgpr14
                                        ; implicit-def: $vgpr15
                                        ; implicit-def: $vgpr8
                                        ; implicit-def: $vgpr10
                                        ; implicit-def: $vgpr9
	s_branch .LBB4_53
.LBB4_48:
                                        ; implicit-def: $vgpr11
                                        ; implicit-def: $vgpr13
                                        ; implicit-def: $vgpr14
                                        ; implicit-def: $vgpr15
                                        ; implicit-def: $vgpr8
                                        ; implicit-def: $vgpr10
                                        ; implicit-def: $vgpr9
	s_cbranch_execz .LBB4_52
; %bb.49:
	v_mul_u32_u24_e32 v8, 19, v0
	v_cmp_ne_u32_e32 vcc, 0, v0
	ds_write_b8 v0, v1
	s_waitcnt lgkmcnt(0)
	; wave barrier
	s_waitcnt lgkmcnt(0)
	s_and_saveexec_b64 s[6:7], vcc
	s_cbranch_execz .LBB4_51
; %bb.50:
	v_add_u32_e32 v9, -1, v0
	s_waitcnt vmcnt(0)
	ds_read_u8 v12, v9
.LBB4_51:
	s_or_b64 exec, exec, s[6:7]
	s_mulk_i32 s4, 0xfb40
	s_add_i32 s4, s4, s14
	v_add_u32_e32 v9, 18, v8
	v_lshrrev_b32_e32 v21, 24, v3
	v_cmp_gt_u32_e32 vcc, s4, v9
	v_cndmask_b32_e32 v9, 0, v21, vcc
	v_add_u32_e32 v21, 16, v8
	v_lshrrev_b16_e32 v20, 8, v3
	v_add_u32_e32 v22, 17, v8
	v_cmp_gt_u32_e32 vcc, s4, v21
	v_lshrrev_b32_e32 v19, 16, v3
	v_add_u32_e32 v23, 14, v8
	v_cndmask_b32_e32 v20, 0, v20, vcc
	v_cmp_gt_u32_e32 vcc, s4, v22
	v_lshrrev_b32_e32 v18, 24, v2
	v_add_u32_e32 v24, 15, v8
	v_cndmask_b32_e32 v19, 0, v19, vcc
	v_cmp_gt_u32_e32 vcc, s4, v23
	v_add_u32_e32 v25, 12, v8
	v_cndmask_b32_e32 v18, 0, v18, vcc
	v_cmp_gt_u32_e32 vcc, s4, v24
	v_lshrrev_b16_e32 v17, 8, v2
	v_add_u32_e32 v26, 13, v8
	v_cndmask_b32_e32 v22, 0, v3, vcc
	v_cmp_gt_u32_e32 vcc, s4, v25
	v_lshrrev_b32_e32 v10, 16, v2
	v_add_u32_e32 v27, 11, v8
	v_cndmask_b32_e32 v17, 0, v17, vcc
	v_cmp_gt_u32_e32 vcc, s4, v26
	v_cndmask_b32_e32 v10, 0, v10, vcc
	v_cmp_gt_u32_e32 vcc, s4, v27
	v_add_u32_e32 v28, 10, v8
	v_lshlrev_b16_e32 v23, 8, v10
	v_cndmask_b32_e32 v10, 0, v2, vcc
	v_lshlrev_b16_e32 v24, 8, v10
	v_cmp_gt_u32_e32 vcc, s4, v28
	v_add_u32_e32 v10, 9, v8
	v_cndmask_b32_e32 v25, 0, v6, vcc
	v_lshrrev_b32_e32 v26, 24, v5
	v_cmp_gt_u32_e32 vcc, s4, v10
	v_cndmask_b32_e32 v10, 0, v26, vcc
	v_add_u32_e32 v26, 7, v8
	v_lshrrev_b16_e32 v16, 8, v5
	v_add_u32_e32 v27, 8, v8
	v_cmp_gt_u32_e32 vcc, s4, v26
	v_lshrrev_b32_e32 v15, 16, v5
	v_add_u32_e32 v28, 5, v8
	v_cndmask_b32_e32 v16, 0, v16, vcc
	v_cmp_gt_u32_e32 vcc, s4, v27
	v_lshrrev_b32_e32 v14, 24, v4
	v_add_u32_e32 v29, 6, v8
	v_cndmask_b32_e32 v15, 0, v15, vcc
	v_cmp_gt_u32_e32 vcc, s4, v28
	v_mov_b32_e32 v21, 8
	v_add_u32_e32 v30, 3, v8
	v_lshlrev_b16_e32 v15, 8, v15
	v_cndmask_b32_e32 v14, 0, v14, vcc
	v_cmp_gt_u32_e32 vcc, s4, v29
	v_lshrrev_b16_e32 v13, 8, v4
	v_add_u32_e32 v31, 4, v8
	v_lshrrev_b32_sdwa v26, v21, v15 dst_sel:BYTE_1 dst_unused:UNUSED_PAD src0_sel:DWORD src1_sel:DWORD
	v_cndmask_b32_e32 v15, 0, v5, vcc
	v_cmp_gt_u32_e32 vcc, s4, v30
	v_lshrrev_b32_e32 v11, 16, v4
	v_add_u32_e32 v32, 2, v8
	v_cndmask_b32_e32 v13, 0, v13, vcc
	v_cmp_gt_u32_e32 vcc, s4, v31
	v_add_u32_e32 v33, 1, v8
	v_lshlrev_b16_e32 v15, 8, v15
	v_cndmask_b32_e32 v11, 0, v11, vcc
	v_cmp_gt_u32_e32 vcc, s4, v32
	v_lshrrev_b32_sdwa v27, v21, v15 dst_sel:BYTE_1 dst_unused:UNUSED_PAD src0_sel:DWORD src1_sel:DWORD
	v_cndmask_b32_e32 v15, 0, v4, vcc
	v_cmp_gt_u32_e32 vcc, s4, v33
	v_lshlrev_b16_e32 v11, 8, v11
	v_lshlrev_b16_e32 v15, 8, v15
	v_cndmask_b32_e32 v28, 0, v7, vcc
	v_cmp_gt_u32_e32 vcc, s4, v8
	s_waitcnt vmcnt(0) lgkmcnt(0)
	v_cndmask_b32_e32 v8, 0, v12, vcc
	v_lshrrev_b32_sdwa v12, v21, v15 dst_sel:BYTE_1 dst_unused:UNUSED_PAD src0_sel:DWORD src1_sel:DWORD
	v_lshrrev_b32_sdwa v11, v21, v11 dst_sel:BYTE_1 dst_unused:UNUSED_PAD src0_sel:DWORD src1_sel:DWORD
	v_or_b32_sdwa v12, v28, v12 dst_sel:DWORD dst_unused:UNUSED_PAD src0_sel:BYTE_0 src1_sel:DWORD
	v_or_b32_sdwa v11, v13, v11 dst_sel:WORD_1 dst_unused:UNUSED_PAD src0_sel:DWORD src1_sel:DWORD
	v_or_b32_sdwa v15, v12, v11 dst_sel:DWORD dst_unused:UNUSED_PAD src0_sel:WORD_0 src1_sel:DWORD
	v_or_b32_e32 v11, v14, v27
	v_or_b32_sdwa v12, v16, v26 dst_sel:WORD_1 dst_unused:UNUSED_PAD src0_sel:DWORD src1_sel:DWORD
	v_lshlrev_b16_e32 v19, 8, v19
	v_lshlrev_b16_e32 v22, 8, v22
	v_or_b32_sdwa v14, v11, v12 dst_sel:DWORD dst_unused:UNUSED_PAD src0_sel:WORD_0 src1_sel:DWORD
	v_lshrrev_b32_sdwa v11, v21, v24 dst_sel:BYTE_1 dst_unused:UNUSED_PAD src0_sel:DWORD src1_sel:DWORD
	v_lshrrev_b32_sdwa v12, v21, v23 dst_sel:BYTE_1 dst_unused:UNUSED_PAD src0_sel:DWORD src1_sel:DWORD
	;; [unrolled: 1-line block ×4, first 2 shown]
	v_or_b32_sdwa v11, v25, v11 dst_sel:DWORD dst_unused:UNUSED_PAD src0_sel:BYTE_0 src1_sel:DWORD
	v_or_b32_sdwa v12, v17, v12 dst_sel:WORD_1 dst_unused:UNUSED_PAD src0_sel:DWORD src1_sel:DWORD
	v_or_b32_sdwa v13, v11, v12 dst_sel:DWORD dst_unused:UNUSED_PAD src0_sel:WORD_0 src1_sel:DWORD
	v_or_b32_e32 v11, v18, v22
	v_or_b32_sdwa v12, v20, v19 dst_sel:WORD_1 dst_unused:UNUSED_PAD src0_sel:DWORD src1_sel:DWORD
	v_sub_u16_e32 v8, v7, v8
	v_or_b32_sdwa v11, v11, v12 dst_sel:DWORD dst_unused:UNUSED_PAD src0_sel:WORD_0 src1_sel:DWORD
.LBB4_52:
	s_cbranch_execnz .LBB4_61
.LBB4_53:
	s_cmp_eq_u64 s[2:3], 1
	v_cmp_ne_u32_e32 vcc, 0, v0
	s_cbranch_scc1 .LBB4_57
; %bb.54:
	v_lshlrev_b16_e32 v8, 8, v4
	v_lshrrev_b32_e32 v9, 16, v4
	v_mov_b32_e32 v14, 8
	v_lshlrev_b16_e32 v9, 8, v9
	v_lshrrev_b32_sdwa v8, v14, v8 dst_sel:BYTE_1 dst_unused:UNUSED_PAD src0_sel:DWORD src1_sel:DWORD
	v_lshlrev_b16_e32 v10, 8, v2
	v_lshrrev_b32_e32 v11, 16, v2
	s_waitcnt vmcnt(0)
	v_or_b32_sdwa v12, v7, v8 dst_sel:DWORD dst_unused:UNUSED_PAD src0_sel:BYTE_0 src1_sel:DWORD
	v_lshrrev_b32_sdwa v8, v14, v9 dst_sel:BYTE_1 dst_unused:UNUSED_PAD src0_sel:DWORD src1_sel:DWORD
	v_lshlrev_b16_e32 v11, 8, v11
	v_or_b32_sdwa v13, v4, v8 dst_sel:WORD_1 dst_unused:UNUSED_PAD src0_sel:BYTE_1 src1_sel:DWORD
	v_lshrrev_b32_sdwa v8, v14, v10 dst_sel:BYTE_1 dst_unused:UNUSED_PAD src0_sel:DWORD src1_sel:DWORD
	v_or_b32_sdwa v16, v6, v8 dst_sel:DWORD dst_unused:UNUSED_PAD src0_sel:BYTE_0 src1_sel:DWORD
	v_lshrrev_b32_sdwa v8, v14, v11 dst_sel:BYTE_1 dst_unused:UNUSED_PAD src0_sel:DWORD src1_sel:DWORD
	s_mov_b32 s4, 0x2010007
	v_or_b32_sdwa v17, v2, v8 dst_sel:WORD_1 dst_unused:UNUSED_PAD src0_sel:BYTE_1 src1_sel:DWORD
	v_mov_b32_e32 v8, v7
	ds_write_b8 v0, v1
	s_waitcnt lgkmcnt(0)
	; wave barrier
	s_waitcnt lgkmcnt(0)
	s_and_saveexec_b64 s[2:3], vcc
	s_cbranch_execz .LBB4_56
; %bb.55:
	v_add_u32_e32 v8, -1, v0
	ds_read_u8 v8, v8
	s_waitcnt lgkmcnt(0)
	v_sub_u16_e32 v8, v7, v8
.LBB4_56:
	s_or_b64 exec, exec, s[2:3]
	v_perm_b32 v14, v4, v5, s4
	v_lshrrev_b32_e32 v10, 24, v5
	v_perm_b32 v11, v2, v3, s4
	v_lshrrev_b32_e32 v9, 24, v3
	v_or_b32_sdwa v15, v12, v13 dst_sel:DWORD dst_unused:UNUSED_PAD src0_sel:WORD_0 src1_sel:DWORD
	v_or_b32_sdwa v13, v16, v17 dst_sel:DWORD dst_unused:UNUSED_PAD src0_sel:WORD_0 src1_sel:DWORD
	s_cbranch_execz .LBB4_58
	s_branch .LBB4_61
.LBB4_57:
                                        ; implicit-def: $vgpr11
                                        ; implicit-def: $vgpr13
                                        ; implicit-def: $vgpr14
                                        ; implicit-def: $vgpr15
                                        ; implicit-def: $vgpr8
                                        ; implicit-def: $vgpr10
                                        ; implicit-def: $vgpr9
.LBB4_58:
	v_mad_u32_u24 v20, v0, 19, 16
	v_lshrrev_b16_e32 v18, 8, v3
	v_mad_u32_u24 v21, v0, 19, 17
	v_cmp_gt_u32_e64 s[2:3], s14, v20
	v_lshrrev_b32_e32 v17, 16, v3
	v_mad_u32_u24 v22, v0, 19, 14
	v_cndmask_b32_e64 v20, 0, v18, s[2:3]
	v_cmp_gt_u32_e64 s[2:3], s14, v21
	v_lshrrev_b32_e32 v16, 24, v2
	v_mad_u32_u24 v23, v0, 19, 15
	v_cndmask_b32_e64 v17, 0, v17, s[2:3]
	v_cmp_gt_u32_e64 s[2:3], s14, v22
	v_mad_u32_u24 v24, v0, 19, 12
	v_cndmask_b32_e64 v22, 0, v16, s[2:3]
	v_cmp_gt_u32_e64 s[2:3], s14, v23
	v_lshrrev_b16_e32 v15, 8, v2
	v_mad_u32_u24 v25, v0, 19, 13
	v_cndmask_b32_e64 v16, 0, v3, s[2:3]
	v_cmp_gt_u32_e64 s[2:3], s14, v24
	v_lshrrev_b32_e32 v10, 16, v2
	v_mad_u32_u24 v26, v0, 19, 11
	v_cndmask_b32_e64 v15, 0, v15, s[2:3]
	v_cmp_gt_u32_e64 s[2:3], s14, v25
	v_mad_u32_u24 v25, v0, 19, 7
	v_lshrrev_b16_e32 v14, 8, v5
	v_cndmask_b32_e64 v10, 0, v10, s[2:3]
	v_cmp_gt_u32_e64 s[2:3], s14, v26
	v_mad_u32_u24 v26, v0, 19, 8
	v_cmp_gt_u32_e64 s[4:5], s14, v25
	v_lshrrev_b32_e32 v13, 16, v5
	v_mad_u32_u24 v27, v0, 19, 10
	v_lshlrev_b16_e32 v17, 8, v17
	v_mov_b32_e32 v18, 8
	v_cndmask_b32_e64 v14, 0, v14, s[4:5]
	v_cmp_gt_u32_e64 s[4:5], s14, v26
	v_lshrrev_b32_sdwa v21, v18, v17 dst_sel:BYTE_1 dst_unused:UNUSED_PAD src0_sel:DWORD src1_sel:DWORD
	v_lshlrev_b16_e32 v17, 8, v10
	v_cndmask_b32_e64 v10, 0, v2, s[2:3]
	v_cmp_gt_u32_e64 s[2:3], s14, v27
	v_mad_u32_u24 v27, v0, 19, 5
	v_cndmask_b32_e64 v13, 0, v13, s[4:5]
	s_waitcnt vmcnt(0)
	v_lshrrev_b32_e32 v12, 24, v4
	v_mad_u32_u24 v28, v0, 19, 6
	v_lshlrev_b16_e32 v13, 8, v13
	v_cmp_gt_u32_e64 s[4:5], s14, v27
	v_lshrrev_b32_sdwa v25, v18, v13 dst_sel:BYTE_1 dst_unused:UNUSED_PAD src0_sel:DWORD src1_sel:DWORD
	v_cndmask_b32_e64 v13, 0, v12, s[4:5]
	v_cmp_gt_u32_e64 s[4:5], s14, v28
	v_mad_u32_u24 v29, v0, 19, 3
	v_cndmask_b32_e64 v12, 0, v5, s[4:5]
	v_lshrrev_b16_e32 v11, 8, v4
	v_mad_u32_u24 v30, v0, 19, 4
	v_lshlrev_b16_e32 v12, 8, v12
	v_cmp_gt_u32_e64 s[4:5], s14, v29
	v_lshrrev_b32_e32 v9, 16, v4
	v_lshrrev_b32_sdwa v26, v18, v12 dst_sel:BYTE_1 dst_unused:UNUSED_PAD src0_sel:DWORD src1_sel:DWORD
	v_cndmask_b32_e64 v12, 0, v11, s[4:5]
	v_cmp_gt_u32_e64 s[4:5], s14, v30
	v_mad_u32_u24 v31, v0, 19, 2
	v_cndmask_b32_e64 v9, 0, v9, s[4:5]
	v_lshlrev_b16_e32 v16, 8, v16
	v_lshlrev_b16_e32 v9, 8, v9
	v_cmp_gt_u32_e64 s[4:5], s14, v31
	v_lshrrev_b32_sdwa v23, v18, v16 dst_sel:BYTE_1 dst_unused:UNUSED_PAD src0_sel:DWORD src1_sel:DWORD
	v_lshlrev_b16_e32 v16, 8, v10
	v_mad_u32_u24 v32, v0, 19, 1
	v_cndmask_b32_e64 v11, 0, v4, s[4:5]
	v_lshrrev_b32_sdwa v9, v18, v9 dst_sel:BYTE_1 dst_unused:UNUSED_PAD src0_sel:DWORD src1_sel:DWORD
	v_mul_u32_u24_e32 v19, 19, v0
	v_cndmask_b32_e64 v24, 0, v6, s[2:3]
	v_lshlrev_b16_e32 v11, 8, v11
	v_cmp_gt_u32_e64 s[4:5], s14, v32
	v_or_b32_sdwa v12, v12, v9 dst_sel:WORD_1 dst_unused:UNUSED_PAD src0_sel:DWORD src1_sel:DWORD
	v_lshrrev_b32_sdwa v9, v18, v16 dst_sel:BYTE_1 dst_unused:UNUSED_PAD src0_sel:DWORD src1_sel:DWORD
	v_mad_u32_u24 v8, v0, 19, 18
	v_mad_u32_u24 v10, v0, 19, 9
	v_cndmask_b32_e64 v27, 0, v7, s[4:5]
	v_cmp_ne_u32_e64 s[4:5], 0, v0
	v_cmp_gt_u32_e64 s[6:7], s14, v19
	v_lshrrev_b32_sdwa v11, v18, v11 dst_sel:BYTE_1 dst_unused:UNUSED_PAD src0_sel:DWORD src1_sel:DWORD
	v_or_b32_sdwa v16, v24, v9 dst_sel:DWORD dst_unused:UNUSED_PAD src0_sel:BYTE_0 src1_sel:DWORD
	v_lshrrev_b32_sdwa v9, v18, v17 dst_sel:BYTE_1 dst_unused:UNUSED_PAD src0_sel:DWORD src1_sel:DWORD
	v_cmp_gt_u32_e32 vcc, s14, v8
	v_lshrrev_b32_e32 v8, 24, v3
	v_cmp_gt_u32_e64 s[2:3], s14, v10
	v_lshrrev_b32_e32 v10, 24, v5
	s_and_b64 s[6:7], s[4:5], s[6:7]
	v_or_b32_sdwa v11, v27, v11 dst_sel:DWORD dst_unused:UNUSED_PAD src0_sel:BYTE_0 src1_sel:DWORD
	v_or_b32_e32 v13, v13, v26
	v_or_b32_sdwa v14, v14, v25 dst_sel:WORD_1 dst_unused:UNUSED_PAD src0_sel:DWORD src1_sel:DWORD
	v_or_b32_sdwa v17, v15, v9 dst_sel:WORD_1 dst_unused:UNUSED_PAD src0_sel:DWORD src1_sel:DWORD
	v_or_b32_e32 v18, v22, v23
	v_or_b32_sdwa v19, v20, v21 dst_sel:WORD_1 dst_unused:UNUSED_PAD src0_sel:DWORD src1_sel:DWORD
	ds_write_b8 v0, v1
	s_waitcnt lgkmcnt(0)
	; wave barrier
	s_waitcnt lgkmcnt(0)
	s_and_saveexec_b64 s[4:5], s[6:7]
	s_cbranch_execz .LBB4_60
; %bb.59:
	v_add_u32_e32 v9, -1, v0
	ds_read_u8 v9, v9
	s_waitcnt lgkmcnt(0)
	v_sub_u16_e32 v7, v7, v9
.LBB4_60:
	s_or_b64 exec, exec, s[4:5]
	v_cndmask_b32_e32 v9, 0, v8, vcc
	v_cndmask_b32_e64 v10, 0, v10, s[2:3]
	v_or_b32_sdwa v15, v11, v12 dst_sel:DWORD dst_unused:UNUSED_PAD src0_sel:WORD_0 src1_sel:DWORD
	v_or_b32_sdwa v14, v13, v14 dst_sel:DWORD dst_unused:UNUSED_PAD src0_sel:WORD_0 src1_sel:DWORD
	;; [unrolled: 1-line block ×4, first 2 shown]
	v_mov_b32_e32 v8, v7
.LBB4_61:
	v_sub_u16_sdwa v7, v5, v14 dst_sel:BYTE_1 dst_unused:UNUSED_PAD src0_sel:BYTE_3 src1_sel:BYTE_3
	s_waitcnt vmcnt(0)
	v_sub_u16_sdwa v12, v5, v14 dst_sel:DWORD dst_unused:UNUSED_PAD src0_sel:WORD_1 src1_sel:WORD_1
	v_or_b32_sdwa v7, v12, v7 dst_sel:WORD_1 dst_unused:UNUSED_PAD src0_sel:BYTE_0 src1_sel:DWORD
	v_sub_u16_sdwa v12, v5, v14 dst_sel:BYTE_1 dst_unused:UNUSED_PAD src0_sel:BYTE_1 src1_sel:BYTE_1
	v_sub_u16_e32 v5, v5, v14
	v_or_b32_sdwa v5, v5, v12 dst_sel:DWORD dst_unused:UNUSED_PAD src0_sel:BYTE_0 src1_sel:DWORD
	v_or_b32_sdwa v5, v5, v7 dst_sel:DWORD dst_unused:UNUSED_PAD src0_sel:WORD_0 src1_sel:DWORD
	v_sub_u16_sdwa v7, v4, v15 dst_sel:BYTE_1 dst_unused:UNUSED_PAD src0_sel:BYTE_3 src1_sel:BYTE_3
	v_sub_u16_sdwa v12, v4, v15 dst_sel:DWORD dst_unused:UNUSED_PAD src0_sel:WORD_1 src1_sel:WORD_1
	v_or_b32_sdwa v7, v12, v7 dst_sel:WORD_1 dst_unused:UNUSED_PAD src0_sel:BYTE_0 src1_sel:DWORD
	v_sub_u16_sdwa v12, v4, v15 dst_sel:BYTE_1 dst_unused:UNUSED_PAD src0_sel:BYTE_1 src1_sel:BYTE_1
	v_sub_u16_e32 v4, v4, v15
	v_or_b32_sdwa v4, v4, v12 dst_sel:DWORD dst_unused:UNUSED_PAD src0_sel:BYTE_0 src1_sel:DWORD
	v_or_b32_sdwa v4, v4, v7 dst_sel:DWORD dst_unused:UNUSED_PAD src0_sel:WORD_0 src1_sel:DWORD
	v_sub_u16_e32 v10, v6, v10
	v_sub_u16_sdwa v6, v3, v11 dst_sel:BYTE_1 dst_unused:UNUSED_PAD src0_sel:BYTE_3 src1_sel:BYTE_3
	v_sub_u16_sdwa v7, v3, v11 dst_sel:DWORD dst_unused:UNUSED_PAD src0_sel:WORD_1 src1_sel:WORD_1
	v_or_b32_sdwa v6, v7, v6 dst_sel:WORD_1 dst_unused:UNUSED_PAD src0_sel:BYTE_0 src1_sel:DWORD
	v_sub_u16_sdwa v7, v3, v11 dst_sel:BYTE_1 dst_unused:UNUSED_PAD src0_sel:BYTE_1 src1_sel:BYTE_1
	v_sub_u16_e32 v3, v3, v11
	v_or_b32_sdwa v3, v3, v7 dst_sel:DWORD dst_unused:UNUSED_PAD src0_sel:BYTE_0 src1_sel:DWORD
	v_or_b32_sdwa v3, v3, v6 dst_sel:DWORD dst_unused:UNUSED_PAD src0_sel:WORD_0 src1_sel:DWORD
	v_sub_u16_sdwa v6, v2, v13 dst_sel:BYTE_1 dst_unused:UNUSED_PAD src0_sel:BYTE_3 src1_sel:BYTE_3
	v_sub_u16_sdwa v7, v2, v13 dst_sel:DWORD dst_unused:UNUSED_PAD src0_sel:WORD_1 src1_sel:WORD_1
	v_or_b32_sdwa v6, v7, v6 dst_sel:WORD_1 dst_unused:UNUSED_PAD src0_sel:BYTE_0 src1_sel:DWORD
	v_sub_u16_sdwa v7, v2, v13 dst_sel:BYTE_1 dst_unused:UNUSED_PAD src0_sel:BYTE_1 src1_sel:BYTE_1
	v_sub_u16_e32 v2, v2, v13
	s_add_u32 s4, s12, s10
	v_or_b32_sdwa v2, v2, v7 dst_sel:DWORD dst_unused:UNUSED_PAD src0_sel:BYTE_0 src1_sel:DWORD
	s_addc_u32 s5, s13, s11
	v_or_b32_sdwa v2, v2, v6 dst_sel:DWORD dst_unused:UNUSED_PAD src0_sel:WORD_0 src1_sel:DWORD
	v_sub_u16_e32 v1, v1, v9
	s_and_b64 vcc, exec, s[0:1]
	v_mul_u32_u24_e32 v9, 19, v0
	s_waitcnt lgkmcnt(0)
	; wave barrier
	s_cbranch_vccz .LBB4_99
; %bb.62:
	ds_write_b8 v9, v8
	ds_write_b64 v9, v[4:5] offset:1
	ds_write_b8 v9, v10 offset:9
	ds_write_b64 v9, v[2:3] offset:10
	ds_write_b8 v9, v1 offset:18
	s_waitcnt lgkmcnt(0)
	; wave barrier
	s_waitcnt lgkmcnt(0)
	ds_read_u8 v28, v0 offset:64
	ds_read_u8 v27, v0 offset:128
	ds_read_u8 v26, v0 offset:192
	ds_read_u8 v25, v0 offset:256
	ds_read_u8 v24, v0 offset:320
	ds_read_u8 v23, v0 offset:384
	ds_read_u8 v22, v0 offset:448
	ds_read_u8 v21, v0 offset:512
	ds_read_u8 v20, v0 offset:576
	ds_read_u8 v19, v0 offset:640
	ds_read_u8 v18, v0 offset:704
	ds_read_u8 v17, v0 offset:768
	ds_read_u8 v16, v0 offset:832
	ds_read_u8 v15, v0 offset:896
	ds_read_u8 v14, v0 offset:960
	ds_read_u8 v13, v0 offset:1024
	ds_read_u8 v12, v0 offset:1088
	ds_read_u8 v11, v0 offset:1152
	s_add_i32 s15, s15, s14
	s_add_u32 s0, s4, s20
	s_addc_u32 s1, s5, 0
	v_mov_b32_e32 v7, s1
	v_add_co_u32_e32 v6, vcc, s0, v0
	v_addc_co_u32_e32 v7, vcc, 0, v7, vcc
	v_cmp_gt_u32_e32 vcc, s15, v0
	s_and_saveexec_b64 s[0:1], vcc
	s_cbranch_execz .LBB4_64
; %bb.63:
	ds_read_u8 v29, v0
	s_waitcnt lgkmcnt(0)
	global_store_byte v[6:7], v29, off
.LBB4_64:
	s_or_b64 exec, exec, s[0:1]
	v_or_b32_e32 v29, 64, v0
	v_cmp_gt_u32_e32 vcc, s15, v29
	s_and_saveexec_b64 s[0:1], vcc
	s_cbranch_execz .LBB4_66
; %bb.65:
	s_waitcnt lgkmcnt(14)
	global_store_byte v[6:7], v28, off offset:64
.LBB4_66:
	s_or_b64 exec, exec, s[0:1]
	s_waitcnt lgkmcnt(14)
	v_or_b32_e32 v28, 0x80, v0
	v_cmp_gt_u32_e32 vcc, s15, v28
	s_and_saveexec_b64 s[0:1], vcc
	s_cbranch_execz .LBB4_68
; %bb.67:
	global_store_byte v[6:7], v27, off offset:128
.LBB4_68:
	s_or_b64 exec, exec, s[0:1]
	v_or_b32_e32 v27, 0xc0, v0
	v_cmp_gt_u32_e32 vcc, s15, v27
	s_and_saveexec_b64 s[0:1], vcc
	s_cbranch_execz .LBB4_70
; %bb.69:
	global_store_byte v[6:7], v26, off offset:192
.LBB4_70:
	s_or_b64 exec, exec, s[0:1]
	;; [unrolled: 8-line block ×3, first 2 shown]
	v_or_b32_e32 v25, 0x140, v0
	v_cmp_gt_u32_e32 vcc, s15, v25
	s_and_saveexec_b64 s[0:1], vcc
	s_cbranch_execz .LBB4_74
; %bb.73:
	s_waitcnt lgkmcnt(13)
	global_store_byte v[6:7], v24, off offset:320
.LBB4_74:
	s_or_b64 exec, exec, s[0:1]
	s_waitcnt lgkmcnt(13)
	v_or_b32_e32 v24, 0x180, v0
	v_cmp_gt_u32_e32 vcc, s15, v24
	s_and_saveexec_b64 s[0:1], vcc
	s_cbranch_execz .LBB4_76
; %bb.75:
	s_waitcnt lgkmcnt(12)
	global_store_byte v[6:7], v23, off offset:384
.LBB4_76:
	s_or_b64 exec, exec, s[0:1]
	s_waitcnt lgkmcnt(12)
	;; [unrolled: 10-line block ×13, first 2 shown]
	v_or_b32_e32 v12, 0x480, v0
	v_cmp_gt_u32_e64 s[0:1], s15, v12
	s_branch .LBB4_101
.LBB4_99:
	s_mov_b64 s[0:1], 0
                                        ; implicit-def: $vgpr11
                                        ; implicit-def: $vgpr6_vgpr7
	s_cbranch_execz .LBB4_101
; %bb.100:
	s_add_u32 s2, s4, s20
	ds_write_b8 v9, v8
	ds_write_b64 v9, v[4:5] offset:1
	ds_write_b8 v9, v10 offset:9
	ds_write_b64 v9, v[2:3] offset:10
	ds_write_b8 v9, v1 offset:18
	s_waitcnt lgkmcnt(0)
	; wave barrier
	s_waitcnt lgkmcnt(0)
	ds_read_u8 v1, v0
	ds_read_u8 v2, v0 offset:64
	ds_read_u8 v3, v0 offset:128
	;; [unrolled: 1-line block ×18, first 2 shown]
	s_addc_u32 s3, s5, 0
	v_mov_b32_e32 v7, s3
	v_add_co_u32_e32 v6, vcc, s2, v0
	v_addc_co_u32_e32 v7, vcc, 0, v7, vcc
	s_or_b64 s[0:1], s[0:1], exec
	s_waitcnt lgkmcnt(14)
	global_store_byte v0, v1, s[2:3]
	global_store_byte v0, v2, s[2:3] offset:64
	global_store_byte v0, v3, s[2:3] offset:128
	;; [unrolled: 1-line block ×4, first 2 shown]
	s_waitcnt lgkmcnt(13)
	global_store_byte v0, v8, s[2:3] offset:320
	s_waitcnt lgkmcnt(12)
	global_store_byte v0, v9, s[2:3] offset:384
	;; [unrolled: 2-line block ×13, first 2 shown]
.LBB4_101:
	s_and_saveexec_b64 s[2:3], s[0:1]
	s_cbranch_execnz .LBB4_103
; %bb.102:
	s_endpgm
.LBB4_103:
	s_waitcnt lgkmcnt(0)
	global_store_byte v[6:7], v11, off offset:1152
	s_endpgm
	.section	.rodata,"a",@progbits
	.p2align	6, 0x0
	.amdhsa_kernel _ZN7rocprim17ROCPRIM_400000_NS6detail17trampoline_kernelINS0_14default_configENS1_35adjacent_difference_config_selectorILb0EaEEZNS1_24adjacent_difference_implIS3_Lb0ELb0EPaS7_N6thrust23THRUST_200600_302600_NS5minusIaEEEE10hipError_tPvRmT2_T3_mT4_P12ihipStream_tbEUlT_E_NS1_11comp_targetILNS1_3genE4ELNS1_11target_archE910ELNS1_3gpuE8ELNS1_3repE0EEENS1_30default_config_static_selectorELNS0_4arch9wavefront6targetE1EEEvT1_
		.amdhsa_group_segment_fixed_size 1216
		.amdhsa_private_segment_fixed_size 0
		.amdhsa_kernarg_size 56
		.amdhsa_user_sgpr_count 6
		.amdhsa_user_sgpr_private_segment_buffer 1
		.amdhsa_user_sgpr_dispatch_ptr 0
		.amdhsa_user_sgpr_queue_ptr 0
		.amdhsa_user_sgpr_kernarg_segment_ptr 1
		.amdhsa_user_sgpr_dispatch_id 0
		.amdhsa_user_sgpr_flat_scratch_init 0
		.amdhsa_user_sgpr_kernarg_preload_length 0
		.amdhsa_user_sgpr_kernarg_preload_offset 0
		.amdhsa_user_sgpr_private_segment_size 0
		.amdhsa_uses_dynamic_stack 0
		.amdhsa_system_sgpr_private_segment_wavefront_offset 0
		.amdhsa_system_sgpr_workgroup_id_x 1
		.amdhsa_system_sgpr_workgroup_id_y 0
		.amdhsa_system_sgpr_workgroup_id_z 0
		.amdhsa_system_sgpr_workgroup_info 0
		.amdhsa_system_vgpr_workitem_id 0
		.amdhsa_next_free_vgpr 34
		.amdhsa_next_free_sgpr 22
		.amdhsa_accum_offset 36
		.amdhsa_reserve_vcc 1
		.amdhsa_reserve_flat_scratch 0
		.amdhsa_float_round_mode_32 0
		.amdhsa_float_round_mode_16_64 0
		.amdhsa_float_denorm_mode_32 3
		.amdhsa_float_denorm_mode_16_64 3
		.amdhsa_dx10_clamp 1
		.amdhsa_ieee_mode 1
		.amdhsa_fp16_overflow 0
		.amdhsa_tg_split 0
		.amdhsa_exception_fp_ieee_invalid_op 0
		.amdhsa_exception_fp_denorm_src 0
		.amdhsa_exception_fp_ieee_div_zero 0
		.amdhsa_exception_fp_ieee_overflow 0
		.amdhsa_exception_fp_ieee_underflow 0
		.amdhsa_exception_fp_ieee_inexact 0
		.amdhsa_exception_int_div_zero 0
	.end_amdhsa_kernel
	.section	.text._ZN7rocprim17ROCPRIM_400000_NS6detail17trampoline_kernelINS0_14default_configENS1_35adjacent_difference_config_selectorILb0EaEEZNS1_24adjacent_difference_implIS3_Lb0ELb0EPaS7_N6thrust23THRUST_200600_302600_NS5minusIaEEEE10hipError_tPvRmT2_T3_mT4_P12ihipStream_tbEUlT_E_NS1_11comp_targetILNS1_3genE4ELNS1_11target_archE910ELNS1_3gpuE8ELNS1_3repE0EEENS1_30default_config_static_selectorELNS0_4arch9wavefront6targetE1EEEvT1_,"axG",@progbits,_ZN7rocprim17ROCPRIM_400000_NS6detail17trampoline_kernelINS0_14default_configENS1_35adjacent_difference_config_selectorILb0EaEEZNS1_24adjacent_difference_implIS3_Lb0ELb0EPaS7_N6thrust23THRUST_200600_302600_NS5minusIaEEEE10hipError_tPvRmT2_T3_mT4_P12ihipStream_tbEUlT_E_NS1_11comp_targetILNS1_3genE4ELNS1_11target_archE910ELNS1_3gpuE8ELNS1_3repE0EEENS1_30default_config_static_selectorELNS0_4arch9wavefront6targetE1EEEvT1_,comdat
.Lfunc_end4:
	.size	_ZN7rocprim17ROCPRIM_400000_NS6detail17trampoline_kernelINS0_14default_configENS1_35adjacent_difference_config_selectorILb0EaEEZNS1_24adjacent_difference_implIS3_Lb0ELb0EPaS7_N6thrust23THRUST_200600_302600_NS5minusIaEEEE10hipError_tPvRmT2_T3_mT4_P12ihipStream_tbEUlT_E_NS1_11comp_targetILNS1_3genE4ELNS1_11target_archE910ELNS1_3gpuE8ELNS1_3repE0EEENS1_30default_config_static_selectorELNS0_4arch9wavefront6targetE1EEEvT1_, .Lfunc_end4-_ZN7rocprim17ROCPRIM_400000_NS6detail17trampoline_kernelINS0_14default_configENS1_35adjacent_difference_config_selectorILb0EaEEZNS1_24adjacent_difference_implIS3_Lb0ELb0EPaS7_N6thrust23THRUST_200600_302600_NS5minusIaEEEE10hipError_tPvRmT2_T3_mT4_P12ihipStream_tbEUlT_E_NS1_11comp_targetILNS1_3genE4ELNS1_11target_archE910ELNS1_3gpuE8ELNS1_3repE0EEENS1_30default_config_static_selectorELNS0_4arch9wavefront6targetE1EEEvT1_
                                        ; -- End function
	.section	.AMDGPU.csdata,"",@progbits
; Kernel info:
; codeLenInByte = 5080
; NumSgprs: 26
; NumVgprs: 34
; NumAgprs: 0
; TotalNumVgprs: 34
; ScratchSize: 0
; MemoryBound: 0
; FloatMode: 240
; IeeeMode: 1
; LDSByteSize: 1216 bytes/workgroup (compile time only)
; SGPRBlocks: 3
; VGPRBlocks: 4
; NumSGPRsForWavesPerEU: 26
; NumVGPRsForWavesPerEU: 34
; AccumOffset: 36
; Occupancy: 8
; WaveLimiterHint : 0
; COMPUTE_PGM_RSRC2:SCRATCH_EN: 0
; COMPUTE_PGM_RSRC2:USER_SGPR: 6
; COMPUTE_PGM_RSRC2:TRAP_HANDLER: 0
; COMPUTE_PGM_RSRC2:TGID_X_EN: 1
; COMPUTE_PGM_RSRC2:TGID_Y_EN: 0
; COMPUTE_PGM_RSRC2:TGID_Z_EN: 0
; COMPUTE_PGM_RSRC2:TIDIG_COMP_CNT: 0
; COMPUTE_PGM_RSRC3_GFX90A:ACCUM_OFFSET: 8
; COMPUTE_PGM_RSRC3_GFX90A:TG_SPLIT: 0
	.section	.text._ZN7rocprim17ROCPRIM_400000_NS6detail17trampoline_kernelINS0_14default_configENS1_35adjacent_difference_config_selectorILb0EaEEZNS1_24adjacent_difference_implIS3_Lb0ELb0EPaS7_N6thrust23THRUST_200600_302600_NS5minusIaEEEE10hipError_tPvRmT2_T3_mT4_P12ihipStream_tbEUlT_E_NS1_11comp_targetILNS1_3genE3ELNS1_11target_archE908ELNS1_3gpuE7ELNS1_3repE0EEENS1_30default_config_static_selectorELNS0_4arch9wavefront6targetE1EEEvT1_,"axG",@progbits,_ZN7rocprim17ROCPRIM_400000_NS6detail17trampoline_kernelINS0_14default_configENS1_35adjacent_difference_config_selectorILb0EaEEZNS1_24adjacent_difference_implIS3_Lb0ELb0EPaS7_N6thrust23THRUST_200600_302600_NS5minusIaEEEE10hipError_tPvRmT2_T3_mT4_P12ihipStream_tbEUlT_E_NS1_11comp_targetILNS1_3genE3ELNS1_11target_archE908ELNS1_3gpuE7ELNS1_3repE0EEENS1_30default_config_static_selectorELNS0_4arch9wavefront6targetE1EEEvT1_,comdat
	.protected	_ZN7rocprim17ROCPRIM_400000_NS6detail17trampoline_kernelINS0_14default_configENS1_35adjacent_difference_config_selectorILb0EaEEZNS1_24adjacent_difference_implIS3_Lb0ELb0EPaS7_N6thrust23THRUST_200600_302600_NS5minusIaEEEE10hipError_tPvRmT2_T3_mT4_P12ihipStream_tbEUlT_E_NS1_11comp_targetILNS1_3genE3ELNS1_11target_archE908ELNS1_3gpuE7ELNS1_3repE0EEENS1_30default_config_static_selectorELNS0_4arch9wavefront6targetE1EEEvT1_ ; -- Begin function _ZN7rocprim17ROCPRIM_400000_NS6detail17trampoline_kernelINS0_14default_configENS1_35adjacent_difference_config_selectorILb0EaEEZNS1_24adjacent_difference_implIS3_Lb0ELb0EPaS7_N6thrust23THRUST_200600_302600_NS5minusIaEEEE10hipError_tPvRmT2_T3_mT4_P12ihipStream_tbEUlT_E_NS1_11comp_targetILNS1_3genE3ELNS1_11target_archE908ELNS1_3gpuE7ELNS1_3repE0EEENS1_30default_config_static_selectorELNS0_4arch9wavefront6targetE1EEEvT1_
	.globl	_ZN7rocprim17ROCPRIM_400000_NS6detail17trampoline_kernelINS0_14default_configENS1_35adjacent_difference_config_selectorILb0EaEEZNS1_24adjacent_difference_implIS3_Lb0ELb0EPaS7_N6thrust23THRUST_200600_302600_NS5minusIaEEEE10hipError_tPvRmT2_T3_mT4_P12ihipStream_tbEUlT_E_NS1_11comp_targetILNS1_3genE3ELNS1_11target_archE908ELNS1_3gpuE7ELNS1_3repE0EEENS1_30default_config_static_selectorELNS0_4arch9wavefront6targetE1EEEvT1_
	.p2align	8
	.type	_ZN7rocprim17ROCPRIM_400000_NS6detail17trampoline_kernelINS0_14default_configENS1_35adjacent_difference_config_selectorILb0EaEEZNS1_24adjacent_difference_implIS3_Lb0ELb0EPaS7_N6thrust23THRUST_200600_302600_NS5minusIaEEEE10hipError_tPvRmT2_T3_mT4_P12ihipStream_tbEUlT_E_NS1_11comp_targetILNS1_3genE3ELNS1_11target_archE908ELNS1_3gpuE7ELNS1_3repE0EEENS1_30default_config_static_selectorELNS0_4arch9wavefront6targetE1EEEvT1_,@function
_ZN7rocprim17ROCPRIM_400000_NS6detail17trampoline_kernelINS0_14default_configENS1_35adjacent_difference_config_selectorILb0EaEEZNS1_24adjacent_difference_implIS3_Lb0ELb0EPaS7_N6thrust23THRUST_200600_302600_NS5minusIaEEEE10hipError_tPvRmT2_T3_mT4_P12ihipStream_tbEUlT_E_NS1_11comp_targetILNS1_3genE3ELNS1_11target_archE908ELNS1_3gpuE7ELNS1_3repE0EEENS1_30default_config_static_selectorELNS0_4arch9wavefront6targetE1EEEvT1_: ; @_ZN7rocprim17ROCPRIM_400000_NS6detail17trampoline_kernelINS0_14default_configENS1_35adjacent_difference_config_selectorILb0EaEEZNS1_24adjacent_difference_implIS3_Lb0ELb0EPaS7_N6thrust23THRUST_200600_302600_NS5minusIaEEEE10hipError_tPvRmT2_T3_mT4_P12ihipStream_tbEUlT_E_NS1_11comp_targetILNS1_3genE3ELNS1_11target_archE908ELNS1_3gpuE7ELNS1_3repE0EEENS1_30default_config_static_selectorELNS0_4arch9wavefront6targetE1EEEvT1_
; %bb.0:
	.section	.rodata,"a",@progbits
	.p2align	6, 0x0
	.amdhsa_kernel _ZN7rocprim17ROCPRIM_400000_NS6detail17trampoline_kernelINS0_14default_configENS1_35adjacent_difference_config_selectorILb0EaEEZNS1_24adjacent_difference_implIS3_Lb0ELb0EPaS7_N6thrust23THRUST_200600_302600_NS5minusIaEEEE10hipError_tPvRmT2_T3_mT4_P12ihipStream_tbEUlT_E_NS1_11comp_targetILNS1_3genE3ELNS1_11target_archE908ELNS1_3gpuE7ELNS1_3repE0EEENS1_30default_config_static_selectorELNS0_4arch9wavefront6targetE1EEEvT1_
		.amdhsa_group_segment_fixed_size 0
		.amdhsa_private_segment_fixed_size 0
		.amdhsa_kernarg_size 56
		.amdhsa_user_sgpr_count 6
		.amdhsa_user_sgpr_private_segment_buffer 1
		.amdhsa_user_sgpr_dispatch_ptr 0
		.amdhsa_user_sgpr_queue_ptr 0
		.amdhsa_user_sgpr_kernarg_segment_ptr 1
		.amdhsa_user_sgpr_dispatch_id 0
		.amdhsa_user_sgpr_flat_scratch_init 0
		.amdhsa_user_sgpr_kernarg_preload_length 0
		.amdhsa_user_sgpr_kernarg_preload_offset 0
		.amdhsa_user_sgpr_private_segment_size 0
		.amdhsa_uses_dynamic_stack 0
		.amdhsa_system_sgpr_private_segment_wavefront_offset 0
		.amdhsa_system_sgpr_workgroup_id_x 1
		.amdhsa_system_sgpr_workgroup_id_y 0
		.amdhsa_system_sgpr_workgroup_id_z 0
		.amdhsa_system_sgpr_workgroup_info 0
		.amdhsa_system_vgpr_workitem_id 0
		.amdhsa_next_free_vgpr 1
		.amdhsa_next_free_sgpr 0
		.amdhsa_accum_offset 4
		.amdhsa_reserve_vcc 0
		.amdhsa_reserve_flat_scratch 0
		.amdhsa_float_round_mode_32 0
		.amdhsa_float_round_mode_16_64 0
		.amdhsa_float_denorm_mode_32 3
		.amdhsa_float_denorm_mode_16_64 3
		.amdhsa_dx10_clamp 1
		.amdhsa_ieee_mode 1
		.amdhsa_fp16_overflow 0
		.amdhsa_tg_split 0
		.amdhsa_exception_fp_ieee_invalid_op 0
		.amdhsa_exception_fp_denorm_src 0
		.amdhsa_exception_fp_ieee_div_zero 0
		.amdhsa_exception_fp_ieee_overflow 0
		.amdhsa_exception_fp_ieee_underflow 0
		.amdhsa_exception_fp_ieee_inexact 0
		.amdhsa_exception_int_div_zero 0
	.end_amdhsa_kernel
	.section	.text._ZN7rocprim17ROCPRIM_400000_NS6detail17trampoline_kernelINS0_14default_configENS1_35adjacent_difference_config_selectorILb0EaEEZNS1_24adjacent_difference_implIS3_Lb0ELb0EPaS7_N6thrust23THRUST_200600_302600_NS5minusIaEEEE10hipError_tPvRmT2_T3_mT4_P12ihipStream_tbEUlT_E_NS1_11comp_targetILNS1_3genE3ELNS1_11target_archE908ELNS1_3gpuE7ELNS1_3repE0EEENS1_30default_config_static_selectorELNS0_4arch9wavefront6targetE1EEEvT1_,"axG",@progbits,_ZN7rocprim17ROCPRIM_400000_NS6detail17trampoline_kernelINS0_14default_configENS1_35adjacent_difference_config_selectorILb0EaEEZNS1_24adjacent_difference_implIS3_Lb0ELb0EPaS7_N6thrust23THRUST_200600_302600_NS5minusIaEEEE10hipError_tPvRmT2_T3_mT4_P12ihipStream_tbEUlT_E_NS1_11comp_targetILNS1_3genE3ELNS1_11target_archE908ELNS1_3gpuE7ELNS1_3repE0EEENS1_30default_config_static_selectorELNS0_4arch9wavefront6targetE1EEEvT1_,comdat
.Lfunc_end5:
	.size	_ZN7rocprim17ROCPRIM_400000_NS6detail17trampoline_kernelINS0_14default_configENS1_35adjacent_difference_config_selectorILb0EaEEZNS1_24adjacent_difference_implIS3_Lb0ELb0EPaS7_N6thrust23THRUST_200600_302600_NS5minusIaEEEE10hipError_tPvRmT2_T3_mT4_P12ihipStream_tbEUlT_E_NS1_11comp_targetILNS1_3genE3ELNS1_11target_archE908ELNS1_3gpuE7ELNS1_3repE0EEENS1_30default_config_static_selectorELNS0_4arch9wavefront6targetE1EEEvT1_, .Lfunc_end5-_ZN7rocprim17ROCPRIM_400000_NS6detail17trampoline_kernelINS0_14default_configENS1_35adjacent_difference_config_selectorILb0EaEEZNS1_24adjacent_difference_implIS3_Lb0ELb0EPaS7_N6thrust23THRUST_200600_302600_NS5minusIaEEEE10hipError_tPvRmT2_T3_mT4_P12ihipStream_tbEUlT_E_NS1_11comp_targetILNS1_3genE3ELNS1_11target_archE908ELNS1_3gpuE7ELNS1_3repE0EEENS1_30default_config_static_selectorELNS0_4arch9wavefront6targetE1EEEvT1_
                                        ; -- End function
	.section	.AMDGPU.csdata,"",@progbits
; Kernel info:
; codeLenInByte = 0
; NumSgprs: 4
; NumVgprs: 0
; NumAgprs: 0
; TotalNumVgprs: 0
; ScratchSize: 0
; MemoryBound: 0
; FloatMode: 240
; IeeeMode: 1
; LDSByteSize: 0 bytes/workgroup (compile time only)
; SGPRBlocks: 0
; VGPRBlocks: 0
; NumSGPRsForWavesPerEU: 4
; NumVGPRsForWavesPerEU: 1
; AccumOffset: 4
; Occupancy: 8
; WaveLimiterHint : 0
; COMPUTE_PGM_RSRC2:SCRATCH_EN: 0
; COMPUTE_PGM_RSRC2:USER_SGPR: 6
; COMPUTE_PGM_RSRC2:TRAP_HANDLER: 0
; COMPUTE_PGM_RSRC2:TGID_X_EN: 1
; COMPUTE_PGM_RSRC2:TGID_Y_EN: 0
; COMPUTE_PGM_RSRC2:TGID_Z_EN: 0
; COMPUTE_PGM_RSRC2:TIDIG_COMP_CNT: 0
; COMPUTE_PGM_RSRC3_GFX90A:ACCUM_OFFSET: 0
; COMPUTE_PGM_RSRC3_GFX90A:TG_SPLIT: 0
	.section	.text._ZN7rocprim17ROCPRIM_400000_NS6detail17trampoline_kernelINS0_14default_configENS1_35adjacent_difference_config_selectorILb0EaEEZNS1_24adjacent_difference_implIS3_Lb0ELb0EPaS7_N6thrust23THRUST_200600_302600_NS5minusIaEEEE10hipError_tPvRmT2_T3_mT4_P12ihipStream_tbEUlT_E_NS1_11comp_targetILNS1_3genE2ELNS1_11target_archE906ELNS1_3gpuE6ELNS1_3repE0EEENS1_30default_config_static_selectorELNS0_4arch9wavefront6targetE1EEEvT1_,"axG",@progbits,_ZN7rocprim17ROCPRIM_400000_NS6detail17trampoline_kernelINS0_14default_configENS1_35adjacent_difference_config_selectorILb0EaEEZNS1_24adjacent_difference_implIS3_Lb0ELb0EPaS7_N6thrust23THRUST_200600_302600_NS5minusIaEEEE10hipError_tPvRmT2_T3_mT4_P12ihipStream_tbEUlT_E_NS1_11comp_targetILNS1_3genE2ELNS1_11target_archE906ELNS1_3gpuE6ELNS1_3repE0EEENS1_30default_config_static_selectorELNS0_4arch9wavefront6targetE1EEEvT1_,comdat
	.protected	_ZN7rocprim17ROCPRIM_400000_NS6detail17trampoline_kernelINS0_14default_configENS1_35adjacent_difference_config_selectorILb0EaEEZNS1_24adjacent_difference_implIS3_Lb0ELb0EPaS7_N6thrust23THRUST_200600_302600_NS5minusIaEEEE10hipError_tPvRmT2_T3_mT4_P12ihipStream_tbEUlT_E_NS1_11comp_targetILNS1_3genE2ELNS1_11target_archE906ELNS1_3gpuE6ELNS1_3repE0EEENS1_30default_config_static_selectorELNS0_4arch9wavefront6targetE1EEEvT1_ ; -- Begin function _ZN7rocprim17ROCPRIM_400000_NS6detail17trampoline_kernelINS0_14default_configENS1_35adjacent_difference_config_selectorILb0EaEEZNS1_24adjacent_difference_implIS3_Lb0ELb0EPaS7_N6thrust23THRUST_200600_302600_NS5minusIaEEEE10hipError_tPvRmT2_T3_mT4_P12ihipStream_tbEUlT_E_NS1_11comp_targetILNS1_3genE2ELNS1_11target_archE906ELNS1_3gpuE6ELNS1_3repE0EEENS1_30default_config_static_selectorELNS0_4arch9wavefront6targetE1EEEvT1_
	.globl	_ZN7rocprim17ROCPRIM_400000_NS6detail17trampoline_kernelINS0_14default_configENS1_35adjacent_difference_config_selectorILb0EaEEZNS1_24adjacent_difference_implIS3_Lb0ELb0EPaS7_N6thrust23THRUST_200600_302600_NS5minusIaEEEE10hipError_tPvRmT2_T3_mT4_P12ihipStream_tbEUlT_E_NS1_11comp_targetILNS1_3genE2ELNS1_11target_archE906ELNS1_3gpuE6ELNS1_3repE0EEENS1_30default_config_static_selectorELNS0_4arch9wavefront6targetE1EEEvT1_
	.p2align	8
	.type	_ZN7rocprim17ROCPRIM_400000_NS6detail17trampoline_kernelINS0_14default_configENS1_35adjacent_difference_config_selectorILb0EaEEZNS1_24adjacent_difference_implIS3_Lb0ELb0EPaS7_N6thrust23THRUST_200600_302600_NS5minusIaEEEE10hipError_tPvRmT2_T3_mT4_P12ihipStream_tbEUlT_E_NS1_11comp_targetILNS1_3genE2ELNS1_11target_archE906ELNS1_3gpuE6ELNS1_3repE0EEENS1_30default_config_static_selectorELNS0_4arch9wavefront6targetE1EEEvT1_,@function
_ZN7rocprim17ROCPRIM_400000_NS6detail17trampoline_kernelINS0_14default_configENS1_35adjacent_difference_config_selectorILb0EaEEZNS1_24adjacent_difference_implIS3_Lb0ELb0EPaS7_N6thrust23THRUST_200600_302600_NS5minusIaEEEE10hipError_tPvRmT2_T3_mT4_P12ihipStream_tbEUlT_E_NS1_11comp_targetILNS1_3genE2ELNS1_11target_archE906ELNS1_3gpuE6ELNS1_3repE0EEENS1_30default_config_static_selectorELNS0_4arch9wavefront6targetE1EEEvT1_: ; @_ZN7rocprim17ROCPRIM_400000_NS6detail17trampoline_kernelINS0_14default_configENS1_35adjacent_difference_config_selectorILb0EaEEZNS1_24adjacent_difference_implIS3_Lb0ELb0EPaS7_N6thrust23THRUST_200600_302600_NS5minusIaEEEE10hipError_tPvRmT2_T3_mT4_P12ihipStream_tbEUlT_E_NS1_11comp_targetILNS1_3genE2ELNS1_11target_archE906ELNS1_3gpuE6ELNS1_3repE0EEENS1_30default_config_static_selectorELNS0_4arch9wavefront6targetE1EEEvT1_
; %bb.0:
	.section	.rodata,"a",@progbits
	.p2align	6, 0x0
	.amdhsa_kernel _ZN7rocprim17ROCPRIM_400000_NS6detail17trampoline_kernelINS0_14default_configENS1_35adjacent_difference_config_selectorILb0EaEEZNS1_24adjacent_difference_implIS3_Lb0ELb0EPaS7_N6thrust23THRUST_200600_302600_NS5minusIaEEEE10hipError_tPvRmT2_T3_mT4_P12ihipStream_tbEUlT_E_NS1_11comp_targetILNS1_3genE2ELNS1_11target_archE906ELNS1_3gpuE6ELNS1_3repE0EEENS1_30default_config_static_selectorELNS0_4arch9wavefront6targetE1EEEvT1_
		.amdhsa_group_segment_fixed_size 0
		.amdhsa_private_segment_fixed_size 0
		.amdhsa_kernarg_size 56
		.amdhsa_user_sgpr_count 6
		.amdhsa_user_sgpr_private_segment_buffer 1
		.amdhsa_user_sgpr_dispatch_ptr 0
		.amdhsa_user_sgpr_queue_ptr 0
		.amdhsa_user_sgpr_kernarg_segment_ptr 1
		.amdhsa_user_sgpr_dispatch_id 0
		.amdhsa_user_sgpr_flat_scratch_init 0
		.amdhsa_user_sgpr_kernarg_preload_length 0
		.amdhsa_user_sgpr_kernarg_preload_offset 0
		.amdhsa_user_sgpr_private_segment_size 0
		.amdhsa_uses_dynamic_stack 0
		.amdhsa_system_sgpr_private_segment_wavefront_offset 0
		.amdhsa_system_sgpr_workgroup_id_x 1
		.amdhsa_system_sgpr_workgroup_id_y 0
		.amdhsa_system_sgpr_workgroup_id_z 0
		.amdhsa_system_sgpr_workgroup_info 0
		.amdhsa_system_vgpr_workitem_id 0
		.amdhsa_next_free_vgpr 1
		.amdhsa_next_free_sgpr 0
		.amdhsa_accum_offset 4
		.amdhsa_reserve_vcc 0
		.amdhsa_reserve_flat_scratch 0
		.amdhsa_float_round_mode_32 0
		.amdhsa_float_round_mode_16_64 0
		.amdhsa_float_denorm_mode_32 3
		.amdhsa_float_denorm_mode_16_64 3
		.amdhsa_dx10_clamp 1
		.amdhsa_ieee_mode 1
		.amdhsa_fp16_overflow 0
		.amdhsa_tg_split 0
		.amdhsa_exception_fp_ieee_invalid_op 0
		.amdhsa_exception_fp_denorm_src 0
		.amdhsa_exception_fp_ieee_div_zero 0
		.amdhsa_exception_fp_ieee_overflow 0
		.amdhsa_exception_fp_ieee_underflow 0
		.amdhsa_exception_fp_ieee_inexact 0
		.amdhsa_exception_int_div_zero 0
	.end_amdhsa_kernel
	.section	.text._ZN7rocprim17ROCPRIM_400000_NS6detail17trampoline_kernelINS0_14default_configENS1_35adjacent_difference_config_selectorILb0EaEEZNS1_24adjacent_difference_implIS3_Lb0ELb0EPaS7_N6thrust23THRUST_200600_302600_NS5minusIaEEEE10hipError_tPvRmT2_T3_mT4_P12ihipStream_tbEUlT_E_NS1_11comp_targetILNS1_3genE2ELNS1_11target_archE906ELNS1_3gpuE6ELNS1_3repE0EEENS1_30default_config_static_selectorELNS0_4arch9wavefront6targetE1EEEvT1_,"axG",@progbits,_ZN7rocprim17ROCPRIM_400000_NS6detail17trampoline_kernelINS0_14default_configENS1_35adjacent_difference_config_selectorILb0EaEEZNS1_24adjacent_difference_implIS3_Lb0ELb0EPaS7_N6thrust23THRUST_200600_302600_NS5minusIaEEEE10hipError_tPvRmT2_T3_mT4_P12ihipStream_tbEUlT_E_NS1_11comp_targetILNS1_3genE2ELNS1_11target_archE906ELNS1_3gpuE6ELNS1_3repE0EEENS1_30default_config_static_selectorELNS0_4arch9wavefront6targetE1EEEvT1_,comdat
.Lfunc_end6:
	.size	_ZN7rocprim17ROCPRIM_400000_NS6detail17trampoline_kernelINS0_14default_configENS1_35adjacent_difference_config_selectorILb0EaEEZNS1_24adjacent_difference_implIS3_Lb0ELb0EPaS7_N6thrust23THRUST_200600_302600_NS5minusIaEEEE10hipError_tPvRmT2_T3_mT4_P12ihipStream_tbEUlT_E_NS1_11comp_targetILNS1_3genE2ELNS1_11target_archE906ELNS1_3gpuE6ELNS1_3repE0EEENS1_30default_config_static_selectorELNS0_4arch9wavefront6targetE1EEEvT1_, .Lfunc_end6-_ZN7rocprim17ROCPRIM_400000_NS6detail17trampoline_kernelINS0_14default_configENS1_35adjacent_difference_config_selectorILb0EaEEZNS1_24adjacent_difference_implIS3_Lb0ELb0EPaS7_N6thrust23THRUST_200600_302600_NS5minusIaEEEE10hipError_tPvRmT2_T3_mT4_P12ihipStream_tbEUlT_E_NS1_11comp_targetILNS1_3genE2ELNS1_11target_archE906ELNS1_3gpuE6ELNS1_3repE0EEENS1_30default_config_static_selectorELNS0_4arch9wavefront6targetE1EEEvT1_
                                        ; -- End function
	.section	.AMDGPU.csdata,"",@progbits
; Kernel info:
; codeLenInByte = 0
; NumSgprs: 4
; NumVgprs: 0
; NumAgprs: 0
; TotalNumVgprs: 0
; ScratchSize: 0
; MemoryBound: 0
; FloatMode: 240
; IeeeMode: 1
; LDSByteSize: 0 bytes/workgroup (compile time only)
; SGPRBlocks: 0
; VGPRBlocks: 0
; NumSGPRsForWavesPerEU: 4
; NumVGPRsForWavesPerEU: 1
; AccumOffset: 4
; Occupancy: 8
; WaveLimiterHint : 0
; COMPUTE_PGM_RSRC2:SCRATCH_EN: 0
; COMPUTE_PGM_RSRC2:USER_SGPR: 6
; COMPUTE_PGM_RSRC2:TRAP_HANDLER: 0
; COMPUTE_PGM_RSRC2:TGID_X_EN: 1
; COMPUTE_PGM_RSRC2:TGID_Y_EN: 0
; COMPUTE_PGM_RSRC2:TGID_Z_EN: 0
; COMPUTE_PGM_RSRC2:TIDIG_COMP_CNT: 0
; COMPUTE_PGM_RSRC3_GFX90A:ACCUM_OFFSET: 0
; COMPUTE_PGM_RSRC3_GFX90A:TG_SPLIT: 0
	.section	.text._ZN7rocprim17ROCPRIM_400000_NS6detail17trampoline_kernelINS0_14default_configENS1_35adjacent_difference_config_selectorILb0EaEEZNS1_24adjacent_difference_implIS3_Lb0ELb0EPaS7_N6thrust23THRUST_200600_302600_NS5minusIaEEEE10hipError_tPvRmT2_T3_mT4_P12ihipStream_tbEUlT_E_NS1_11comp_targetILNS1_3genE9ELNS1_11target_archE1100ELNS1_3gpuE3ELNS1_3repE0EEENS1_30default_config_static_selectorELNS0_4arch9wavefront6targetE1EEEvT1_,"axG",@progbits,_ZN7rocprim17ROCPRIM_400000_NS6detail17trampoline_kernelINS0_14default_configENS1_35adjacent_difference_config_selectorILb0EaEEZNS1_24adjacent_difference_implIS3_Lb0ELb0EPaS7_N6thrust23THRUST_200600_302600_NS5minusIaEEEE10hipError_tPvRmT2_T3_mT4_P12ihipStream_tbEUlT_E_NS1_11comp_targetILNS1_3genE9ELNS1_11target_archE1100ELNS1_3gpuE3ELNS1_3repE0EEENS1_30default_config_static_selectorELNS0_4arch9wavefront6targetE1EEEvT1_,comdat
	.protected	_ZN7rocprim17ROCPRIM_400000_NS6detail17trampoline_kernelINS0_14default_configENS1_35adjacent_difference_config_selectorILb0EaEEZNS1_24adjacent_difference_implIS3_Lb0ELb0EPaS7_N6thrust23THRUST_200600_302600_NS5minusIaEEEE10hipError_tPvRmT2_T3_mT4_P12ihipStream_tbEUlT_E_NS1_11comp_targetILNS1_3genE9ELNS1_11target_archE1100ELNS1_3gpuE3ELNS1_3repE0EEENS1_30default_config_static_selectorELNS0_4arch9wavefront6targetE1EEEvT1_ ; -- Begin function _ZN7rocprim17ROCPRIM_400000_NS6detail17trampoline_kernelINS0_14default_configENS1_35adjacent_difference_config_selectorILb0EaEEZNS1_24adjacent_difference_implIS3_Lb0ELb0EPaS7_N6thrust23THRUST_200600_302600_NS5minusIaEEEE10hipError_tPvRmT2_T3_mT4_P12ihipStream_tbEUlT_E_NS1_11comp_targetILNS1_3genE9ELNS1_11target_archE1100ELNS1_3gpuE3ELNS1_3repE0EEENS1_30default_config_static_selectorELNS0_4arch9wavefront6targetE1EEEvT1_
	.globl	_ZN7rocprim17ROCPRIM_400000_NS6detail17trampoline_kernelINS0_14default_configENS1_35adjacent_difference_config_selectorILb0EaEEZNS1_24adjacent_difference_implIS3_Lb0ELb0EPaS7_N6thrust23THRUST_200600_302600_NS5minusIaEEEE10hipError_tPvRmT2_T3_mT4_P12ihipStream_tbEUlT_E_NS1_11comp_targetILNS1_3genE9ELNS1_11target_archE1100ELNS1_3gpuE3ELNS1_3repE0EEENS1_30default_config_static_selectorELNS0_4arch9wavefront6targetE1EEEvT1_
	.p2align	8
	.type	_ZN7rocprim17ROCPRIM_400000_NS6detail17trampoline_kernelINS0_14default_configENS1_35adjacent_difference_config_selectorILb0EaEEZNS1_24adjacent_difference_implIS3_Lb0ELb0EPaS7_N6thrust23THRUST_200600_302600_NS5minusIaEEEE10hipError_tPvRmT2_T3_mT4_P12ihipStream_tbEUlT_E_NS1_11comp_targetILNS1_3genE9ELNS1_11target_archE1100ELNS1_3gpuE3ELNS1_3repE0EEENS1_30default_config_static_selectorELNS0_4arch9wavefront6targetE1EEEvT1_,@function
_ZN7rocprim17ROCPRIM_400000_NS6detail17trampoline_kernelINS0_14default_configENS1_35adjacent_difference_config_selectorILb0EaEEZNS1_24adjacent_difference_implIS3_Lb0ELb0EPaS7_N6thrust23THRUST_200600_302600_NS5minusIaEEEE10hipError_tPvRmT2_T3_mT4_P12ihipStream_tbEUlT_E_NS1_11comp_targetILNS1_3genE9ELNS1_11target_archE1100ELNS1_3gpuE3ELNS1_3repE0EEENS1_30default_config_static_selectorELNS0_4arch9wavefront6targetE1EEEvT1_: ; @_ZN7rocprim17ROCPRIM_400000_NS6detail17trampoline_kernelINS0_14default_configENS1_35adjacent_difference_config_selectorILb0EaEEZNS1_24adjacent_difference_implIS3_Lb0ELb0EPaS7_N6thrust23THRUST_200600_302600_NS5minusIaEEEE10hipError_tPvRmT2_T3_mT4_P12ihipStream_tbEUlT_E_NS1_11comp_targetILNS1_3genE9ELNS1_11target_archE1100ELNS1_3gpuE3ELNS1_3repE0EEENS1_30default_config_static_selectorELNS0_4arch9wavefront6targetE1EEEvT1_
; %bb.0:
	.section	.rodata,"a",@progbits
	.p2align	6, 0x0
	.amdhsa_kernel _ZN7rocprim17ROCPRIM_400000_NS6detail17trampoline_kernelINS0_14default_configENS1_35adjacent_difference_config_selectorILb0EaEEZNS1_24adjacent_difference_implIS3_Lb0ELb0EPaS7_N6thrust23THRUST_200600_302600_NS5minusIaEEEE10hipError_tPvRmT2_T3_mT4_P12ihipStream_tbEUlT_E_NS1_11comp_targetILNS1_3genE9ELNS1_11target_archE1100ELNS1_3gpuE3ELNS1_3repE0EEENS1_30default_config_static_selectorELNS0_4arch9wavefront6targetE1EEEvT1_
		.amdhsa_group_segment_fixed_size 0
		.amdhsa_private_segment_fixed_size 0
		.amdhsa_kernarg_size 56
		.amdhsa_user_sgpr_count 6
		.amdhsa_user_sgpr_private_segment_buffer 1
		.amdhsa_user_sgpr_dispatch_ptr 0
		.amdhsa_user_sgpr_queue_ptr 0
		.amdhsa_user_sgpr_kernarg_segment_ptr 1
		.amdhsa_user_sgpr_dispatch_id 0
		.amdhsa_user_sgpr_flat_scratch_init 0
		.amdhsa_user_sgpr_kernarg_preload_length 0
		.amdhsa_user_sgpr_kernarg_preload_offset 0
		.amdhsa_user_sgpr_private_segment_size 0
		.amdhsa_uses_dynamic_stack 0
		.amdhsa_system_sgpr_private_segment_wavefront_offset 0
		.amdhsa_system_sgpr_workgroup_id_x 1
		.amdhsa_system_sgpr_workgroup_id_y 0
		.amdhsa_system_sgpr_workgroup_id_z 0
		.amdhsa_system_sgpr_workgroup_info 0
		.amdhsa_system_vgpr_workitem_id 0
		.amdhsa_next_free_vgpr 1
		.amdhsa_next_free_sgpr 0
		.amdhsa_accum_offset 4
		.amdhsa_reserve_vcc 0
		.amdhsa_reserve_flat_scratch 0
		.amdhsa_float_round_mode_32 0
		.amdhsa_float_round_mode_16_64 0
		.amdhsa_float_denorm_mode_32 3
		.amdhsa_float_denorm_mode_16_64 3
		.amdhsa_dx10_clamp 1
		.amdhsa_ieee_mode 1
		.amdhsa_fp16_overflow 0
		.amdhsa_tg_split 0
		.amdhsa_exception_fp_ieee_invalid_op 0
		.amdhsa_exception_fp_denorm_src 0
		.amdhsa_exception_fp_ieee_div_zero 0
		.amdhsa_exception_fp_ieee_overflow 0
		.amdhsa_exception_fp_ieee_underflow 0
		.amdhsa_exception_fp_ieee_inexact 0
		.amdhsa_exception_int_div_zero 0
	.end_amdhsa_kernel
	.section	.text._ZN7rocprim17ROCPRIM_400000_NS6detail17trampoline_kernelINS0_14default_configENS1_35adjacent_difference_config_selectorILb0EaEEZNS1_24adjacent_difference_implIS3_Lb0ELb0EPaS7_N6thrust23THRUST_200600_302600_NS5minusIaEEEE10hipError_tPvRmT2_T3_mT4_P12ihipStream_tbEUlT_E_NS1_11comp_targetILNS1_3genE9ELNS1_11target_archE1100ELNS1_3gpuE3ELNS1_3repE0EEENS1_30default_config_static_selectorELNS0_4arch9wavefront6targetE1EEEvT1_,"axG",@progbits,_ZN7rocprim17ROCPRIM_400000_NS6detail17trampoline_kernelINS0_14default_configENS1_35adjacent_difference_config_selectorILb0EaEEZNS1_24adjacent_difference_implIS3_Lb0ELb0EPaS7_N6thrust23THRUST_200600_302600_NS5minusIaEEEE10hipError_tPvRmT2_T3_mT4_P12ihipStream_tbEUlT_E_NS1_11comp_targetILNS1_3genE9ELNS1_11target_archE1100ELNS1_3gpuE3ELNS1_3repE0EEENS1_30default_config_static_selectorELNS0_4arch9wavefront6targetE1EEEvT1_,comdat
.Lfunc_end7:
	.size	_ZN7rocprim17ROCPRIM_400000_NS6detail17trampoline_kernelINS0_14default_configENS1_35adjacent_difference_config_selectorILb0EaEEZNS1_24adjacent_difference_implIS3_Lb0ELb0EPaS7_N6thrust23THRUST_200600_302600_NS5minusIaEEEE10hipError_tPvRmT2_T3_mT4_P12ihipStream_tbEUlT_E_NS1_11comp_targetILNS1_3genE9ELNS1_11target_archE1100ELNS1_3gpuE3ELNS1_3repE0EEENS1_30default_config_static_selectorELNS0_4arch9wavefront6targetE1EEEvT1_, .Lfunc_end7-_ZN7rocprim17ROCPRIM_400000_NS6detail17trampoline_kernelINS0_14default_configENS1_35adjacent_difference_config_selectorILb0EaEEZNS1_24adjacent_difference_implIS3_Lb0ELb0EPaS7_N6thrust23THRUST_200600_302600_NS5minusIaEEEE10hipError_tPvRmT2_T3_mT4_P12ihipStream_tbEUlT_E_NS1_11comp_targetILNS1_3genE9ELNS1_11target_archE1100ELNS1_3gpuE3ELNS1_3repE0EEENS1_30default_config_static_selectorELNS0_4arch9wavefront6targetE1EEEvT1_
                                        ; -- End function
	.section	.AMDGPU.csdata,"",@progbits
; Kernel info:
; codeLenInByte = 0
; NumSgprs: 4
; NumVgprs: 0
; NumAgprs: 0
; TotalNumVgprs: 0
; ScratchSize: 0
; MemoryBound: 0
; FloatMode: 240
; IeeeMode: 1
; LDSByteSize: 0 bytes/workgroup (compile time only)
; SGPRBlocks: 0
; VGPRBlocks: 0
; NumSGPRsForWavesPerEU: 4
; NumVGPRsForWavesPerEU: 1
; AccumOffset: 4
; Occupancy: 8
; WaveLimiterHint : 0
; COMPUTE_PGM_RSRC2:SCRATCH_EN: 0
; COMPUTE_PGM_RSRC2:USER_SGPR: 6
; COMPUTE_PGM_RSRC2:TRAP_HANDLER: 0
; COMPUTE_PGM_RSRC2:TGID_X_EN: 1
; COMPUTE_PGM_RSRC2:TGID_Y_EN: 0
; COMPUTE_PGM_RSRC2:TGID_Z_EN: 0
; COMPUTE_PGM_RSRC2:TIDIG_COMP_CNT: 0
; COMPUTE_PGM_RSRC3_GFX90A:ACCUM_OFFSET: 0
; COMPUTE_PGM_RSRC3_GFX90A:TG_SPLIT: 0
	.section	.text._ZN7rocprim17ROCPRIM_400000_NS6detail17trampoline_kernelINS0_14default_configENS1_35adjacent_difference_config_selectorILb0EaEEZNS1_24adjacent_difference_implIS3_Lb0ELb0EPaS7_N6thrust23THRUST_200600_302600_NS5minusIaEEEE10hipError_tPvRmT2_T3_mT4_P12ihipStream_tbEUlT_E_NS1_11comp_targetILNS1_3genE8ELNS1_11target_archE1030ELNS1_3gpuE2ELNS1_3repE0EEENS1_30default_config_static_selectorELNS0_4arch9wavefront6targetE1EEEvT1_,"axG",@progbits,_ZN7rocprim17ROCPRIM_400000_NS6detail17trampoline_kernelINS0_14default_configENS1_35adjacent_difference_config_selectorILb0EaEEZNS1_24adjacent_difference_implIS3_Lb0ELb0EPaS7_N6thrust23THRUST_200600_302600_NS5minusIaEEEE10hipError_tPvRmT2_T3_mT4_P12ihipStream_tbEUlT_E_NS1_11comp_targetILNS1_3genE8ELNS1_11target_archE1030ELNS1_3gpuE2ELNS1_3repE0EEENS1_30default_config_static_selectorELNS0_4arch9wavefront6targetE1EEEvT1_,comdat
	.protected	_ZN7rocprim17ROCPRIM_400000_NS6detail17trampoline_kernelINS0_14default_configENS1_35adjacent_difference_config_selectorILb0EaEEZNS1_24adjacent_difference_implIS3_Lb0ELb0EPaS7_N6thrust23THRUST_200600_302600_NS5minusIaEEEE10hipError_tPvRmT2_T3_mT4_P12ihipStream_tbEUlT_E_NS1_11comp_targetILNS1_3genE8ELNS1_11target_archE1030ELNS1_3gpuE2ELNS1_3repE0EEENS1_30default_config_static_selectorELNS0_4arch9wavefront6targetE1EEEvT1_ ; -- Begin function _ZN7rocprim17ROCPRIM_400000_NS6detail17trampoline_kernelINS0_14default_configENS1_35adjacent_difference_config_selectorILb0EaEEZNS1_24adjacent_difference_implIS3_Lb0ELb0EPaS7_N6thrust23THRUST_200600_302600_NS5minusIaEEEE10hipError_tPvRmT2_T3_mT4_P12ihipStream_tbEUlT_E_NS1_11comp_targetILNS1_3genE8ELNS1_11target_archE1030ELNS1_3gpuE2ELNS1_3repE0EEENS1_30default_config_static_selectorELNS0_4arch9wavefront6targetE1EEEvT1_
	.globl	_ZN7rocprim17ROCPRIM_400000_NS6detail17trampoline_kernelINS0_14default_configENS1_35adjacent_difference_config_selectorILb0EaEEZNS1_24adjacent_difference_implIS3_Lb0ELb0EPaS7_N6thrust23THRUST_200600_302600_NS5minusIaEEEE10hipError_tPvRmT2_T3_mT4_P12ihipStream_tbEUlT_E_NS1_11comp_targetILNS1_3genE8ELNS1_11target_archE1030ELNS1_3gpuE2ELNS1_3repE0EEENS1_30default_config_static_selectorELNS0_4arch9wavefront6targetE1EEEvT1_
	.p2align	8
	.type	_ZN7rocprim17ROCPRIM_400000_NS6detail17trampoline_kernelINS0_14default_configENS1_35adjacent_difference_config_selectorILb0EaEEZNS1_24adjacent_difference_implIS3_Lb0ELb0EPaS7_N6thrust23THRUST_200600_302600_NS5minusIaEEEE10hipError_tPvRmT2_T3_mT4_P12ihipStream_tbEUlT_E_NS1_11comp_targetILNS1_3genE8ELNS1_11target_archE1030ELNS1_3gpuE2ELNS1_3repE0EEENS1_30default_config_static_selectorELNS0_4arch9wavefront6targetE1EEEvT1_,@function
_ZN7rocprim17ROCPRIM_400000_NS6detail17trampoline_kernelINS0_14default_configENS1_35adjacent_difference_config_selectorILb0EaEEZNS1_24adjacent_difference_implIS3_Lb0ELb0EPaS7_N6thrust23THRUST_200600_302600_NS5minusIaEEEE10hipError_tPvRmT2_T3_mT4_P12ihipStream_tbEUlT_E_NS1_11comp_targetILNS1_3genE8ELNS1_11target_archE1030ELNS1_3gpuE2ELNS1_3repE0EEENS1_30default_config_static_selectorELNS0_4arch9wavefront6targetE1EEEvT1_: ; @_ZN7rocprim17ROCPRIM_400000_NS6detail17trampoline_kernelINS0_14default_configENS1_35adjacent_difference_config_selectorILb0EaEEZNS1_24adjacent_difference_implIS3_Lb0ELb0EPaS7_N6thrust23THRUST_200600_302600_NS5minusIaEEEE10hipError_tPvRmT2_T3_mT4_P12ihipStream_tbEUlT_E_NS1_11comp_targetILNS1_3genE8ELNS1_11target_archE1030ELNS1_3gpuE2ELNS1_3repE0EEENS1_30default_config_static_selectorELNS0_4arch9wavefront6targetE1EEEvT1_
; %bb.0:
	.section	.rodata,"a",@progbits
	.p2align	6, 0x0
	.amdhsa_kernel _ZN7rocprim17ROCPRIM_400000_NS6detail17trampoline_kernelINS0_14default_configENS1_35adjacent_difference_config_selectorILb0EaEEZNS1_24adjacent_difference_implIS3_Lb0ELb0EPaS7_N6thrust23THRUST_200600_302600_NS5minusIaEEEE10hipError_tPvRmT2_T3_mT4_P12ihipStream_tbEUlT_E_NS1_11comp_targetILNS1_3genE8ELNS1_11target_archE1030ELNS1_3gpuE2ELNS1_3repE0EEENS1_30default_config_static_selectorELNS0_4arch9wavefront6targetE1EEEvT1_
		.amdhsa_group_segment_fixed_size 0
		.amdhsa_private_segment_fixed_size 0
		.amdhsa_kernarg_size 56
		.amdhsa_user_sgpr_count 6
		.amdhsa_user_sgpr_private_segment_buffer 1
		.amdhsa_user_sgpr_dispatch_ptr 0
		.amdhsa_user_sgpr_queue_ptr 0
		.amdhsa_user_sgpr_kernarg_segment_ptr 1
		.amdhsa_user_sgpr_dispatch_id 0
		.amdhsa_user_sgpr_flat_scratch_init 0
		.amdhsa_user_sgpr_kernarg_preload_length 0
		.amdhsa_user_sgpr_kernarg_preload_offset 0
		.amdhsa_user_sgpr_private_segment_size 0
		.amdhsa_uses_dynamic_stack 0
		.amdhsa_system_sgpr_private_segment_wavefront_offset 0
		.amdhsa_system_sgpr_workgroup_id_x 1
		.amdhsa_system_sgpr_workgroup_id_y 0
		.amdhsa_system_sgpr_workgroup_id_z 0
		.amdhsa_system_sgpr_workgroup_info 0
		.amdhsa_system_vgpr_workitem_id 0
		.amdhsa_next_free_vgpr 1
		.amdhsa_next_free_sgpr 0
		.amdhsa_accum_offset 4
		.amdhsa_reserve_vcc 0
		.amdhsa_reserve_flat_scratch 0
		.amdhsa_float_round_mode_32 0
		.amdhsa_float_round_mode_16_64 0
		.amdhsa_float_denorm_mode_32 3
		.amdhsa_float_denorm_mode_16_64 3
		.amdhsa_dx10_clamp 1
		.amdhsa_ieee_mode 1
		.amdhsa_fp16_overflow 0
		.amdhsa_tg_split 0
		.amdhsa_exception_fp_ieee_invalid_op 0
		.amdhsa_exception_fp_denorm_src 0
		.amdhsa_exception_fp_ieee_div_zero 0
		.amdhsa_exception_fp_ieee_overflow 0
		.amdhsa_exception_fp_ieee_underflow 0
		.amdhsa_exception_fp_ieee_inexact 0
		.amdhsa_exception_int_div_zero 0
	.end_amdhsa_kernel
	.section	.text._ZN7rocprim17ROCPRIM_400000_NS6detail17trampoline_kernelINS0_14default_configENS1_35adjacent_difference_config_selectorILb0EaEEZNS1_24adjacent_difference_implIS3_Lb0ELb0EPaS7_N6thrust23THRUST_200600_302600_NS5minusIaEEEE10hipError_tPvRmT2_T3_mT4_P12ihipStream_tbEUlT_E_NS1_11comp_targetILNS1_3genE8ELNS1_11target_archE1030ELNS1_3gpuE2ELNS1_3repE0EEENS1_30default_config_static_selectorELNS0_4arch9wavefront6targetE1EEEvT1_,"axG",@progbits,_ZN7rocprim17ROCPRIM_400000_NS6detail17trampoline_kernelINS0_14default_configENS1_35adjacent_difference_config_selectorILb0EaEEZNS1_24adjacent_difference_implIS3_Lb0ELb0EPaS7_N6thrust23THRUST_200600_302600_NS5minusIaEEEE10hipError_tPvRmT2_T3_mT4_P12ihipStream_tbEUlT_E_NS1_11comp_targetILNS1_3genE8ELNS1_11target_archE1030ELNS1_3gpuE2ELNS1_3repE0EEENS1_30default_config_static_selectorELNS0_4arch9wavefront6targetE1EEEvT1_,comdat
.Lfunc_end8:
	.size	_ZN7rocprim17ROCPRIM_400000_NS6detail17trampoline_kernelINS0_14default_configENS1_35adjacent_difference_config_selectorILb0EaEEZNS1_24adjacent_difference_implIS3_Lb0ELb0EPaS7_N6thrust23THRUST_200600_302600_NS5minusIaEEEE10hipError_tPvRmT2_T3_mT4_P12ihipStream_tbEUlT_E_NS1_11comp_targetILNS1_3genE8ELNS1_11target_archE1030ELNS1_3gpuE2ELNS1_3repE0EEENS1_30default_config_static_selectorELNS0_4arch9wavefront6targetE1EEEvT1_, .Lfunc_end8-_ZN7rocprim17ROCPRIM_400000_NS6detail17trampoline_kernelINS0_14default_configENS1_35adjacent_difference_config_selectorILb0EaEEZNS1_24adjacent_difference_implIS3_Lb0ELb0EPaS7_N6thrust23THRUST_200600_302600_NS5minusIaEEEE10hipError_tPvRmT2_T3_mT4_P12ihipStream_tbEUlT_E_NS1_11comp_targetILNS1_3genE8ELNS1_11target_archE1030ELNS1_3gpuE2ELNS1_3repE0EEENS1_30default_config_static_selectorELNS0_4arch9wavefront6targetE1EEEvT1_
                                        ; -- End function
	.section	.AMDGPU.csdata,"",@progbits
; Kernel info:
; codeLenInByte = 0
; NumSgprs: 4
; NumVgprs: 0
; NumAgprs: 0
; TotalNumVgprs: 0
; ScratchSize: 0
; MemoryBound: 0
; FloatMode: 240
; IeeeMode: 1
; LDSByteSize: 0 bytes/workgroup (compile time only)
; SGPRBlocks: 0
; VGPRBlocks: 0
; NumSGPRsForWavesPerEU: 4
; NumVGPRsForWavesPerEU: 1
; AccumOffset: 4
; Occupancy: 8
; WaveLimiterHint : 0
; COMPUTE_PGM_RSRC2:SCRATCH_EN: 0
; COMPUTE_PGM_RSRC2:USER_SGPR: 6
; COMPUTE_PGM_RSRC2:TRAP_HANDLER: 0
; COMPUTE_PGM_RSRC2:TGID_X_EN: 1
; COMPUTE_PGM_RSRC2:TGID_Y_EN: 0
; COMPUTE_PGM_RSRC2:TGID_Z_EN: 0
; COMPUTE_PGM_RSRC2:TIDIG_COMP_CNT: 0
; COMPUTE_PGM_RSRC3_GFX90A:ACCUM_OFFSET: 0
; COMPUTE_PGM_RSRC3_GFX90A:TG_SPLIT: 0
	.section	.text._ZN7rocprim17ROCPRIM_400000_NS6detail17trampoline_kernelINS0_14default_configENS1_25transform_config_selectorIaLb0EEEZNS1_14transform_implILb0ES3_S5_NS0_18transform_iteratorINS0_17counting_iteratorImlEEZNS1_24adjacent_difference_implIS3_Lb1ELb0EPaSB_N6thrust23THRUST_200600_302600_NS5minusIaEEEE10hipError_tPvRmT2_T3_mT4_P12ihipStream_tbEUlmE_aEESB_NS0_8identityIvEEEESG_SJ_SK_mSL_SN_bEUlT_E_NS1_11comp_targetILNS1_3genE0ELNS1_11target_archE4294967295ELNS1_3gpuE0ELNS1_3repE0EEENS1_30default_config_static_selectorELNS0_4arch9wavefront6targetE1EEEvT1_,"axG",@progbits,_ZN7rocprim17ROCPRIM_400000_NS6detail17trampoline_kernelINS0_14default_configENS1_25transform_config_selectorIaLb0EEEZNS1_14transform_implILb0ES3_S5_NS0_18transform_iteratorINS0_17counting_iteratorImlEEZNS1_24adjacent_difference_implIS3_Lb1ELb0EPaSB_N6thrust23THRUST_200600_302600_NS5minusIaEEEE10hipError_tPvRmT2_T3_mT4_P12ihipStream_tbEUlmE_aEESB_NS0_8identityIvEEEESG_SJ_SK_mSL_SN_bEUlT_E_NS1_11comp_targetILNS1_3genE0ELNS1_11target_archE4294967295ELNS1_3gpuE0ELNS1_3repE0EEENS1_30default_config_static_selectorELNS0_4arch9wavefront6targetE1EEEvT1_,comdat
	.protected	_ZN7rocprim17ROCPRIM_400000_NS6detail17trampoline_kernelINS0_14default_configENS1_25transform_config_selectorIaLb0EEEZNS1_14transform_implILb0ES3_S5_NS0_18transform_iteratorINS0_17counting_iteratorImlEEZNS1_24adjacent_difference_implIS3_Lb1ELb0EPaSB_N6thrust23THRUST_200600_302600_NS5minusIaEEEE10hipError_tPvRmT2_T3_mT4_P12ihipStream_tbEUlmE_aEESB_NS0_8identityIvEEEESG_SJ_SK_mSL_SN_bEUlT_E_NS1_11comp_targetILNS1_3genE0ELNS1_11target_archE4294967295ELNS1_3gpuE0ELNS1_3repE0EEENS1_30default_config_static_selectorELNS0_4arch9wavefront6targetE1EEEvT1_ ; -- Begin function _ZN7rocprim17ROCPRIM_400000_NS6detail17trampoline_kernelINS0_14default_configENS1_25transform_config_selectorIaLb0EEEZNS1_14transform_implILb0ES3_S5_NS0_18transform_iteratorINS0_17counting_iteratorImlEEZNS1_24adjacent_difference_implIS3_Lb1ELb0EPaSB_N6thrust23THRUST_200600_302600_NS5minusIaEEEE10hipError_tPvRmT2_T3_mT4_P12ihipStream_tbEUlmE_aEESB_NS0_8identityIvEEEESG_SJ_SK_mSL_SN_bEUlT_E_NS1_11comp_targetILNS1_3genE0ELNS1_11target_archE4294967295ELNS1_3gpuE0ELNS1_3repE0EEENS1_30default_config_static_selectorELNS0_4arch9wavefront6targetE1EEEvT1_
	.globl	_ZN7rocprim17ROCPRIM_400000_NS6detail17trampoline_kernelINS0_14default_configENS1_25transform_config_selectorIaLb0EEEZNS1_14transform_implILb0ES3_S5_NS0_18transform_iteratorINS0_17counting_iteratorImlEEZNS1_24adjacent_difference_implIS3_Lb1ELb0EPaSB_N6thrust23THRUST_200600_302600_NS5minusIaEEEE10hipError_tPvRmT2_T3_mT4_P12ihipStream_tbEUlmE_aEESB_NS0_8identityIvEEEESG_SJ_SK_mSL_SN_bEUlT_E_NS1_11comp_targetILNS1_3genE0ELNS1_11target_archE4294967295ELNS1_3gpuE0ELNS1_3repE0EEENS1_30default_config_static_selectorELNS0_4arch9wavefront6targetE1EEEvT1_
	.p2align	8
	.type	_ZN7rocprim17ROCPRIM_400000_NS6detail17trampoline_kernelINS0_14default_configENS1_25transform_config_selectorIaLb0EEEZNS1_14transform_implILb0ES3_S5_NS0_18transform_iteratorINS0_17counting_iteratorImlEEZNS1_24adjacent_difference_implIS3_Lb1ELb0EPaSB_N6thrust23THRUST_200600_302600_NS5minusIaEEEE10hipError_tPvRmT2_T3_mT4_P12ihipStream_tbEUlmE_aEESB_NS0_8identityIvEEEESG_SJ_SK_mSL_SN_bEUlT_E_NS1_11comp_targetILNS1_3genE0ELNS1_11target_archE4294967295ELNS1_3gpuE0ELNS1_3repE0EEENS1_30default_config_static_selectorELNS0_4arch9wavefront6targetE1EEEvT1_,@function
_ZN7rocprim17ROCPRIM_400000_NS6detail17trampoline_kernelINS0_14default_configENS1_25transform_config_selectorIaLb0EEEZNS1_14transform_implILb0ES3_S5_NS0_18transform_iteratorINS0_17counting_iteratorImlEEZNS1_24adjacent_difference_implIS3_Lb1ELb0EPaSB_N6thrust23THRUST_200600_302600_NS5minusIaEEEE10hipError_tPvRmT2_T3_mT4_P12ihipStream_tbEUlmE_aEESB_NS0_8identityIvEEEESG_SJ_SK_mSL_SN_bEUlT_E_NS1_11comp_targetILNS1_3genE0ELNS1_11target_archE4294967295ELNS1_3gpuE0ELNS1_3repE0EEENS1_30default_config_static_selectorELNS0_4arch9wavefront6targetE1EEEvT1_: ; @_ZN7rocprim17ROCPRIM_400000_NS6detail17trampoline_kernelINS0_14default_configENS1_25transform_config_selectorIaLb0EEEZNS1_14transform_implILb0ES3_S5_NS0_18transform_iteratorINS0_17counting_iteratorImlEEZNS1_24adjacent_difference_implIS3_Lb1ELb0EPaSB_N6thrust23THRUST_200600_302600_NS5minusIaEEEE10hipError_tPvRmT2_T3_mT4_P12ihipStream_tbEUlmE_aEESB_NS0_8identityIvEEEESG_SJ_SK_mSL_SN_bEUlT_E_NS1_11comp_targetILNS1_3genE0ELNS1_11target_archE4294967295ELNS1_3gpuE0ELNS1_3repE0EEENS1_30default_config_static_selectorELNS0_4arch9wavefront6targetE1EEEvT1_
; %bb.0:
	.section	.rodata,"a",@progbits
	.p2align	6, 0x0
	.amdhsa_kernel _ZN7rocprim17ROCPRIM_400000_NS6detail17trampoline_kernelINS0_14default_configENS1_25transform_config_selectorIaLb0EEEZNS1_14transform_implILb0ES3_S5_NS0_18transform_iteratorINS0_17counting_iteratorImlEEZNS1_24adjacent_difference_implIS3_Lb1ELb0EPaSB_N6thrust23THRUST_200600_302600_NS5minusIaEEEE10hipError_tPvRmT2_T3_mT4_P12ihipStream_tbEUlmE_aEESB_NS0_8identityIvEEEESG_SJ_SK_mSL_SN_bEUlT_E_NS1_11comp_targetILNS1_3genE0ELNS1_11target_archE4294967295ELNS1_3gpuE0ELNS1_3repE0EEENS1_30default_config_static_selectorELNS0_4arch9wavefront6targetE1EEEvT1_
		.amdhsa_group_segment_fixed_size 0
		.amdhsa_private_segment_fixed_size 0
		.amdhsa_kernarg_size 56
		.amdhsa_user_sgpr_count 6
		.amdhsa_user_sgpr_private_segment_buffer 1
		.amdhsa_user_sgpr_dispatch_ptr 0
		.amdhsa_user_sgpr_queue_ptr 0
		.amdhsa_user_sgpr_kernarg_segment_ptr 1
		.amdhsa_user_sgpr_dispatch_id 0
		.amdhsa_user_sgpr_flat_scratch_init 0
		.amdhsa_user_sgpr_kernarg_preload_length 0
		.amdhsa_user_sgpr_kernarg_preload_offset 0
		.amdhsa_user_sgpr_private_segment_size 0
		.amdhsa_uses_dynamic_stack 0
		.amdhsa_system_sgpr_private_segment_wavefront_offset 0
		.amdhsa_system_sgpr_workgroup_id_x 1
		.amdhsa_system_sgpr_workgroup_id_y 0
		.amdhsa_system_sgpr_workgroup_id_z 0
		.amdhsa_system_sgpr_workgroup_info 0
		.amdhsa_system_vgpr_workitem_id 0
		.amdhsa_next_free_vgpr 1
		.amdhsa_next_free_sgpr 0
		.amdhsa_accum_offset 4
		.amdhsa_reserve_vcc 0
		.amdhsa_reserve_flat_scratch 0
		.amdhsa_float_round_mode_32 0
		.amdhsa_float_round_mode_16_64 0
		.amdhsa_float_denorm_mode_32 3
		.amdhsa_float_denorm_mode_16_64 3
		.amdhsa_dx10_clamp 1
		.amdhsa_ieee_mode 1
		.amdhsa_fp16_overflow 0
		.amdhsa_tg_split 0
		.amdhsa_exception_fp_ieee_invalid_op 0
		.amdhsa_exception_fp_denorm_src 0
		.amdhsa_exception_fp_ieee_div_zero 0
		.amdhsa_exception_fp_ieee_overflow 0
		.amdhsa_exception_fp_ieee_underflow 0
		.amdhsa_exception_fp_ieee_inexact 0
		.amdhsa_exception_int_div_zero 0
	.end_amdhsa_kernel
	.section	.text._ZN7rocprim17ROCPRIM_400000_NS6detail17trampoline_kernelINS0_14default_configENS1_25transform_config_selectorIaLb0EEEZNS1_14transform_implILb0ES3_S5_NS0_18transform_iteratorINS0_17counting_iteratorImlEEZNS1_24adjacent_difference_implIS3_Lb1ELb0EPaSB_N6thrust23THRUST_200600_302600_NS5minusIaEEEE10hipError_tPvRmT2_T3_mT4_P12ihipStream_tbEUlmE_aEESB_NS0_8identityIvEEEESG_SJ_SK_mSL_SN_bEUlT_E_NS1_11comp_targetILNS1_3genE0ELNS1_11target_archE4294967295ELNS1_3gpuE0ELNS1_3repE0EEENS1_30default_config_static_selectorELNS0_4arch9wavefront6targetE1EEEvT1_,"axG",@progbits,_ZN7rocprim17ROCPRIM_400000_NS6detail17trampoline_kernelINS0_14default_configENS1_25transform_config_selectorIaLb0EEEZNS1_14transform_implILb0ES3_S5_NS0_18transform_iteratorINS0_17counting_iteratorImlEEZNS1_24adjacent_difference_implIS3_Lb1ELb0EPaSB_N6thrust23THRUST_200600_302600_NS5minusIaEEEE10hipError_tPvRmT2_T3_mT4_P12ihipStream_tbEUlmE_aEESB_NS0_8identityIvEEEESG_SJ_SK_mSL_SN_bEUlT_E_NS1_11comp_targetILNS1_3genE0ELNS1_11target_archE4294967295ELNS1_3gpuE0ELNS1_3repE0EEENS1_30default_config_static_selectorELNS0_4arch9wavefront6targetE1EEEvT1_,comdat
.Lfunc_end9:
	.size	_ZN7rocprim17ROCPRIM_400000_NS6detail17trampoline_kernelINS0_14default_configENS1_25transform_config_selectorIaLb0EEEZNS1_14transform_implILb0ES3_S5_NS0_18transform_iteratorINS0_17counting_iteratorImlEEZNS1_24adjacent_difference_implIS3_Lb1ELb0EPaSB_N6thrust23THRUST_200600_302600_NS5minusIaEEEE10hipError_tPvRmT2_T3_mT4_P12ihipStream_tbEUlmE_aEESB_NS0_8identityIvEEEESG_SJ_SK_mSL_SN_bEUlT_E_NS1_11comp_targetILNS1_3genE0ELNS1_11target_archE4294967295ELNS1_3gpuE0ELNS1_3repE0EEENS1_30default_config_static_selectorELNS0_4arch9wavefront6targetE1EEEvT1_, .Lfunc_end9-_ZN7rocprim17ROCPRIM_400000_NS6detail17trampoline_kernelINS0_14default_configENS1_25transform_config_selectorIaLb0EEEZNS1_14transform_implILb0ES3_S5_NS0_18transform_iteratorINS0_17counting_iteratorImlEEZNS1_24adjacent_difference_implIS3_Lb1ELb0EPaSB_N6thrust23THRUST_200600_302600_NS5minusIaEEEE10hipError_tPvRmT2_T3_mT4_P12ihipStream_tbEUlmE_aEESB_NS0_8identityIvEEEESG_SJ_SK_mSL_SN_bEUlT_E_NS1_11comp_targetILNS1_3genE0ELNS1_11target_archE4294967295ELNS1_3gpuE0ELNS1_3repE0EEENS1_30default_config_static_selectorELNS0_4arch9wavefront6targetE1EEEvT1_
                                        ; -- End function
	.section	.AMDGPU.csdata,"",@progbits
; Kernel info:
; codeLenInByte = 0
; NumSgprs: 4
; NumVgprs: 0
; NumAgprs: 0
; TotalNumVgprs: 0
; ScratchSize: 0
; MemoryBound: 0
; FloatMode: 240
; IeeeMode: 1
; LDSByteSize: 0 bytes/workgroup (compile time only)
; SGPRBlocks: 0
; VGPRBlocks: 0
; NumSGPRsForWavesPerEU: 4
; NumVGPRsForWavesPerEU: 1
; AccumOffset: 4
; Occupancy: 8
; WaveLimiterHint : 0
; COMPUTE_PGM_RSRC2:SCRATCH_EN: 0
; COMPUTE_PGM_RSRC2:USER_SGPR: 6
; COMPUTE_PGM_RSRC2:TRAP_HANDLER: 0
; COMPUTE_PGM_RSRC2:TGID_X_EN: 1
; COMPUTE_PGM_RSRC2:TGID_Y_EN: 0
; COMPUTE_PGM_RSRC2:TGID_Z_EN: 0
; COMPUTE_PGM_RSRC2:TIDIG_COMP_CNT: 0
; COMPUTE_PGM_RSRC3_GFX90A:ACCUM_OFFSET: 0
; COMPUTE_PGM_RSRC3_GFX90A:TG_SPLIT: 0
	.section	.text._ZN7rocprim17ROCPRIM_400000_NS6detail17trampoline_kernelINS0_14default_configENS1_25transform_config_selectorIaLb0EEEZNS1_14transform_implILb0ES3_S5_NS0_18transform_iteratorINS0_17counting_iteratorImlEEZNS1_24adjacent_difference_implIS3_Lb1ELb0EPaSB_N6thrust23THRUST_200600_302600_NS5minusIaEEEE10hipError_tPvRmT2_T3_mT4_P12ihipStream_tbEUlmE_aEESB_NS0_8identityIvEEEESG_SJ_SK_mSL_SN_bEUlT_E_NS1_11comp_targetILNS1_3genE5ELNS1_11target_archE942ELNS1_3gpuE9ELNS1_3repE0EEENS1_30default_config_static_selectorELNS0_4arch9wavefront6targetE1EEEvT1_,"axG",@progbits,_ZN7rocprim17ROCPRIM_400000_NS6detail17trampoline_kernelINS0_14default_configENS1_25transform_config_selectorIaLb0EEEZNS1_14transform_implILb0ES3_S5_NS0_18transform_iteratorINS0_17counting_iteratorImlEEZNS1_24adjacent_difference_implIS3_Lb1ELb0EPaSB_N6thrust23THRUST_200600_302600_NS5minusIaEEEE10hipError_tPvRmT2_T3_mT4_P12ihipStream_tbEUlmE_aEESB_NS0_8identityIvEEEESG_SJ_SK_mSL_SN_bEUlT_E_NS1_11comp_targetILNS1_3genE5ELNS1_11target_archE942ELNS1_3gpuE9ELNS1_3repE0EEENS1_30default_config_static_selectorELNS0_4arch9wavefront6targetE1EEEvT1_,comdat
	.protected	_ZN7rocprim17ROCPRIM_400000_NS6detail17trampoline_kernelINS0_14default_configENS1_25transform_config_selectorIaLb0EEEZNS1_14transform_implILb0ES3_S5_NS0_18transform_iteratorINS0_17counting_iteratorImlEEZNS1_24adjacent_difference_implIS3_Lb1ELb0EPaSB_N6thrust23THRUST_200600_302600_NS5minusIaEEEE10hipError_tPvRmT2_T3_mT4_P12ihipStream_tbEUlmE_aEESB_NS0_8identityIvEEEESG_SJ_SK_mSL_SN_bEUlT_E_NS1_11comp_targetILNS1_3genE5ELNS1_11target_archE942ELNS1_3gpuE9ELNS1_3repE0EEENS1_30default_config_static_selectorELNS0_4arch9wavefront6targetE1EEEvT1_ ; -- Begin function _ZN7rocprim17ROCPRIM_400000_NS6detail17trampoline_kernelINS0_14default_configENS1_25transform_config_selectorIaLb0EEEZNS1_14transform_implILb0ES3_S5_NS0_18transform_iteratorINS0_17counting_iteratorImlEEZNS1_24adjacent_difference_implIS3_Lb1ELb0EPaSB_N6thrust23THRUST_200600_302600_NS5minusIaEEEE10hipError_tPvRmT2_T3_mT4_P12ihipStream_tbEUlmE_aEESB_NS0_8identityIvEEEESG_SJ_SK_mSL_SN_bEUlT_E_NS1_11comp_targetILNS1_3genE5ELNS1_11target_archE942ELNS1_3gpuE9ELNS1_3repE0EEENS1_30default_config_static_selectorELNS0_4arch9wavefront6targetE1EEEvT1_
	.globl	_ZN7rocprim17ROCPRIM_400000_NS6detail17trampoline_kernelINS0_14default_configENS1_25transform_config_selectorIaLb0EEEZNS1_14transform_implILb0ES3_S5_NS0_18transform_iteratorINS0_17counting_iteratorImlEEZNS1_24adjacent_difference_implIS3_Lb1ELb0EPaSB_N6thrust23THRUST_200600_302600_NS5minusIaEEEE10hipError_tPvRmT2_T3_mT4_P12ihipStream_tbEUlmE_aEESB_NS0_8identityIvEEEESG_SJ_SK_mSL_SN_bEUlT_E_NS1_11comp_targetILNS1_3genE5ELNS1_11target_archE942ELNS1_3gpuE9ELNS1_3repE0EEENS1_30default_config_static_selectorELNS0_4arch9wavefront6targetE1EEEvT1_
	.p2align	8
	.type	_ZN7rocprim17ROCPRIM_400000_NS6detail17trampoline_kernelINS0_14default_configENS1_25transform_config_selectorIaLb0EEEZNS1_14transform_implILb0ES3_S5_NS0_18transform_iteratorINS0_17counting_iteratorImlEEZNS1_24adjacent_difference_implIS3_Lb1ELb0EPaSB_N6thrust23THRUST_200600_302600_NS5minusIaEEEE10hipError_tPvRmT2_T3_mT4_P12ihipStream_tbEUlmE_aEESB_NS0_8identityIvEEEESG_SJ_SK_mSL_SN_bEUlT_E_NS1_11comp_targetILNS1_3genE5ELNS1_11target_archE942ELNS1_3gpuE9ELNS1_3repE0EEENS1_30default_config_static_selectorELNS0_4arch9wavefront6targetE1EEEvT1_,@function
_ZN7rocprim17ROCPRIM_400000_NS6detail17trampoline_kernelINS0_14default_configENS1_25transform_config_selectorIaLb0EEEZNS1_14transform_implILb0ES3_S5_NS0_18transform_iteratorINS0_17counting_iteratorImlEEZNS1_24adjacent_difference_implIS3_Lb1ELb0EPaSB_N6thrust23THRUST_200600_302600_NS5minusIaEEEE10hipError_tPvRmT2_T3_mT4_P12ihipStream_tbEUlmE_aEESB_NS0_8identityIvEEEESG_SJ_SK_mSL_SN_bEUlT_E_NS1_11comp_targetILNS1_3genE5ELNS1_11target_archE942ELNS1_3gpuE9ELNS1_3repE0EEENS1_30default_config_static_selectorELNS0_4arch9wavefront6targetE1EEEvT1_: ; @_ZN7rocprim17ROCPRIM_400000_NS6detail17trampoline_kernelINS0_14default_configENS1_25transform_config_selectorIaLb0EEEZNS1_14transform_implILb0ES3_S5_NS0_18transform_iteratorINS0_17counting_iteratorImlEEZNS1_24adjacent_difference_implIS3_Lb1ELb0EPaSB_N6thrust23THRUST_200600_302600_NS5minusIaEEEE10hipError_tPvRmT2_T3_mT4_P12ihipStream_tbEUlmE_aEESB_NS0_8identityIvEEEESG_SJ_SK_mSL_SN_bEUlT_E_NS1_11comp_targetILNS1_3genE5ELNS1_11target_archE942ELNS1_3gpuE9ELNS1_3repE0EEENS1_30default_config_static_selectorELNS0_4arch9wavefront6targetE1EEEvT1_
; %bb.0:
	.section	.rodata,"a",@progbits
	.p2align	6, 0x0
	.amdhsa_kernel _ZN7rocprim17ROCPRIM_400000_NS6detail17trampoline_kernelINS0_14default_configENS1_25transform_config_selectorIaLb0EEEZNS1_14transform_implILb0ES3_S5_NS0_18transform_iteratorINS0_17counting_iteratorImlEEZNS1_24adjacent_difference_implIS3_Lb1ELb0EPaSB_N6thrust23THRUST_200600_302600_NS5minusIaEEEE10hipError_tPvRmT2_T3_mT4_P12ihipStream_tbEUlmE_aEESB_NS0_8identityIvEEEESG_SJ_SK_mSL_SN_bEUlT_E_NS1_11comp_targetILNS1_3genE5ELNS1_11target_archE942ELNS1_3gpuE9ELNS1_3repE0EEENS1_30default_config_static_selectorELNS0_4arch9wavefront6targetE1EEEvT1_
		.amdhsa_group_segment_fixed_size 0
		.amdhsa_private_segment_fixed_size 0
		.amdhsa_kernarg_size 56
		.amdhsa_user_sgpr_count 6
		.amdhsa_user_sgpr_private_segment_buffer 1
		.amdhsa_user_sgpr_dispatch_ptr 0
		.amdhsa_user_sgpr_queue_ptr 0
		.amdhsa_user_sgpr_kernarg_segment_ptr 1
		.amdhsa_user_sgpr_dispatch_id 0
		.amdhsa_user_sgpr_flat_scratch_init 0
		.amdhsa_user_sgpr_kernarg_preload_length 0
		.amdhsa_user_sgpr_kernarg_preload_offset 0
		.amdhsa_user_sgpr_private_segment_size 0
		.amdhsa_uses_dynamic_stack 0
		.amdhsa_system_sgpr_private_segment_wavefront_offset 0
		.amdhsa_system_sgpr_workgroup_id_x 1
		.amdhsa_system_sgpr_workgroup_id_y 0
		.amdhsa_system_sgpr_workgroup_id_z 0
		.amdhsa_system_sgpr_workgroup_info 0
		.amdhsa_system_vgpr_workitem_id 0
		.amdhsa_next_free_vgpr 1
		.amdhsa_next_free_sgpr 0
		.amdhsa_accum_offset 4
		.amdhsa_reserve_vcc 0
		.amdhsa_reserve_flat_scratch 0
		.amdhsa_float_round_mode_32 0
		.amdhsa_float_round_mode_16_64 0
		.amdhsa_float_denorm_mode_32 3
		.amdhsa_float_denorm_mode_16_64 3
		.amdhsa_dx10_clamp 1
		.amdhsa_ieee_mode 1
		.amdhsa_fp16_overflow 0
		.amdhsa_tg_split 0
		.amdhsa_exception_fp_ieee_invalid_op 0
		.amdhsa_exception_fp_denorm_src 0
		.amdhsa_exception_fp_ieee_div_zero 0
		.amdhsa_exception_fp_ieee_overflow 0
		.amdhsa_exception_fp_ieee_underflow 0
		.amdhsa_exception_fp_ieee_inexact 0
		.amdhsa_exception_int_div_zero 0
	.end_amdhsa_kernel
	.section	.text._ZN7rocprim17ROCPRIM_400000_NS6detail17trampoline_kernelINS0_14default_configENS1_25transform_config_selectorIaLb0EEEZNS1_14transform_implILb0ES3_S5_NS0_18transform_iteratorINS0_17counting_iteratorImlEEZNS1_24adjacent_difference_implIS3_Lb1ELb0EPaSB_N6thrust23THRUST_200600_302600_NS5minusIaEEEE10hipError_tPvRmT2_T3_mT4_P12ihipStream_tbEUlmE_aEESB_NS0_8identityIvEEEESG_SJ_SK_mSL_SN_bEUlT_E_NS1_11comp_targetILNS1_3genE5ELNS1_11target_archE942ELNS1_3gpuE9ELNS1_3repE0EEENS1_30default_config_static_selectorELNS0_4arch9wavefront6targetE1EEEvT1_,"axG",@progbits,_ZN7rocprim17ROCPRIM_400000_NS6detail17trampoline_kernelINS0_14default_configENS1_25transform_config_selectorIaLb0EEEZNS1_14transform_implILb0ES3_S5_NS0_18transform_iteratorINS0_17counting_iteratorImlEEZNS1_24adjacent_difference_implIS3_Lb1ELb0EPaSB_N6thrust23THRUST_200600_302600_NS5minusIaEEEE10hipError_tPvRmT2_T3_mT4_P12ihipStream_tbEUlmE_aEESB_NS0_8identityIvEEEESG_SJ_SK_mSL_SN_bEUlT_E_NS1_11comp_targetILNS1_3genE5ELNS1_11target_archE942ELNS1_3gpuE9ELNS1_3repE0EEENS1_30default_config_static_selectorELNS0_4arch9wavefront6targetE1EEEvT1_,comdat
.Lfunc_end10:
	.size	_ZN7rocprim17ROCPRIM_400000_NS6detail17trampoline_kernelINS0_14default_configENS1_25transform_config_selectorIaLb0EEEZNS1_14transform_implILb0ES3_S5_NS0_18transform_iteratorINS0_17counting_iteratorImlEEZNS1_24adjacent_difference_implIS3_Lb1ELb0EPaSB_N6thrust23THRUST_200600_302600_NS5minusIaEEEE10hipError_tPvRmT2_T3_mT4_P12ihipStream_tbEUlmE_aEESB_NS0_8identityIvEEEESG_SJ_SK_mSL_SN_bEUlT_E_NS1_11comp_targetILNS1_3genE5ELNS1_11target_archE942ELNS1_3gpuE9ELNS1_3repE0EEENS1_30default_config_static_selectorELNS0_4arch9wavefront6targetE1EEEvT1_, .Lfunc_end10-_ZN7rocprim17ROCPRIM_400000_NS6detail17trampoline_kernelINS0_14default_configENS1_25transform_config_selectorIaLb0EEEZNS1_14transform_implILb0ES3_S5_NS0_18transform_iteratorINS0_17counting_iteratorImlEEZNS1_24adjacent_difference_implIS3_Lb1ELb0EPaSB_N6thrust23THRUST_200600_302600_NS5minusIaEEEE10hipError_tPvRmT2_T3_mT4_P12ihipStream_tbEUlmE_aEESB_NS0_8identityIvEEEESG_SJ_SK_mSL_SN_bEUlT_E_NS1_11comp_targetILNS1_3genE5ELNS1_11target_archE942ELNS1_3gpuE9ELNS1_3repE0EEENS1_30default_config_static_selectorELNS0_4arch9wavefront6targetE1EEEvT1_
                                        ; -- End function
	.section	.AMDGPU.csdata,"",@progbits
; Kernel info:
; codeLenInByte = 0
; NumSgprs: 4
; NumVgprs: 0
; NumAgprs: 0
; TotalNumVgprs: 0
; ScratchSize: 0
; MemoryBound: 0
; FloatMode: 240
; IeeeMode: 1
; LDSByteSize: 0 bytes/workgroup (compile time only)
; SGPRBlocks: 0
; VGPRBlocks: 0
; NumSGPRsForWavesPerEU: 4
; NumVGPRsForWavesPerEU: 1
; AccumOffset: 4
; Occupancy: 8
; WaveLimiterHint : 0
; COMPUTE_PGM_RSRC2:SCRATCH_EN: 0
; COMPUTE_PGM_RSRC2:USER_SGPR: 6
; COMPUTE_PGM_RSRC2:TRAP_HANDLER: 0
; COMPUTE_PGM_RSRC2:TGID_X_EN: 1
; COMPUTE_PGM_RSRC2:TGID_Y_EN: 0
; COMPUTE_PGM_RSRC2:TGID_Z_EN: 0
; COMPUTE_PGM_RSRC2:TIDIG_COMP_CNT: 0
; COMPUTE_PGM_RSRC3_GFX90A:ACCUM_OFFSET: 0
; COMPUTE_PGM_RSRC3_GFX90A:TG_SPLIT: 0
	.section	.text._ZN7rocprim17ROCPRIM_400000_NS6detail17trampoline_kernelINS0_14default_configENS1_25transform_config_selectorIaLb0EEEZNS1_14transform_implILb0ES3_S5_NS0_18transform_iteratorINS0_17counting_iteratorImlEEZNS1_24adjacent_difference_implIS3_Lb1ELb0EPaSB_N6thrust23THRUST_200600_302600_NS5minusIaEEEE10hipError_tPvRmT2_T3_mT4_P12ihipStream_tbEUlmE_aEESB_NS0_8identityIvEEEESG_SJ_SK_mSL_SN_bEUlT_E_NS1_11comp_targetILNS1_3genE4ELNS1_11target_archE910ELNS1_3gpuE8ELNS1_3repE0EEENS1_30default_config_static_selectorELNS0_4arch9wavefront6targetE1EEEvT1_,"axG",@progbits,_ZN7rocprim17ROCPRIM_400000_NS6detail17trampoline_kernelINS0_14default_configENS1_25transform_config_selectorIaLb0EEEZNS1_14transform_implILb0ES3_S5_NS0_18transform_iteratorINS0_17counting_iteratorImlEEZNS1_24adjacent_difference_implIS3_Lb1ELb0EPaSB_N6thrust23THRUST_200600_302600_NS5minusIaEEEE10hipError_tPvRmT2_T3_mT4_P12ihipStream_tbEUlmE_aEESB_NS0_8identityIvEEEESG_SJ_SK_mSL_SN_bEUlT_E_NS1_11comp_targetILNS1_3genE4ELNS1_11target_archE910ELNS1_3gpuE8ELNS1_3repE0EEENS1_30default_config_static_selectorELNS0_4arch9wavefront6targetE1EEEvT1_,comdat
	.protected	_ZN7rocprim17ROCPRIM_400000_NS6detail17trampoline_kernelINS0_14default_configENS1_25transform_config_selectorIaLb0EEEZNS1_14transform_implILb0ES3_S5_NS0_18transform_iteratorINS0_17counting_iteratorImlEEZNS1_24adjacent_difference_implIS3_Lb1ELb0EPaSB_N6thrust23THRUST_200600_302600_NS5minusIaEEEE10hipError_tPvRmT2_T3_mT4_P12ihipStream_tbEUlmE_aEESB_NS0_8identityIvEEEESG_SJ_SK_mSL_SN_bEUlT_E_NS1_11comp_targetILNS1_3genE4ELNS1_11target_archE910ELNS1_3gpuE8ELNS1_3repE0EEENS1_30default_config_static_selectorELNS0_4arch9wavefront6targetE1EEEvT1_ ; -- Begin function _ZN7rocprim17ROCPRIM_400000_NS6detail17trampoline_kernelINS0_14default_configENS1_25transform_config_selectorIaLb0EEEZNS1_14transform_implILb0ES3_S5_NS0_18transform_iteratorINS0_17counting_iteratorImlEEZNS1_24adjacent_difference_implIS3_Lb1ELb0EPaSB_N6thrust23THRUST_200600_302600_NS5minusIaEEEE10hipError_tPvRmT2_T3_mT4_P12ihipStream_tbEUlmE_aEESB_NS0_8identityIvEEEESG_SJ_SK_mSL_SN_bEUlT_E_NS1_11comp_targetILNS1_3genE4ELNS1_11target_archE910ELNS1_3gpuE8ELNS1_3repE0EEENS1_30default_config_static_selectorELNS0_4arch9wavefront6targetE1EEEvT1_
	.globl	_ZN7rocprim17ROCPRIM_400000_NS6detail17trampoline_kernelINS0_14default_configENS1_25transform_config_selectorIaLb0EEEZNS1_14transform_implILb0ES3_S5_NS0_18transform_iteratorINS0_17counting_iteratorImlEEZNS1_24adjacent_difference_implIS3_Lb1ELb0EPaSB_N6thrust23THRUST_200600_302600_NS5minusIaEEEE10hipError_tPvRmT2_T3_mT4_P12ihipStream_tbEUlmE_aEESB_NS0_8identityIvEEEESG_SJ_SK_mSL_SN_bEUlT_E_NS1_11comp_targetILNS1_3genE4ELNS1_11target_archE910ELNS1_3gpuE8ELNS1_3repE0EEENS1_30default_config_static_selectorELNS0_4arch9wavefront6targetE1EEEvT1_
	.p2align	8
	.type	_ZN7rocprim17ROCPRIM_400000_NS6detail17trampoline_kernelINS0_14default_configENS1_25transform_config_selectorIaLb0EEEZNS1_14transform_implILb0ES3_S5_NS0_18transform_iteratorINS0_17counting_iteratorImlEEZNS1_24adjacent_difference_implIS3_Lb1ELb0EPaSB_N6thrust23THRUST_200600_302600_NS5minusIaEEEE10hipError_tPvRmT2_T3_mT4_P12ihipStream_tbEUlmE_aEESB_NS0_8identityIvEEEESG_SJ_SK_mSL_SN_bEUlT_E_NS1_11comp_targetILNS1_3genE4ELNS1_11target_archE910ELNS1_3gpuE8ELNS1_3repE0EEENS1_30default_config_static_selectorELNS0_4arch9wavefront6targetE1EEEvT1_,@function
_ZN7rocprim17ROCPRIM_400000_NS6detail17trampoline_kernelINS0_14default_configENS1_25transform_config_selectorIaLb0EEEZNS1_14transform_implILb0ES3_S5_NS0_18transform_iteratorINS0_17counting_iteratorImlEEZNS1_24adjacent_difference_implIS3_Lb1ELb0EPaSB_N6thrust23THRUST_200600_302600_NS5minusIaEEEE10hipError_tPvRmT2_T3_mT4_P12ihipStream_tbEUlmE_aEESB_NS0_8identityIvEEEESG_SJ_SK_mSL_SN_bEUlT_E_NS1_11comp_targetILNS1_3genE4ELNS1_11target_archE910ELNS1_3gpuE8ELNS1_3repE0EEENS1_30default_config_static_selectorELNS0_4arch9wavefront6targetE1EEEvT1_: ; @_ZN7rocprim17ROCPRIM_400000_NS6detail17trampoline_kernelINS0_14default_configENS1_25transform_config_selectorIaLb0EEEZNS1_14transform_implILb0ES3_S5_NS0_18transform_iteratorINS0_17counting_iteratorImlEEZNS1_24adjacent_difference_implIS3_Lb1ELb0EPaSB_N6thrust23THRUST_200600_302600_NS5minusIaEEEE10hipError_tPvRmT2_T3_mT4_P12ihipStream_tbEUlmE_aEESB_NS0_8identityIvEEEESG_SJ_SK_mSL_SN_bEUlT_E_NS1_11comp_targetILNS1_3genE4ELNS1_11target_archE910ELNS1_3gpuE8ELNS1_3repE0EEENS1_30default_config_static_selectorELNS0_4arch9wavefront6targetE1EEEvT1_
; %bb.0:
	s_load_dwordx4 s[0:3], s[4:5], 0x18
	s_load_dwordx2 s[8:9], s[4:5], 0x28
	s_waitcnt lgkmcnt(0)
	s_load_dword s3, s[4:5], 0x38
	s_load_dwordx4 s[36:39], s[4:5], 0x0
	s_load_dword s40, s[4:5], 0x10
	s_mov_b32 s41, 0
	s_add_u32 s33, s8, s0
	s_addc_u32 s42, s9, s1
	s_lshl_b32 s43, s6, 10
	s_waitcnt lgkmcnt(0)
	s_add_i32 s3, s3, -1
	s_add_u32 s4, s36, s43
	s_addc_u32 s5, s37, 0
	s_add_u32 s44, s4, s0
	s_addc_u32 s45, s5, s1
	s_cmp_lg_u32 s6, s3
	s_cbranch_scc0 .LBB11_2
; %bb.1:
	v_add_co_u32_e32 v4, vcc, s44, v0
	v_pk_mov_b32 v[2:3], s[38:39], s[38:39] op_sel:[0,1]
	v_mov_b32_e32 v1, s45
	v_mad_u64_u32 v[2:3], s[0:1], v4, s40, v[2:3]
	v_addc_co_u32_e32 v1, vcc, 0, v1, vcc
	v_mov_b32_e32 v4, v3
	v_mad_u64_u32 v[4:5], s[0:1], v1, s40, v[4:5]
	v_mov_b32_e32 v3, v4
	s_lshl_b64 s[0:1], s[40:41], 6
	global_load_ubyte v1, v[2:3], off
	v_mov_b32_e32 v10, s1
	v_add_co_u32_e32 v2, vcc, s0, v2
	v_addc_co_u32_e32 v3, vcc, v3, v10, vcc
	v_add_co_u32_e32 v4, vcc, s0, v2
	v_addc_co_u32_e32 v5, vcc, v3, v10, vcc
	;; [unrolled: 2-line block ×4, first 2 shown]
	global_load_ubyte v11, v[2:3], off
	global_load_ubyte v12, v[4:5], off
	;; [unrolled: 1-line block ×4, first 2 shown]
	v_add_co_u32_e32 v2, vcc, s0, v8
	v_addc_co_u32_e32 v3, vcc, v9, v10, vcc
	global_load_ubyte v5, v[2:3], off
	v_add_co_u32_e32 v2, vcc, s0, v2
	v_addc_co_u32_e32 v3, vcc, v3, v10, vcc
	global_load_ubyte v6, v[2:3], off
	v_add_co_u32_e32 v2, vcc, s0, v2
	v_addc_co_u32_e32 v3, vcc, v3, v10, vcc
	global_load_ubyte v7, v[2:3], off
	v_add_co_u32_e32 v2, vcc, s0, v2
	v_addc_co_u32_e32 v3, vcc, v3, v10, vcc
	global_load_ubyte v8, v[2:3], off
	v_add_co_u32_e32 v2, vcc, s0, v2
	v_addc_co_u32_e32 v3, vcc, v3, v10, vcc
	global_load_ubyte v9, v[2:3], off
	v_add_co_u32_e32 v2, vcc, s0, v2
	v_addc_co_u32_e32 v3, vcc, v3, v10, vcc
	global_load_ubyte v15, v[2:3], off
	v_add_co_u32_e32 v2, vcc, s0, v2
	v_addc_co_u32_e32 v3, vcc, v3, v10, vcc
	global_load_ubyte v16, v[2:3], off
	v_add_co_u32_e32 v2, vcc, s0, v2
	v_addc_co_u32_e32 v3, vcc, v3, v10, vcc
	global_load_ubyte v17, v[2:3], off
	v_add_co_u32_e32 v2, vcc, s0, v2
	v_addc_co_u32_e32 v3, vcc, v3, v10, vcc
	global_load_ubyte v18, v[2:3], off
	v_add_co_u32_e32 v2, vcc, s0, v2
	v_addc_co_u32_e32 v3, vcc, v3, v10, vcc
	global_load_ubyte v19, v[2:3], off
	v_add_co_u32_e32 v2, vcc, s0, v2
	v_addc_co_u32_e32 v3, vcc, v3, v10, vcc
	global_load_ubyte v4, v[2:3], off
	s_add_u32 s0, s33, s43
	s_addc_u32 s1, s42, 0
	v_mov_b32_e32 v3, s1
	v_add_co_u32_e32 v2, vcc, s0, v0
	v_addc_co_u32_e32 v3, vcc, 0, v3, vcc
	s_mov_b64 s[34:35], -1
	s_waitcnt vmcnt(15)
	global_store_byte v0, v1, s[0:1]
	s_waitcnt vmcnt(15)
	global_store_byte v0, v11, s[0:1] offset:64
	s_waitcnt vmcnt(15)
	global_store_byte v0, v12, s[0:1] offset:128
	s_waitcnt vmcnt(15)
	global_store_byte v0, v13, s[0:1] offset:192
	s_waitcnt vmcnt(15)
	global_store_byte v0, v14, s[0:1] offset:256
	s_waitcnt vmcnt(15)
	global_store_byte v0, v5, s[0:1] offset:320
	s_waitcnt vmcnt(15)
	global_store_byte v0, v6, s[0:1] offset:384
	s_waitcnt vmcnt(15)
	global_store_byte v0, v7, s[0:1] offset:448
	s_waitcnt vmcnt(15)
	global_store_byte v0, v8, s[0:1] offset:512
	s_waitcnt vmcnt(15)
	global_store_byte v0, v9, s[0:1] offset:576
	s_waitcnt vmcnt(15)
	global_store_byte v0, v15, s[0:1] offset:640
	s_waitcnt vmcnt(15)
	global_store_byte v0, v16, s[0:1] offset:704
	s_waitcnt vmcnt(15)
	global_store_byte v0, v17, s[0:1] offset:768
	s_waitcnt vmcnt(15)
	global_store_byte v0, v18, s[0:1] offset:832
	s_waitcnt vmcnt(15)
	global_store_byte v0, v19, s[0:1] offset:896
	s_cbranch_execz .LBB11_3
	s_branch .LBB11_68
.LBB11_2:
	s_mov_b64 s[34:35], 0
                                        ; implicit-def: $vgpr4
                                        ; implicit-def: $vgpr2_vgpr3
.LBB11_3:
	s_sub_i32 s36, s2, s43
	v_cmp_gt_u32_e32 vcc, s36, v0
                                        ; implicit-def: $vgpr1
	s_and_saveexec_b64 s[2:3], vcc
	s_cbranch_execz .LBB11_5
; %bb.4:
	v_mov_b32_e32 v1, s45
	s_waitcnt vmcnt(15)
	v_add_co_u32_e64 v4, s[0:1], s44, v0
	v_pk_mov_b32 v[2:3], s[38:39], s[38:39] op_sel:[0,1]
	v_addc_co_u32_e64 v1, s[0:1], 0, v1, s[0:1]
	v_mad_u64_u32 v[2:3], s[0:1], v4, s40, v[2:3]
	v_mov_b32_e32 v4, v3
	v_mad_u64_u32 v[4:5], s[0:1], v1, s40, v[4:5]
	v_mov_b32_e32 v3, v4
	global_load_ubyte v1, v[2:3], off
.LBB11_5:
	s_or_b64 exec, exec, s[2:3]
	v_or_b32_e32 v3, 64, v0
	v_cmp_gt_u32_e64 s[0:1], s36, v3
                                        ; implicit-def: $vgpr2
	s_and_saveexec_b64 s[4:5], s[0:1]
	s_cbranch_execz .LBB11_7
; %bb.6:
	v_mov_b32_e32 v2, s45
	s_waitcnt vmcnt(15)
	v_add_co_u32_e64 v4, s[2:3], s44, v3
	v_addc_co_u32_e64 v5, s[2:3], 0, v2, s[2:3]
	v_pk_mov_b32 v[2:3], s[38:39], s[38:39] op_sel:[0,1]
	v_mad_u64_u32 v[2:3], s[2:3], v4, s40, v[2:3]
	v_mov_b32_e32 v4, v3
	v_mad_u64_u32 v[4:5], s[2:3], v5, s40, v[4:5]
	v_mov_b32_e32 v3, v4
	global_load_ubyte v2, v[2:3], off
.LBB11_7:
	s_or_b64 exec, exec, s[4:5]
	s_waitcnt vmcnt(15)
	v_or_b32_e32 v4, 0x80, v0
	v_cmp_gt_u32_e64 s[2:3], s36, v4
                                        ; implicit-def: $vgpr3
	s_and_saveexec_b64 s[6:7], s[2:3]
	s_cbranch_execz .LBB11_9
; %bb.8:
	v_mov_b32_e32 v3, s45
	v_add_co_u32_e64 v6, s[4:5], s44, v4
	v_pk_mov_b32 v[4:5], s[38:39], s[38:39] op_sel:[0,1]
	v_addc_co_u32_e64 v3, s[4:5], 0, v3, s[4:5]
	v_mad_u64_u32 v[4:5], s[4:5], v6, s40, v[4:5]
	v_mov_b32_e32 v6, v5
	v_mad_u64_u32 v[6:7], s[4:5], v3, s40, v[6:7]
	v_mov_b32_e32 v5, v6
	global_load_ubyte v3, v[4:5], off
.LBB11_9:
	s_or_b64 exec, exec, s[6:7]
	v_or_b32_e32 v5, 0xc0, v0
	v_cmp_gt_u32_e64 s[4:5], s36, v5
                                        ; implicit-def: $vgpr4
	s_and_saveexec_b64 s[8:9], s[4:5]
	s_cbranch_execz .LBB11_11
; %bb.10:
	v_mov_b32_e32 v4, s45
	v_add_co_u32_e64 v6, s[6:7], s44, v5
	v_addc_co_u32_e64 v7, s[6:7], 0, v4, s[6:7]
	v_pk_mov_b32 v[4:5], s[38:39], s[38:39] op_sel:[0,1]
	v_mad_u64_u32 v[4:5], s[6:7], v6, s40, v[4:5]
	v_mov_b32_e32 v6, v5
	v_mad_u64_u32 v[6:7], s[6:7], v7, s40, v[6:7]
	v_mov_b32_e32 v5, v6
	global_load_ubyte v4, v[4:5], off
.LBB11_11:
	s_or_b64 exec, exec, s[8:9]
	v_or_b32_e32 v6, 0x100, v0
	v_cmp_gt_u32_e64 s[6:7], s36, v6
                                        ; implicit-def: $vgpr5
	s_and_saveexec_b64 s[10:11], s[6:7]
	s_cbranch_execz .LBB11_13
; %bb.12:
	v_mov_b32_e32 v5, s45
	v_add_co_u32_e64 v8, s[8:9], s44, v6
	v_pk_mov_b32 v[6:7], s[38:39], s[38:39] op_sel:[0,1]
	v_addc_co_u32_e64 v5, s[8:9], 0, v5, s[8:9]
	v_mad_u64_u32 v[6:7], s[8:9], v8, s40, v[6:7]
	v_mov_b32_e32 v8, v7
	v_mad_u64_u32 v[8:9], s[8:9], v5, s40, v[8:9]
	v_mov_b32_e32 v7, v8
	global_load_ubyte v5, v[6:7], off
.LBB11_13:
	s_or_b64 exec, exec, s[10:11]
	v_or_b32_e32 v7, 0x140, v0
	v_cmp_gt_u32_e64 s[8:9], s36, v7
                                        ; implicit-def: $vgpr6
	s_and_saveexec_b64 s[12:13], s[8:9]
	s_cbranch_execz .LBB11_15
; %bb.14:
	v_mov_b32_e32 v6, s45
	v_add_co_u32_e64 v8, s[10:11], s44, v7
	v_addc_co_u32_e64 v9, s[10:11], 0, v6, s[10:11]
	v_pk_mov_b32 v[6:7], s[38:39], s[38:39] op_sel:[0,1]
	v_mad_u64_u32 v[6:7], s[10:11], v8, s40, v[6:7]
	v_mov_b32_e32 v8, v7
	v_mad_u64_u32 v[8:9], s[10:11], v9, s40, v[8:9]
	v_mov_b32_e32 v7, v8
	global_load_ubyte v6, v[6:7], off
.LBB11_15:
	s_or_b64 exec, exec, s[12:13]
	v_or_b32_e32 v8, 0x180, v0
	v_cmp_gt_u32_e64 s[10:11], s36, v8
                                        ; implicit-def: $vgpr7
	s_and_saveexec_b64 s[14:15], s[10:11]
	s_cbranch_execz .LBB11_17
; %bb.16:
	v_mov_b32_e32 v7, s45
	v_add_co_u32_e64 v10, s[12:13], s44, v8
	v_pk_mov_b32 v[8:9], s[38:39], s[38:39] op_sel:[0,1]
	v_addc_co_u32_e64 v7, s[12:13], 0, v7, s[12:13]
	v_mad_u64_u32 v[8:9], s[12:13], v10, s40, v[8:9]
	v_mov_b32_e32 v10, v9
	v_mad_u64_u32 v[10:11], s[12:13], v7, s40, v[10:11]
	v_mov_b32_e32 v9, v10
	global_load_ubyte v7, v[8:9], off
.LBB11_17:
	s_or_b64 exec, exec, s[14:15]
	v_or_b32_e32 v9, 0x1c0, v0
	v_cmp_gt_u32_e64 s[12:13], s36, v9
                                        ; implicit-def: $vgpr8
	s_and_saveexec_b64 s[16:17], s[12:13]
	s_cbranch_execz .LBB11_19
; %bb.18:
	v_mov_b32_e32 v8, s45
	v_add_co_u32_e64 v10, s[14:15], s44, v9
	v_addc_co_u32_e64 v11, s[14:15], 0, v8, s[14:15]
	v_pk_mov_b32 v[8:9], s[38:39], s[38:39] op_sel:[0,1]
	v_mad_u64_u32 v[8:9], s[14:15], v10, s40, v[8:9]
	v_mov_b32_e32 v10, v9
	v_mad_u64_u32 v[10:11], s[14:15], v11, s40, v[10:11]
	v_mov_b32_e32 v9, v10
	global_load_ubyte v8, v[8:9], off
.LBB11_19:
	s_or_b64 exec, exec, s[16:17]
	v_or_b32_e32 v10, 0x200, v0
	v_cmp_gt_u32_e64 s[14:15], s36, v10
                                        ; implicit-def: $vgpr9
	s_and_saveexec_b64 s[18:19], s[14:15]
	s_cbranch_execz .LBB11_21
; %bb.20:
	v_mov_b32_e32 v9, s45
	v_add_co_u32_e64 v12, s[16:17], s44, v10
	v_pk_mov_b32 v[10:11], s[38:39], s[38:39] op_sel:[0,1]
	v_addc_co_u32_e64 v9, s[16:17], 0, v9, s[16:17]
	v_mad_u64_u32 v[10:11], s[16:17], v12, s40, v[10:11]
	v_mov_b32_e32 v12, v11
	v_mad_u64_u32 v[12:13], s[16:17], v9, s40, v[12:13]
	v_mov_b32_e32 v11, v12
	global_load_ubyte v9, v[10:11], off
.LBB11_21:
	s_or_b64 exec, exec, s[18:19]
	v_or_b32_e32 v11, 0x240, v0
	v_cmp_gt_u32_e64 s[16:17], s36, v11
                                        ; implicit-def: $vgpr10
	s_and_saveexec_b64 s[20:21], s[16:17]
	s_cbranch_execz .LBB11_23
; %bb.22:
	v_mov_b32_e32 v10, s45
	v_add_co_u32_e64 v12, s[18:19], s44, v11
	v_addc_co_u32_e64 v13, s[18:19], 0, v10, s[18:19]
	v_pk_mov_b32 v[10:11], s[38:39], s[38:39] op_sel:[0,1]
	v_mad_u64_u32 v[10:11], s[18:19], v12, s40, v[10:11]
	v_mov_b32_e32 v12, v11
	v_mad_u64_u32 v[12:13], s[18:19], v13, s40, v[12:13]
	v_mov_b32_e32 v11, v12
	global_load_ubyte v10, v[10:11], off
.LBB11_23:
	s_or_b64 exec, exec, s[20:21]
	v_or_b32_e32 v12, 0x280, v0
	v_cmp_gt_u32_e64 s[18:19], s36, v12
                                        ; implicit-def: $vgpr11
	s_and_saveexec_b64 s[22:23], s[18:19]
	s_cbranch_execz .LBB11_25
; %bb.24:
	v_mov_b32_e32 v11, s45
	v_add_co_u32_e64 v14, s[20:21], s44, v12
	v_pk_mov_b32 v[12:13], s[38:39], s[38:39] op_sel:[0,1]
	v_addc_co_u32_e64 v11, s[20:21], 0, v11, s[20:21]
	v_mad_u64_u32 v[12:13], s[20:21], v14, s40, v[12:13]
	v_mov_b32_e32 v14, v13
	v_mad_u64_u32 v[14:15], s[20:21], v11, s40, v[14:15]
	v_mov_b32_e32 v13, v14
	global_load_ubyte v11, v[12:13], off
.LBB11_25:
	s_or_b64 exec, exec, s[22:23]
	v_or_b32_e32 v13, 0x2c0, v0
	v_cmp_gt_u32_e64 s[20:21], s36, v13
                                        ; implicit-def: $vgpr12
	s_and_saveexec_b64 s[24:25], s[20:21]
	s_cbranch_execz .LBB11_27
; %bb.26:
	v_mov_b32_e32 v12, s45
	v_add_co_u32_e64 v14, s[22:23], s44, v13
	v_addc_co_u32_e64 v15, s[22:23], 0, v12, s[22:23]
	v_pk_mov_b32 v[12:13], s[38:39], s[38:39] op_sel:[0,1]
	v_mad_u64_u32 v[12:13], s[22:23], v14, s40, v[12:13]
	v_mov_b32_e32 v14, v13
	v_mad_u64_u32 v[14:15], s[22:23], v15, s40, v[14:15]
	v_mov_b32_e32 v13, v14
	global_load_ubyte v12, v[12:13], off
.LBB11_27:
	s_or_b64 exec, exec, s[24:25]
	v_or_b32_e32 v14, 0x300, v0
	v_cmp_gt_u32_e64 s[22:23], s36, v14
                                        ; implicit-def: $vgpr13
	s_and_saveexec_b64 s[26:27], s[22:23]
	s_cbranch_execz .LBB11_29
; %bb.28:
	v_mov_b32_e32 v13, s45
	v_add_co_u32_e64 v16, s[24:25], s44, v14
	v_pk_mov_b32 v[14:15], s[38:39], s[38:39] op_sel:[0,1]
	v_addc_co_u32_e64 v13, s[24:25], 0, v13, s[24:25]
	v_mad_u64_u32 v[14:15], s[24:25], v16, s40, v[14:15]
	v_mov_b32_e32 v16, v15
	v_mad_u64_u32 v[16:17], s[24:25], v13, s40, v[16:17]
	v_mov_b32_e32 v15, v16
	global_load_ubyte v13, v[14:15], off
.LBB11_29:
	s_or_b64 exec, exec, s[26:27]
	v_or_b32_e32 v15, 0x340, v0
	v_cmp_gt_u32_e64 s[24:25], s36, v15
                                        ; implicit-def: $vgpr14
	s_and_saveexec_b64 s[28:29], s[24:25]
	s_cbranch_execz .LBB11_31
; %bb.30:
	v_mov_b32_e32 v14, s45
	v_add_co_u32_e64 v16, s[26:27], s44, v15
	v_addc_co_u32_e64 v17, s[26:27], 0, v14, s[26:27]
	v_pk_mov_b32 v[14:15], s[38:39], s[38:39] op_sel:[0,1]
	v_mad_u64_u32 v[14:15], s[26:27], v16, s40, v[14:15]
	v_mov_b32_e32 v16, v15
	v_mad_u64_u32 v[16:17], s[26:27], v17, s40, v[16:17]
	v_mov_b32_e32 v15, v16
	global_load_ubyte v14, v[14:15], off
.LBB11_31:
	s_or_b64 exec, exec, s[28:29]
	v_or_b32_e32 v16, 0x380, v0
	v_cmp_gt_u32_e64 s[26:27], s36, v16
                                        ; implicit-def: $vgpr15
	s_and_saveexec_b64 s[30:31], s[26:27]
	s_cbranch_execz .LBB11_33
; %bb.32:
	v_mov_b32_e32 v15, s45
	v_add_co_u32_e64 v18, s[28:29], s44, v16
	v_pk_mov_b32 v[16:17], s[38:39], s[38:39] op_sel:[0,1]
	v_addc_co_u32_e64 v15, s[28:29], 0, v15, s[28:29]
	v_mad_u64_u32 v[16:17], s[28:29], v18, s40, v[16:17]
	v_mov_b32_e32 v18, v17
	v_mad_u64_u32 v[18:19], s[28:29], v15, s40, v[18:19]
	v_mov_b32_e32 v17, v18
	global_load_ubyte v15, v[16:17], off
.LBB11_33:
	s_or_b64 exec, exec, s[30:31]
	v_or_b32_e32 v17, 0x3c0, v0
	v_cmp_gt_u32_e64 s[28:29], s36, v17
                                        ; implicit-def: $vgpr16
	s_and_saveexec_b64 s[36:37], s[28:29]
	s_cbranch_execz .LBB11_35
; %bb.34:
	v_mov_b32_e32 v16, s45
	v_add_co_u32_e64 v18, s[30:31], s44, v17
	v_addc_co_u32_e64 v19, s[30:31], 0, v16, s[30:31]
	v_pk_mov_b32 v[16:17], s[38:39], s[38:39] op_sel:[0,1]
	v_mad_u64_u32 v[16:17], s[30:31], v18, s40, v[16:17]
	v_mov_b32_e32 v18, v17
	v_mad_u64_u32 v[18:19], s[30:31], v19, s40, v[18:19]
	v_mov_b32_e32 v17, v18
	global_load_ubyte v16, v[16:17], off
.LBB11_35:
	s_or_b64 exec, exec, s[36:37]
	s_waitcnt vmcnt(0)
	v_lshlrev_b16_e32 v2, 8, v2
	v_or_b32_sdwa v1, v1, v2 dst_sel:DWORD dst_unused:UNUSED_PAD src0_sel:BYTE_0 src1_sel:DWORD
	v_lshlrev_b16_e32 v2, 8, v4
	v_or_b32_sdwa v2, v3, v2 dst_sel:WORD_1 dst_unused:UNUSED_PAD src0_sel:BYTE_0 src1_sel:DWORD
	v_or_b32_sdwa v17, v1, v2 dst_sel:DWORD dst_unused:UNUSED_PAD src0_sel:WORD_0 src1_sel:DWORD
	v_lshlrev_b16_e32 v1, 8, v6
	v_lshlrev_b16_e32 v2, 8, v8
	v_or_b32_sdwa v1, v5, v1 dst_sel:DWORD dst_unused:UNUSED_PAD src0_sel:BYTE_0 src1_sel:DWORD
	v_or_b32_sdwa v2, v7, v2 dst_sel:WORD_1 dst_unused:UNUSED_PAD src0_sel:BYTE_0 src1_sel:DWORD
	v_or_b32_sdwa v5, v1, v2 dst_sel:DWORD dst_unused:UNUSED_PAD src0_sel:WORD_0 src1_sel:DWORD
	v_lshlrev_b16_e32 v1, 8, v10
	v_lshlrev_b16_e32 v2, 8, v12
	v_or_b32_sdwa v1, v9, v1 dst_sel:DWORD dst_unused:UNUSED_PAD src0_sel:BYTE_0 src1_sel:DWORD
	v_or_b32_sdwa v2, v11, v2 dst_sel:WORD_1 dst_unused:UNUSED_PAD src0_sel:BYTE_0 src1_sel:DWORD
	v_or_b32_sdwa v4, v1, v2 dst_sel:DWORD dst_unused:UNUSED_PAD src0_sel:WORD_0 src1_sel:DWORD
	v_lshlrev_b16_e32 v1, 8, v14
	v_lshlrev_b16_e32 v2, 8, v16
	s_add_u32 s30, s33, s43
	v_or_b32_sdwa v1, v13, v1 dst_sel:DWORD dst_unused:UNUSED_PAD src0_sel:BYTE_0 src1_sel:DWORD
	v_or_b32_sdwa v2, v15, v2 dst_sel:WORD_1 dst_unused:UNUSED_PAD src0_sel:BYTE_0 src1_sel:DWORD
	s_addc_u32 s31, s42, 0
	v_or_b32_sdwa v1, v1, v2 dst_sel:DWORD dst_unused:UNUSED_PAD src0_sel:WORD_0 src1_sel:DWORD
	v_mov_b32_e32 v3, s31
	v_add_co_u32_e64 v2, s[30:31], s30, v0
	v_addc_co_u32_e64 v3, s[30:31], 0, v3, s[30:31]
	s_and_saveexec_b64 s[30:31], vcc
	s_cbranch_execz .LBB11_37
; %bb.36:
	global_store_byte v[2:3], v17, off
.LBB11_37:
	s_or_b64 exec, exec, s[30:31]
	s_and_saveexec_b64 s[30:31], s[0:1]
	s_cbranch_execz .LBB11_39
; %bb.38:
	v_lshrrev_b32_e32 v0, 8, v17
	global_store_byte v[2:3], v0, off offset:64
.LBB11_39:
	s_or_b64 exec, exec, s[30:31]
	s_mov_b32 s0, 0x7060104
	v_perm_b32 v0, v17, v17, s0
	v_cndmask_b32_e64 v6, v0, v17, s[2:3]
	s_and_saveexec_b64 s[0:1], s[2:3]
	s_cbranch_execz .LBB11_41
; %bb.40:
	global_store_byte_d16_hi v[2:3], v6, off offset:128
.LBB11_41:
	s_or_b64 exec, exec, s[0:1]
	s_mov_b32 s0, 0x7020504
	v_perm_b32 v0, v0, v6, s0
	v_cndmask_b32_e64 v0, v0, v17, s[4:5]
	s_and_saveexec_b64 s[0:1], s[4:5]
	s_cbranch_execz .LBB11_43
; %bb.42:
	v_lshrrev_b32_e32 v0, 24, v0
	global_store_byte v[2:3], v0, off offset:192
.LBB11_43:
	s_or_b64 exec, exec, s[0:1]
	s_and_saveexec_b64 s[0:1], s[6:7]
	s_cbranch_execz .LBB11_45
; %bb.44:
	global_store_byte v[2:3], v5, off offset:256
.LBB11_45:
	s_or_b64 exec, exec, s[0:1]
	s_mov_b32 s0, 0x3020104
	v_perm_b32 v0, v5, v5, s0
	v_cndmask_b32_e64 v6, v0, v5, s[8:9]
	s_and_saveexec_b64 s[0:1], s[8:9]
	s_cbranch_execz .LBB11_47
; %bb.46:
	v_lshrrev_b32_e32 v7, 8, v6
	global_store_byte v[2:3], v7, off offset:320
.LBB11_47:
	s_or_b64 exec, exec, s[0:1]
	s_mov_b32 s0, 0x7060104
	v_perm_b32 v0, v0, v6, s0
	v_cndmask_b32_e64 v6, v0, v5, s[10:11]
	s_and_saveexec_b64 s[0:1], s[10:11]
	s_cbranch_execz .LBB11_49
; %bb.48:
	global_store_byte_d16_hi v[2:3], v6, off offset:384
.LBB11_49:
	s_or_b64 exec, exec, s[0:1]
	s_mov_b32 s0, 0x7020504
	v_perm_b32 v0, v0, v6, s0
	v_cndmask_b32_e64 v0, v0, v5, s[12:13]
	s_and_saveexec_b64 s[0:1], s[12:13]
	s_cbranch_execz .LBB11_51
; %bb.50:
	v_lshrrev_b32_e32 v0, 24, v0
	global_store_byte v[2:3], v0, off offset:448
.LBB11_51:
	s_or_b64 exec, exec, s[0:1]
	s_and_saveexec_b64 s[0:1], s[14:15]
	s_cbranch_execz .LBB11_53
; %bb.52:
	global_store_byte v[2:3], v4, off offset:512
.LBB11_53:
	s_or_b64 exec, exec, s[0:1]
	s_mov_b32 s0, 0x3020104
	v_perm_b32 v0, v4, v4, s0
	v_cndmask_b32_e64 v5, v0, v4, s[16:17]
	s_and_saveexec_b64 s[0:1], s[16:17]
	s_cbranch_execz .LBB11_55
; %bb.54:
	v_lshrrev_b32_e32 v6, 8, v5
	global_store_byte v[2:3], v6, off offset:576
.LBB11_55:
	s_or_b64 exec, exec, s[0:1]
	s_mov_b32 s0, 0x7060104
	v_perm_b32 v0, v0, v5, s0
	v_cndmask_b32_e64 v5, v0, v4, s[18:19]
	s_and_saveexec_b64 s[0:1], s[18:19]
	s_cbranch_execz .LBB11_57
; %bb.56:
	global_store_byte_d16_hi v[2:3], v5, off offset:640
.LBB11_57:
	s_or_b64 exec, exec, s[0:1]
	s_mov_b32 s0, 0x7020504
	v_perm_b32 v0, v0, v5, s0
	v_cndmask_b32_e64 v0, v0, v4, s[20:21]
	s_and_saveexec_b64 s[0:1], s[20:21]
	s_cbranch_execz .LBB11_59
; %bb.58:
	v_lshrrev_b32_e32 v0, 24, v0
	global_store_byte v[2:3], v0, off offset:704
.LBB11_59:
	s_or_b64 exec, exec, s[0:1]
	s_and_saveexec_b64 s[0:1], s[22:23]
	s_cbranch_execz .LBB11_61
; %bb.60:
	global_store_byte v[2:3], v1, off offset:768
.LBB11_61:
	s_or_b64 exec, exec, s[0:1]
	s_mov_b32 s0, 0x3020104
	v_perm_b32 v0, v1, v1, s0
	v_cndmask_b32_e64 v4, v0, v1, s[24:25]
	s_and_saveexec_b64 s[0:1], s[24:25]
	s_cbranch_execz .LBB11_63
; %bb.62:
	v_lshrrev_b32_e32 v5, 8, v4
	global_store_byte v[2:3], v5, off offset:832
.LBB11_63:
	s_or_b64 exec, exec, s[0:1]
	s_mov_b32 s0, 0x7060104
	v_perm_b32 v0, v0, v4, s0
	s_and_saveexec_b64 s[0:1], s[26:27]
	s_cbranch_execz .LBB11_65
; %bb.64:
	v_cndmask_b32_e64 v4, v0, v1, s[26:27]
	global_store_byte_d16_hi v[2:3], v4, off offset:896
.LBB11_65:
	s_or_b64 exec, exec, s[0:1]
                                        ; implicit-def: $vgpr4
	s_and_saveexec_b64 s[0:1], s[28:29]
; %bb.66:
	v_cndmask_b32_e64 v0, v0, v1, s[28:29]
	v_lshrrev_b32_e32 v4, 24, v0
	s_or_b64 s[34:35], s[34:35], exec
; %bb.67:
	s_or_b64 exec, exec, s[0:1]
.LBB11_68:
	s_and_saveexec_b64 s[0:1], s[34:35]
	s_cbranch_execnz .LBB11_70
; %bb.69:
	s_endpgm
.LBB11_70:
	s_waitcnt vmcnt(15)
	global_store_byte v[2:3], v4, off offset:960
	s_endpgm
	.section	.rodata,"a",@progbits
	.p2align	6, 0x0
	.amdhsa_kernel _ZN7rocprim17ROCPRIM_400000_NS6detail17trampoline_kernelINS0_14default_configENS1_25transform_config_selectorIaLb0EEEZNS1_14transform_implILb0ES3_S5_NS0_18transform_iteratorINS0_17counting_iteratorImlEEZNS1_24adjacent_difference_implIS3_Lb1ELb0EPaSB_N6thrust23THRUST_200600_302600_NS5minusIaEEEE10hipError_tPvRmT2_T3_mT4_P12ihipStream_tbEUlmE_aEESB_NS0_8identityIvEEEESG_SJ_SK_mSL_SN_bEUlT_E_NS1_11comp_targetILNS1_3genE4ELNS1_11target_archE910ELNS1_3gpuE8ELNS1_3repE0EEENS1_30default_config_static_selectorELNS0_4arch9wavefront6targetE1EEEvT1_
		.amdhsa_group_segment_fixed_size 0
		.amdhsa_private_segment_fixed_size 0
		.amdhsa_kernarg_size 312
		.amdhsa_user_sgpr_count 6
		.amdhsa_user_sgpr_private_segment_buffer 1
		.amdhsa_user_sgpr_dispatch_ptr 0
		.amdhsa_user_sgpr_queue_ptr 0
		.amdhsa_user_sgpr_kernarg_segment_ptr 1
		.amdhsa_user_sgpr_dispatch_id 0
		.amdhsa_user_sgpr_flat_scratch_init 0
		.amdhsa_user_sgpr_kernarg_preload_length 0
		.amdhsa_user_sgpr_kernarg_preload_offset 0
		.amdhsa_user_sgpr_private_segment_size 0
		.amdhsa_uses_dynamic_stack 0
		.amdhsa_system_sgpr_private_segment_wavefront_offset 0
		.amdhsa_system_sgpr_workgroup_id_x 1
		.amdhsa_system_sgpr_workgroup_id_y 0
		.amdhsa_system_sgpr_workgroup_id_z 0
		.amdhsa_system_sgpr_workgroup_info 0
		.amdhsa_system_vgpr_workitem_id 0
		.amdhsa_next_free_vgpr 20
		.amdhsa_next_free_sgpr 46
		.amdhsa_accum_offset 20
		.amdhsa_reserve_vcc 1
		.amdhsa_reserve_flat_scratch 0
		.amdhsa_float_round_mode_32 0
		.amdhsa_float_round_mode_16_64 0
		.amdhsa_float_denorm_mode_32 3
		.amdhsa_float_denorm_mode_16_64 3
		.amdhsa_dx10_clamp 1
		.amdhsa_ieee_mode 1
		.amdhsa_fp16_overflow 0
		.amdhsa_tg_split 0
		.amdhsa_exception_fp_ieee_invalid_op 0
		.amdhsa_exception_fp_denorm_src 0
		.amdhsa_exception_fp_ieee_div_zero 0
		.amdhsa_exception_fp_ieee_overflow 0
		.amdhsa_exception_fp_ieee_underflow 0
		.amdhsa_exception_fp_ieee_inexact 0
		.amdhsa_exception_int_div_zero 0
	.end_amdhsa_kernel
	.section	.text._ZN7rocprim17ROCPRIM_400000_NS6detail17trampoline_kernelINS0_14default_configENS1_25transform_config_selectorIaLb0EEEZNS1_14transform_implILb0ES3_S5_NS0_18transform_iteratorINS0_17counting_iteratorImlEEZNS1_24adjacent_difference_implIS3_Lb1ELb0EPaSB_N6thrust23THRUST_200600_302600_NS5minusIaEEEE10hipError_tPvRmT2_T3_mT4_P12ihipStream_tbEUlmE_aEESB_NS0_8identityIvEEEESG_SJ_SK_mSL_SN_bEUlT_E_NS1_11comp_targetILNS1_3genE4ELNS1_11target_archE910ELNS1_3gpuE8ELNS1_3repE0EEENS1_30default_config_static_selectorELNS0_4arch9wavefront6targetE1EEEvT1_,"axG",@progbits,_ZN7rocprim17ROCPRIM_400000_NS6detail17trampoline_kernelINS0_14default_configENS1_25transform_config_selectorIaLb0EEEZNS1_14transform_implILb0ES3_S5_NS0_18transform_iteratorINS0_17counting_iteratorImlEEZNS1_24adjacent_difference_implIS3_Lb1ELb0EPaSB_N6thrust23THRUST_200600_302600_NS5minusIaEEEE10hipError_tPvRmT2_T3_mT4_P12ihipStream_tbEUlmE_aEESB_NS0_8identityIvEEEESG_SJ_SK_mSL_SN_bEUlT_E_NS1_11comp_targetILNS1_3genE4ELNS1_11target_archE910ELNS1_3gpuE8ELNS1_3repE0EEENS1_30default_config_static_selectorELNS0_4arch9wavefront6targetE1EEEvT1_,comdat
.Lfunc_end11:
	.size	_ZN7rocprim17ROCPRIM_400000_NS6detail17trampoline_kernelINS0_14default_configENS1_25transform_config_selectorIaLb0EEEZNS1_14transform_implILb0ES3_S5_NS0_18transform_iteratorINS0_17counting_iteratorImlEEZNS1_24adjacent_difference_implIS3_Lb1ELb0EPaSB_N6thrust23THRUST_200600_302600_NS5minusIaEEEE10hipError_tPvRmT2_T3_mT4_P12ihipStream_tbEUlmE_aEESB_NS0_8identityIvEEEESG_SJ_SK_mSL_SN_bEUlT_E_NS1_11comp_targetILNS1_3genE4ELNS1_11target_archE910ELNS1_3gpuE8ELNS1_3repE0EEENS1_30default_config_static_selectorELNS0_4arch9wavefront6targetE1EEEvT1_, .Lfunc_end11-_ZN7rocprim17ROCPRIM_400000_NS6detail17trampoline_kernelINS0_14default_configENS1_25transform_config_selectorIaLb0EEEZNS1_14transform_implILb0ES3_S5_NS0_18transform_iteratorINS0_17counting_iteratorImlEEZNS1_24adjacent_difference_implIS3_Lb1ELb0EPaSB_N6thrust23THRUST_200600_302600_NS5minusIaEEEE10hipError_tPvRmT2_T3_mT4_P12ihipStream_tbEUlmE_aEESB_NS0_8identityIvEEEESG_SJ_SK_mSL_SN_bEUlT_E_NS1_11comp_targetILNS1_3genE4ELNS1_11target_archE910ELNS1_3gpuE8ELNS1_3repE0EEENS1_30default_config_static_selectorELNS0_4arch9wavefront6targetE1EEEvT1_
                                        ; -- End function
	.section	.AMDGPU.csdata,"",@progbits
; Kernel info:
; codeLenInByte = 2796
; NumSgprs: 50
; NumVgprs: 20
; NumAgprs: 0
; TotalNumVgprs: 20
; ScratchSize: 0
; MemoryBound: 0
; FloatMode: 240
; IeeeMode: 1
; LDSByteSize: 0 bytes/workgroup (compile time only)
; SGPRBlocks: 6
; VGPRBlocks: 2
; NumSGPRsForWavesPerEU: 50
; NumVGPRsForWavesPerEU: 20
; AccumOffset: 20
; Occupancy: 8
; WaveLimiterHint : 0
; COMPUTE_PGM_RSRC2:SCRATCH_EN: 0
; COMPUTE_PGM_RSRC2:USER_SGPR: 6
; COMPUTE_PGM_RSRC2:TRAP_HANDLER: 0
; COMPUTE_PGM_RSRC2:TGID_X_EN: 1
; COMPUTE_PGM_RSRC2:TGID_Y_EN: 0
; COMPUTE_PGM_RSRC2:TGID_Z_EN: 0
; COMPUTE_PGM_RSRC2:TIDIG_COMP_CNT: 0
; COMPUTE_PGM_RSRC3_GFX90A:ACCUM_OFFSET: 4
; COMPUTE_PGM_RSRC3_GFX90A:TG_SPLIT: 0
	.section	.text._ZN7rocprim17ROCPRIM_400000_NS6detail17trampoline_kernelINS0_14default_configENS1_25transform_config_selectorIaLb0EEEZNS1_14transform_implILb0ES3_S5_NS0_18transform_iteratorINS0_17counting_iteratorImlEEZNS1_24adjacent_difference_implIS3_Lb1ELb0EPaSB_N6thrust23THRUST_200600_302600_NS5minusIaEEEE10hipError_tPvRmT2_T3_mT4_P12ihipStream_tbEUlmE_aEESB_NS0_8identityIvEEEESG_SJ_SK_mSL_SN_bEUlT_E_NS1_11comp_targetILNS1_3genE3ELNS1_11target_archE908ELNS1_3gpuE7ELNS1_3repE0EEENS1_30default_config_static_selectorELNS0_4arch9wavefront6targetE1EEEvT1_,"axG",@progbits,_ZN7rocprim17ROCPRIM_400000_NS6detail17trampoline_kernelINS0_14default_configENS1_25transform_config_selectorIaLb0EEEZNS1_14transform_implILb0ES3_S5_NS0_18transform_iteratorINS0_17counting_iteratorImlEEZNS1_24adjacent_difference_implIS3_Lb1ELb0EPaSB_N6thrust23THRUST_200600_302600_NS5minusIaEEEE10hipError_tPvRmT2_T3_mT4_P12ihipStream_tbEUlmE_aEESB_NS0_8identityIvEEEESG_SJ_SK_mSL_SN_bEUlT_E_NS1_11comp_targetILNS1_3genE3ELNS1_11target_archE908ELNS1_3gpuE7ELNS1_3repE0EEENS1_30default_config_static_selectorELNS0_4arch9wavefront6targetE1EEEvT1_,comdat
	.protected	_ZN7rocprim17ROCPRIM_400000_NS6detail17trampoline_kernelINS0_14default_configENS1_25transform_config_selectorIaLb0EEEZNS1_14transform_implILb0ES3_S5_NS0_18transform_iteratorINS0_17counting_iteratorImlEEZNS1_24adjacent_difference_implIS3_Lb1ELb0EPaSB_N6thrust23THRUST_200600_302600_NS5minusIaEEEE10hipError_tPvRmT2_T3_mT4_P12ihipStream_tbEUlmE_aEESB_NS0_8identityIvEEEESG_SJ_SK_mSL_SN_bEUlT_E_NS1_11comp_targetILNS1_3genE3ELNS1_11target_archE908ELNS1_3gpuE7ELNS1_3repE0EEENS1_30default_config_static_selectorELNS0_4arch9wavefront6targetE1EEEvT1_ ; -- Begin function _ZN7rocprim17ROCPRIM_400000_NS6detail17trampoline_kernelINS0_14default_configENS1_25transform_config_selectorIaLb0EEEZNS1_14transform_implILb0ES3_S5_NS0_18transform_iteratorINS0_17counting_iteratorImlEEZNS1_24adjacent_difference_implIS3_Lb1ELb0EPaSB_N6thrust23THRUST_200600_302600_NS5minusIaEEEE10hipError_tPvRmT2_T3_mT4_P12ihipStream_tbEUlmE_aEESB_NS0_8identityIvEEEESG_SJ_SK_mSL_SN_bEUlT_E_NS1_11comp_targetILNS1_3genE3ELNS1_11target_archE908ELNS1_3gpuE7ELNS1_3repE0EEENS1_30default_config_static_selectorELNS0_4arch9wavefront6targetE1EEEvT1_
	.globl	_ZN7rocprim17ROCPRIM_400000_NS6detail17trampoline_kernelINS0_14default_configENS1_25transform_config_selectorIaLb0EEEZNS1_14transform_implILb0ES3_S5_NS0_18transform_iteratorINS0_17counting_iteratorImlEEZNS1_24adjacent_difference_implIS3_Lb1ELb0EPaSB_N6thrust23THRUST_200600_302600_NS5minusIaEEEE10hipError_tPvRmT2_T3_mT4_P12ihipStream_tbEUlmE_aEESB_NS0_8identityIvEEEESG_SJ_SK_mSL_SN_bEUlT_E_NS1_11comp_targetILNS1_3genE3ELNS1_11target_archE908ELNS1_3gpuE7ELNS1_3repE0EEENS1_30default_config_static_selectorELNS0_4arch9wavefront6targetE1EEEvT1_
	.p2align	8
	.type	_ZN7rocprim17ROCPRIM_400000_NS6detail17trampoline_kernelINS0_14default_configENS1_25transform_config_selectorIaLb0EEEZNS1_14transform_implILb0ES3_S5_NS0_18transform_iteratorINS0_17counting_iteratorImlEEZNS1_24adjacent_difference_implIS3_Lb1ELb0EPaSB_N6thrust23THRUST_200600_302600_NS5minusIaEEEE10hipError_tPvRmT2_T3_mT4_P12ihipStream_tbEUlmE_aEESB_NS0_8identityIvEEEESG_SJ_SK_mSL_SN_bEUlT_E_NS1_11comp_targetILNS1_3genE3ELNS1_11target_archE908ELNS1_3gpuE7ELNS1_3repE0EEENS1_30default_config_static_selectorELNS0_4arch9wavefront6targetE1EEEvT1_,@function
_ZN7rocprim17ROCPRIM_400000_NS6detail17trampoline_kernelINS0_14default_configENS1_25transform_config_selectorIaLb0EEEZNS1_14transform_implILb0ES3_S5_NS0_18transform_iteratorINS0_17counting_iteratorImlEEZNS1_24adjacent_difference_implIS3_Lb1ELb0EPaSB_N6thrust23THRUST_200600_302600_NS5minusIaEEEE10hipError_tPvRmT2_T3_mT4_P12ihipStream_tbEUlmE_aEESB_NS0_8identityIvEEEESG_SJ_SK_mSL_SN_bEUlT_E_NS1_11comp_targetILNS1_3genE3ELNS1_11target_archE908ELNS1_3gpuE7ELNS1_3repE0EEENS1_30default_config_static_selectorELNS0_4arch9wavefront6targetE1EEEvT1_: ; @_ZN7rocprim17ROCPRIM_400000_NS6detail17trampoline_kernelINS0_14default_configENS1_25transform_config_selectorIaLb0EEEZNS1_14transform_implILb0ES3_S5_NS0_18transform_iteratorINS0_17counting_iteratorImlEEZNS1_24adjacent_difference_implIS3_Lb1ELb0EPaSB_N6thrust23THRUST_200600_302600_NS5minusIaEEEE10hipError_tPvRmT2_T3_mT4_P12ihipStream_tbEUlmE_aEESB_NS0_8identityIvEEEESG_SJ_SK_mSL_SN_bEUlT_E_NS1_11comp_targetILNS1_3genE3ELNS1_11target_archE908ELNS1_3gpuE7ELNS1_3repE0EEENS1_30default_config_static_selectorELNS0_4arch9wavefront6targetE1EEEvT1_
; %bb.0:
	.section	.rodata,"a",@progbits
	.p2align	6, 0x0
	.amdhsa_kernel _ZN7rocprim17ROCPRIM_400000_NS6detail17trampoline_kernelINS0_14default_configENS1_25transform_config_selectorIaLb0EEEZNS1_14transform_implILb0ES3_S5_NS0_18transform_iteratorINS0_17counting_iteratorImlEEZNS1_24adjacent_difference_implIS3_Lb1ELb0EPaSB_N6thrust23THRUST_200600_302600_NS5minusIaEEEE10hipError_tPvRmT2_T3_mT4_P12ihipStream_tbEUlmE_aEESB_NS0_8identityIvEEEESG_SJ_SK_mSL_SN_bEUlT_E_NS1_11comp_targetILNS1_3genE3ELNS1_11target_archE908ELNS1_3gpuE7ELNS1_3repE0EEENS1_30default_config_static_selectorELNS0_4arch9wavefront6targetE1EEEvT1_
		.amdhsa_group_segment_fixed_size 0
		.amdhsa_private_segment_fixed_size 0
		.amdhsa_kernarg_size 56
		.amdhsa_user_sgpr_count 6
		.amdhsa_user_sgpr_private_segment_buffer 1
		.amdhsa_user_sgpr_dispatch_ptr 0
		.amdhsa_user_sgpr_queue_ptr 0
		.amdhsa_user_sgpr_kernarg_segment_ptr 1
		.amdhsa_user_sgpr_dispatch_id 0
		.amdhsa_user_sgpr_flat_scratch_init 0
		.amdhsa_user_sgpr_kernarg_preload_length 0
		.amdhsa_user_sgpr_kernarg_preload_offset 0
		.amdhsa_user_sgpr_private_segment_size 0
		.amdhsa_uses_dynamic_stack 0
		.amdhsa_system_sgpr_private_segment_wavefront_offset 0
		.amdhsa_system_sgpr_workgroup_id_x 1
		.amdhsa_system_sgpr_workgroup_id_y 0
		.amdhsa_system_sgpr_workgroup_id_z 0
		.amdhsa_system_sgpr_workgroup_info 0
		.amdhsa_system_vgpr_workitem_id 0
		.amdhsa_next_free_vgpr 1
		.amdhsa_next_free_sgpr 0
		.amdhsa_accum_offset 4
		.amdhsa_reserve_vcc 0
		.amdhsa_reserve_flat_scratch 0
		.amdhsa_float_round_mode_32 0
		.amdhsa_float_round_mode_16_64 0
		.amdhsa_float_denorm_mode_32 3
		.amdhsa_float_denorm_mode_16_64 3
		.amdhsa_dx10_clamp 1
		.amdhsa_ieee_mode 1
		.amdhsa_fp16_overflow 0
		.amdhsa_tg_split 0
		.amdhsa_exception_fp_ieee_invalid_op 0
		.amdhsa_exception_fp_denorm_src 0
		.amdhsa_exception_fp_ieee_div_zero 0
		.amdhsa_exception_fp_ieee_overflow 0
		.amdhsa_exception_fp_ieee_underflow 0
		.amdhsa_exception_fp_ieee_inexact 0
		.amdhsa_exception_int_div_zero 0
	.end_amdhsa_kernel
	.section	.text._ZN7rocprim17ROCPRIM_400000_NS6detail17trampoline_kernelINS0_14default_configENS1_25transform_config_selectorIaLb0EEEZNS1_14transform_implILb0ES3_S5_NS0_18transform_iteratorINS0_17counting_iteratorImlEEZNS1_24adjacent_difference_implIS3_Lb1ELb0EPaSB_N6thrust23THRUST_200600_302600_NS5minusIaEEEE10hipError_tPvRmT2_T3_mT4_P12ihipStream_tbEUlmE_aEESB_NS0_8identityIvEEEESG_SJ_SK_mSL_SN_bEUlT_E_NS1_11comp_targetILNS1_3genE3ELNS1_11target_archE908ELNS1_3gpuE7ELNS1_3repE0EEENS1_30default_config_static_selectorELNS0_4arch9wavefront6targetE1EEEvT1_,"axG",@progbits,_ZN7rocprim17ROCPRIM_400000_NS6detail17trampoline_kernelINS0_14default_configENS1_25transform_config_selectorIaLb0EEEZNS1_14transform_implILb0ES3_S5_NS0_18transform_iteratorINS0_17counting_iteratorImlEEZNS1_24adjacent_difference_implIS3_Lb1ELb0EPaSB_N6thrust23THRUST_200600_302600_NS5minusIaEEEE10hipError_tPvRmT2_T3_mT4_P12ihipStream_tbEUlmE_aEESB_NS0_8identityIvEEEESG_SJ_SK_mSL_SN_bEUlT_E_NS1_11comp_targetILNS1_3genE3ELNS1_11target_archE908ELNS1_3gpuE7ELNS1_3repE0EEENS1_30default_config_static_selectorELNS0_4arch9wavefront6targetE1EEEvT1_,comdat
.Lfunc_end12:
	.size	_ZN7rocprim17ROCPRIM_400000_NS6detail17trampoline_kernelINS0_14default_configENS1_25transform_config_selectorIaLb0EEEZNS1_14transform_implILb0ES3_S5_NS0_18transform_iteratorINS0_17counting_iteratorImlEEZNS1_24adjacent_difference_implIS3_Lb1ELb0EPaSB_N6thrust23THRUST_200600_302600_NS5minusIaEEEE10hipError_tPvRmT2_T3_mT4_P12ihipStream_tbEUlmE_aEESB_NS0_8identityIvEEEESG_SJ_SK_mSL_SN_bEUlT_E_NS1_11comp_targetILNS1_3genE3ELNS1_11target_archE908ELNS1_3gpuE7ELNS1_3repE0EEENS1_30default_config_static_selectorELNS0_4arch9wavefront6targetE1EEEvT1_, .Lfunc_end12-_ZN7rocprim17ROCPRIM_400000_NS6detail17trampoline_kernelINS0_14default_configENS1_25transform_config_selectorIaLb0EEEZNS1_14transform_implILb0ES3_S5_NS0_18transform_iteratorINS0_17counting_iteratorImlEEZNS1_24adjacent_difference_implIS3_Lb1ELb0EPaSB_N6thrust23THRUST_200600_302600_NS5minusIaEEEE10hipError_tPvRmT2_T3_mT4_P12ihipStream_tbEUlmE_aEESB_NS0_8identityIvEEEESG_SJ_SK_mSL_SN_bEUlT_E_NS1_11comp_targetILNS1_3genE3ELNS1_11target_archE908ELNS1_3gpuE7ELNS1_3repE0EEENS1_30default_config_static_selectorELNS0_4arch9wavefront6targetE1EEEvT1_
                                        ; -- End function
	.section	.AMDGPU.csdata,"",@progbits
; Kernel info:
; codeLenInByte = 0
; NumSgprs: 4
; NumVgprs: 0
; NumAgprs: 0
; TotalNumVgprs: 0
; ScratchSize: 0
; MemoryBound: 0
; FloatMode: 240
; IeeeMode: 1
; LDSByteSize: 0 bytes/workgroup (compile time only)
; SGPRBlocks: 0
; VGPRBlocks: 0
; NumSGPRsForWavesPerEU: 4
; NumVGPRsForWavesPerEU: 1
; AccumOffset: 4
; Occupancy: 8
; WaveLimiterHint : 0
; COMPUTE_PGM_RSRC2:SCRATCH_EN: 0
; COMPUTE_PGM_RSRC2:USER_SGPR: 6
; COMPUTE_PGM_RSRC2:TRAP_HANDLER: 0
; COMPUTE_PGM_RSRC2:TGID_X_EN: 1
; COMPUTE_PGM_RSRC2:TGID_Y_EN: 0
; COMPUTE_PGM_RSRC2:TGID_Z_EN: 0
; COMPUTE_PGM_RSRC2:TIDIG_COMP_CNT: 0
; COMPUTE_PGM_RSRC3_GFX90A:ACCUM_OFFSET: 0
; COMPUTE_PGM_RSRC3_GFX90A:TG_SPLIT: 0
	.section	.text._ZN7rocprim17ROCPRIM_400000_NS6detail17trampoline_kernelINS0_14default_configENS1_25transform_config_selectorIaLb0EEEZNS1_14transform_implILb0ES3_S5_NS0_18transform_iteratorINS0_17counting_iteratorImlEEZNS1_24adjacent_difference_implIS3_Lb1ELb0EPaSB_N6thrust23THRUST_200600_302600_NS5minusIaEEEE10hipError_tPvRmT2_T3_mT4_P12ihipStream_tbEUlmE_aEESB_NS0_8identityIvEEEESG_SJ_SK_mSL_SN_bEUlT_E_NS1_11comp_targetILNS1_3genE2ELNS1_11target_archE906ELNS1_3gpuE6ELNS1_3repE0EEENS1_30default_config_static_selectorELNS0_4arch9wavefront6targetE1EEEvT1_,"axG",@progbits,_ZN7rocprim17ROCPRIM_400000_NS6detail17trampoline_kernelINS0_14default_configENS1_25transform_config_selectorIaLb0EEEZNS1_14transform_implILb0ES3_S5_NS0_18transform_iteratorINS0_17counting_iteratorImlEEZNS1_24adjacent_difference_implIS3_Lb1ELb0EPaSB_N6thrust23THRUST_200600_302600_NS5minusIaEEEE10hipError_tPvRmT2_T3_mT4_P12ihipStream_tbEUlmE_aEESB_NS0_8identityIvEEEESG_SJ_SK_mSL_SN_bEUlT_E_NS1_11comp_targetILNS1_3genE2ELNS1_11target_archE906ELNS1_3gpuE6ELNS1_3repE0EEENS1_30default_config_static_selectorELNS0_4arch9wavefront6targetE1EEEvT1_,comdat
	.protected	_ZN7rocprim17ROCPRIM_400000_NS6detail17trampoline_kernelINS0_14default_configENS1_25transform_config_selectorIaLb0EEEZNS1_14transform_implILb0ES3_S5_NS0_18transform_iteratorINS0_17counting_iteratorImlEEZNS1_24adjacent_difference_implIS3_Lb1ELb0EPaSB_N6thrust23THRUST_200600_302600_NS5minusIaEEEE10hipError_tPvRmT2_T3_mT4_P12ihipStream_tbEUlmE_aEESB_NS0_8identityIvEEEESG_SJ_SK_mSL_SN_bEUlT_E_NS1_11comp_targetILNS1_3genE2ELNS1_11target_archE906ELNS1_3gpuE6ELNS1_3repE0EEENS1_30default_config_static_selectorELNS0_4arch9wavefront6targetE1EEEvT1_ ; -- Begin function _ZN7rocprim17ROCPRIM_400000_NS6detail17trampoline_kernelINS0_14default_configENS1_25transform_config_selectorIaLb0EEEZNS1_14transform_implILb0ES3_S5_NS0_18transform_iteratorINS0_17counting_iteratorImlEEZNS1_24adjacent_difference_implIS3_Lb1ELb0EPaSB_N6thrust23THRUST_200600_302600_NS5minusIaEEEE10hipError_tPvRmT2_T3_mT4_P12ihipStream_tbEUlmE_aEESB_NS0_8identityIvEEEESG_SJ_SK_mSL_SN_bEUlT_E_NS1_11comp_targetILNS1_3genE2ELNS1_11target_archE906ELNS1_3gpuE6ELNS1_3repE0EEENS1_30default_config_static_selectorELNS0_4arch9wavefront6targetE1EEEvT1_
	.globl	_ZN7rocprim17ROCPRIM_400000_NS6detail17trampoline_kernelINS0_14default_configENS1_25transform_config_selectorIaLb0EEEZNS1_14transform_implILb0ES3_S5_NS0_18transform_iteratorINS0_17counting_iteratorImlEEZNS1_24adjacent_difference_implIS3_Lb1ELb0EPaSB_N6thrust23THRUST_200600_302600_NS5minusIaEEEE10hipError_tPvRmT2_T3_mT4_P12ihipStream_tbEUlmE_aEESB_NS0_8identityIvEEEESG_SJ_SK_mSL_SN_bEUlT_E_NS1_11comp_targetILNS1_3genE2ELNS1_11target_archE906ELNS1_3gpuE6ELNS1_3repE0EEENS1_30default_config_static_selectorELNS0_4arch9wavefront6targetE1EEEvT1_
	.p2align	8
	.type	_ZN7rocprim17ROCPRIM_400000_NS6detail17trampoline_kernelINS0_14default_configENS1_25transform_config_selectorIaLb0EEEZNS1_14transform_implILb0ES3_S5_NS0_18transform_iteratorINS0_17counting_iteratorImlEEZNS1_24adjacent_difference_implIS3_Lb1ELb0EPaSB_N6thrust23THRUST_200600_302600_NS5minusIaEEEE10hipError_tPvRmT2_T3_mT4_P12ihipStream_tbEUlmE_aEESB_NS0_8identityIvEEEESG_SJ_SK_mSL_SN_bEUlT_E_NS1_11comp_targetILNS1_3genE2ELNS1_11target_archE906ELNS1_3gpuE6ELNS1_3repE0EEENS1_30default_config_static_selectorELNS0_4arch9wavefront6targetE1EEEvT1_,@function
_ZN7rocprim17ROCPRIM_400000_NS6detail17trampoline_kernelINS0_14default_configENS1_25transform_config_selectorIaLb0EEEZNS1_14transform_implILb0ES3_S5_NS0_18transform_iteratorINS0_17counting_iteratorImlEEZNS1_24adjacent_difference_implIS3_Lb1ELb0EPaSB_N6thrust23THRUST_200600_302600_NS5minusIaEEEE10hipError_tPvRmT2_T3_mT4_P12ihipStream_tbEUlmE_aEESB_NS0_8identityIvEEEESG_SJ_SK_mSL_SN_bEUlT_E_NS1_11comp_targetILNS1_3genE2ELNS1_11target_archE906ELNS1_3gpuE6ELNS1_3repE0EEENS1_30default_config_static_selectorELNS0_4arch9wavefront6targetE1EEEvT1_: ; @_ZN7rocprim17ROCPRIM_400000_NS6detail17trampoline_kernelINS0_14default_configENS1_25transform_config_selectorIaLb0EEEZNS1_14transform_implILb0ES3_S5_NS0_18transform_iteratorINS0_17counting_iteratorImlEEZNS1_24adjacent_difference_implIS3_Lb1ELb0EPaSB_N6thrust23THRUST_200600_302600_NS5minusIaEEEE10hipError_tPvRmT2_T3_mT4_P12ihipStream_tbEUlmE_aEESB_NS0_8identityIvEEEESG_SJ_SK_mSL_SN_bEUlT_E_NS1_11comp_targetILNS1_3genE2ELNS1_11target_archE906ELNS1_3gpuE6ELNS1_3repE0EEENS1_30default_config_static_selectorELNS0_4arch9wavefront6targetE1EEEvT1_
; %bb.0:
	.section	.rodata,"a",@progbits
	.p2align	6, 0x0
	.amdhsa_kernel _ZN7rocprim17ROCPRIM_400000_NS6detail17trampoline_kernelINS0_14default_configENS1_25transform_config_selectorIaLb0EEEZNS1_14transform_implILb0ES3_S5_NS0_18transform_iteratorINS0_17counting_iteratorImlEEZNS1_24adjacent_difference_implIS3_Lb1ELb0EPaSB_N6thrust23THRUST_200600_302600_NS5minusIaEEEE10hipError_tPvRmT2_T3_mT4_P12ihipStream_tbEUlmE_aEESB_NS0_8identityIvEEEESG_SJ_SK_mSL_SN_bEUlT_E_NS1_11comp_targetILNS1_3genE2ELNS1_11target_archE906ELNS1_3gpuE6ELNS1_3repE0EEENS1_30default_config_static_selectorELNS0_4arch9wavefront6targetE1EEEvT1_
		.amdhsa_group_segment_fixed_size 0
		.amdhsa_private_segment_fixed_size 0
		.amdhsa_kernarg_size 56
		.amdhsa_user_sgpr_count 6
		.amdhsa_user_sgpr_private_segment_buffer 1
		.amdhsa_user_sgpr_dispatch_ptr 0
		.amdhsa_user_sgpr_queue_ptr 0
		.amdhsa_user_sgpr_kernarg_segment_ptr 1
		.amdhsa_user_sgpr_dispatch_id 0
		.amdhsa_user_sgpr_flat_scratch_init 0
		.amdhsa_user_sgpr_kernarg_preload_length 0
		.amdhsa_user_sgpr_kernarg_preload_offset 0
		.amdhsa_user_sgpr_private_segment_size 0
		.amdhsa_uses_dynamic_stack 0
		.amdhsa_system_sgpr_private_segment_wavefront_offset 0
		.amdhsa_system_sgpr_workgroup_id_x 1
		.amdhsa_system_sgpr_workgroup_id_y 0
		.amdhsa_system_sgpr_workgroup_id_z 0
		.amdhsa_system_sgpr_workgroup_info 0
		.amdhsa_system_vgpr_workitem_id 0
		.amdhsa_next_free_vgpr 1
		.amdhsa_next_free_sgpr 0
		.amdhsa_accum_offset 4
		.amdhsa_reserve_vcc 0
		.amdhsa_reserve_flat_scratch 0
		.amdhsa_float_round_mode_32 0
		.amdhsa_float_round_mode_16_64 0
		.amdhsa_float_denorm_mode_32 3
		.amdhsa_float_denorm_mode_16_64 3
		.amdhsa_dx10_clamp 1
		.amdhsa_ieee_mode 1
		.amdhsa_fp16_overflow 0
		.amdhsa_tg_split 0
		.amdhsa_exception_fp_ieee_invalid_op 0
		.amdhsa_exception_fp_denorm_src 0
		.amdhsa_exception_fp_ieee_div_zero 0
		.amdhsa_exception_fp_ieee_overflow 0
		.amdhsa_exception_fp_ieee_underflow 0
		.amdhsa_exception_fp_ieee_inexact 0
		.amdhsa_exception_int_div_zero 0
	.end_amdhsa_kernel
	.section	.text._ZN7rocprim17ROCPRIM_400000_NS6detail17trampoline_kernelINS0_14default_configENS1_25transform_config_selectorIaLb0EEEZNS1_14transform_implILb0ES3_S5_NS0_18transform_iteratorINS0_17counting_iteratorImlEEZNS1_24adjacent_difference_implIS3_Lb1ELb0EPaSB_N6thrust23THRUST_200600_302600_NS5minusIaEEEE10hipError_tPvRmT2_T3_mT4_P12ihipStream_tbEUlmE_aEESB_NS0_8identityIvEEEESG_SJ_SK_mSL_SN_bEUlT_E_NS1_11comp_targetILNS1_3genE2ELNS1_11target_archE906ELNS1_3gpuE6ELNS1_3repE0EEENS1_30default_config_static_selectorELNS0_4arch9wavefront6targetE1EEEvT1_,"axG",@progbits,_ZN7rocprim17ROCPRIM_400000_NS6detail17trampoline_kernelINS0_14default_configENS1_25transform_config_selectorIaLb0EEEZNS1_14transform_implILb0ES3_S5_NS0_18transform_iteratorINS0_17counting_iteratorImlEEZNS1_24adjacent_difference_implIS3_Lb1ELb0EPaSB_N6thrust23THRUST_200600_302600_NS5minusIaEEEE10hipError_tPvRmT2_T3_mT4_P12ihipStream_tbEUlmE_aEESB_NS0_8identityIvEEEESG_SJ_SK_mSL_SN_bEUlT_E_NS1_11comp_targetILNS1_3genE2ELNS1_11target_archE906ELNS1_3gpuE6ELNS1_3repE0EEENS1_30default_config_static_selectorELNS0_4arch9wavefront6targetE1EEEvT1_,comdat
.Lfunc_end13:
	.size	_ZN7rocprim17ROCPRIM_400000_NS6detail17trampoline_kernelINS0_14default_configENS1_25transform_config_selectorIaLb0EEEZNS1_14transform_implILb0ES3_S5_NS0_18transform_iteratorINS0_17counting_iteratorImlEEZNS1_24adjacent_difference_implIS3_Lb1ELb0EPaSB_N6thrust23THRUST_200600_302600_NS5minusIaEEEE10hipError_tPvRmT2_T3_mT4_P12ihipStream_tbEUlmE_aEESB_NS0_8identityIvEEEESG_SJ_SK_mSL_SN_bEUlT_E_NS1_11comp_targetILNS1_3genE2ELNS1_11target_archE906ELNS1_3gpuE6ELNS1_3repE0EEENS1_30default_config_static_selectorELNS0_4arch9wavefront6targetE1EEEvT1_, .Lfunc_end13-_ZN7rocprim17ROCPRIM_400000_NS6detail17trampoline_kernelINS0_14default_configENS1_25transform_config_selectorIaLb0EEEZNS1_14transform_implILb0ES3_S5_NS0_18transform_iteratorINS0_17counting_iteratorImlEEZNS1_24adjacent_difference_implIS3_Lb1ELb0EPaSB_N6thrust23THRUST_200600_302600_NS5minusIaEEEE10hipError_tPvRmT2_T3_mT4_P12ihipStream_tbEUlmE_aEESB_NS0_8identityIvEEEESG_SJ_SK_mSL_SN_bEUlT_E_NS1_11comp_targetILNS1_3genE2ELNS1_11target_archE906ELNS1_3gpuE6ELNS1_3repE0EEENS1_30default_config_static_selectorELNS0_4arch9wavefront6targetE1EEEvT1_
                                        ; -- End function
	.section	.AMDGPU.csdata,"",@progbits
; Kernel info:
; codeLenInByte = 0
; NumSgprs: 4
; NumVgprs: 0
; NumAgprs: 0
; TotalNumVgprs: 0
; ScratchSize: 0
; MemoryBound: 0
; FloatMode: 240
; IeeeMode: 1
; LDSByteSize: 0 bytes/workgroup (compile time only)
; SGPRBlocks: 0
; VGPRBlocks: 0
; NumSGPRsForWavesPerEU: 4
; NumVGPRsForWavesPerEU: 1
; AccumOffset: 4
; Occupancy: 8
; WaveLimiterHint : 0
; COMPUTE_PGM_RSRC2:SCRATCH_EN: 0
; COMPUTE_PGM_RSRC2:USER_SGPR: 6
; COMPUTE_PGM_RSRC2:TRAP_HANDLER: 0
; COMPUTE_PGM_RSRC2:TGID_X_EN: 1
; COMPUTE_PGM_RSRC2:TGID_Y_EN: 0
; COMPUTE_PGM_RSRC2:TGID_Z_EN: 0
; COMPUTE_PGM_RSRC2:TIDIG_COMP_CNT: 0
; COMPUTE_PGM_RSRC3_GFX90A:ACCUM_OFFSET: 0
; COMPUTE_PGM_RSRC3_GFX90A:TG_SPLIT: 0
	.section	.text._ZN7rocprim17ROCPRIM_400000_NS6detail17trampoline_kernelINS0_14default_configENS1_25transform_config_selectorIaLb0EEEZNS1_14transform_implILb0ES3_S5_NS0_18transform_iteratorINS0_17counting_iteratorImlEEZNS1_24adjacent_difference_implIS3_Lb1ELb0EPaSB_N6thrust23THRUST_200600_302600_NS5minusIaEEEE10hipError_tPvRmT2_T3_mT4_P12ihipStream_tbEUlmE_aEESB_NS0_8identityIvEEEESG_SJ_SK_mSL_SN_bEUlT_E_NS1_11comp_targetILNS1_3genE10ELNS1_11target_archE1201ELNS1_3gpuE5ELNS1_3repE0EEENS1_30default_config_static_selectorELNS0_4arch9wavefront6targetE1EEEvT1_,"axG",@progbits,_ZN7rocprim17ROCPRIM_400000_NS6detail17trampoline_kernelINS0_14default_configENS1_25transform_config_selectorIaLb0EEEZNS1_14transform_implILb0ES3_S5_NS0_18transform_iteratorINS0_17counting_iteratorImlEEZNS1_24adjacent_difference_implIS3_Lb1ELb0EPaSB_N6thrust23THRUST_200600_302600_NS5minusIaEEEE10hipError_tPvRmT2_T3_mT4_P12ihipStream_tbEUlmE_aEESB_NS0_8identityIvEEEESG_SJ_SK_mSL_SN_bEUlT_E_NS1_11comp_targetILNS1_3genE10ELNS1_11target_archE1201ELNS1_3gpuE5ELNS1_3repE0EEENS1_30default_config_static_selectorELNS0_4arch9wavefront6targetE1EEEvT1_,comdat
	.protected	_ZN7rocprim17ROCPRIM_400000_NS6detail17trampoline_kernelINS0_14default_configENS1_25transform_config_selectorIaLb0EEEZNS1_14transform_implILb0ES3_S5_NS0_18transform_iteratorINS0_17counting_iteratorImlEEZNS1_24adjacent_difference_implIS3_Lb1ELb0EPaSB_N6thrust23THRUST_200600_302600_NS5minusIaEEEE10hipError_tPvRmT2_T3_mT4_P12ihipStream_tbEUlmE_aEESB_NS0_8identityIvEEEESG_SJ_SK_mSL_SN_bEUlT_E_NS1_11comp_targetILNS1_3genE10ELNS1_11target_archE1201ELNS1_3gpuE5ELNS1_3repE0EEENS1_30default_config_static_selectorELNS0_4arch9wavefront6targetE1EEEvT1_ ; -- Begin function _ZN7rocprim17ROCPRIM_400000_NS6detail17trampoline_kernelINS0_14default_configENS1_25transform_config_selectorIaLb0EEEZNS1_14transform_implILb0ES3_S5_NS0_18transform_iteratorINS0_17counting_iteratorImlEEZNS1_24adjacent_difference_implIS3_Lb1ELb0EPaSB_N6thrust23THRUST_200600_302600_NS5minusIaEEEE10hipError_tPvRmT2_T3_mT4_P12ihipStream_tbEUlmE_aEESB_NS0_8identityIvEEEESG_SJ_SK_mSL_SN_bEUlT_E_NS1_11comp_targetILNS1_3genE10ELNS1_11target_archE1201ELNS1_3gpuE5ELNS1_3repE0EEENS1_30default_config_static_selectorELNS0_4arch9wavefront6targetE1EEEvT1_
	.globl	_ZN7rocprim17ROCPRIM_400000_NS6detail17trampoline_kernelINS0_14default_configENS1_25transform_config_selectorIaLb0EEEZNS1_14transform_implILb0ES3_S5_NS0_18transform_iteratorINS0_17counting_iteratorImlEEZNS1_24adjacent_difference_implIS3_Lb1ELb0EPaSB_N6thrust23THRUST_200600_302600_NS5minusIaEEEE10hipError_tPvRmT2_T3_mT4_P12ihipStream_tbEUlmE_aEESB_NS0_8identityIvEEEESG_SJ_SK_mSL_SN_bEUlT_E_NS1_11comp_targetILNS1_3genE10ELNS1_11target_archE1201ELNS1_3gpuE5ELNS1_3repE0EEENS1_30default_config_static_selectorELNS0_4arch9wavefront6targetE1EEEvT1_
	.p2align	8
	.type	_ZN7rocprim17ROCPRIM_400000_NS6detail17trampoline_kernelINS0_14default_configENS1_25transform_config_selectorIaLb0EEEZNS1_14transform_implILb0ES3_S5_NS0_18transform_iteratorINS0_17counting_iteratorImlEEZNS1_24adjacent_difference_implIS3_Lb1ELb0EPaSB_N6thrust23THRUST_200600_302600_NS5minusIaEEEE10hipError_tPvRmT2_T3_mT4_P12ihipStream_tbEUlmE_aEESB_NS0_8identityIvEEEESG_SJ_SK_mSL_SN_bEUlT_E_NS1_11comp_targetILNS1_3genE10ELNS1_11target_archE1201ELNS1_3gpuE5ELNS1_3repE0EEENS1_30default_config_static_selectorELNS0_4arch9wavefront6targetE1EEEvT1_,@function
_ZN7rocprim17ROCPRIM_400000_NS6detail17trampoline_kernelINS0_14default_configENS1_25transform_config_selectorIaLb0EEEZNS1_14transform_implILb0ES3_S5_NS0_18transform_iteratorINS0_17counting_iteratorImlEEZNS1_24adjacent_difference_implIS3_Lb1ELb0EPaSB_N6thrust23THRUST_200600_302600_NS5minusIaEEEE10hipError_tPvRmT2_T3_mT4_P12ihipStream_tbEUlmE_aEESB_NS0_8identityIvEEEESG_SJ_SK_mSL_SN_bEUlT_E_NS1_11comp_targetILNS1_3genE10ELNS1_11target_archE1201ELNS1_3gpuE5ELNS1_3repE0EEENS1_30default_config_static_selectorELNS0_4arch9wavefront6targetE1EEEvT1_: ; @_ZN7rocprim17ROCPRIM_400000_NS6detail17trampoline_kernelINS0_14default_configENS1_25transform_config_selectorIaLb0EEEZNS1_14transform_implILb0ES3_S5_NS0_18transform_iteratorINS0_17counting_iteratorImlEEZNS1_24adjacent_difference_implIS3_Lb1ELb0EPaSB_N6thrust23THRUST_200600_302600_NS5minusIaEEEE10hipError_tPvRmT2_T3_mT4_P12ihipStream_tbEUlmE_aEESB_NS0_8identityIvEEEESG_SJ_SK_mSL_SN_bEUlT_E_NS1_11comp_targetILNS1_3genE10ELNS1_11target_archE1201ELNS1_3gpuE5ELNS1_3repE0EEENS1_30default_config_static_selectorELNS0_4arch9wavefront6targetE1EEEvT1_
; %bb.0:
	.section	.rodata,"a",@progbits
	.p2align	6, 0x0
	.amdhsa_kernel _ZN7rocprim17ROCPRIM_400000_NS6detail17trampoline_kernelINS0_14default_configENS1_25transform_config_selectorIaLb0EEEZNS1_14transform_implILb0ES3_S5_NS0_18transform_iteratorINS0_17counting_iteratorImlEEZNS1_24adjacent_difference_implIS3_Lb1ELb0EPaSB_N6thrust23THRUST_200600_302600_NS5minusIaEEEE10hipError_tPvRmT2_T3_mT4_P12ihipStream_tbEUlmE_aEESB_NS0_8identityIvEEEESG_SJ_SK_mSL_SN_bEUlT_E_NS1_11comp_targetILNS1_3genE10ELNS1_11target_archE1201ELNS1_3gpuE5ELNS1_3repE0EEENS1_30default_config_static_selectorELNS0_4arch9wavefront6targetE1EEEvT1_
		.amdhsa_group_segment_fixed_size 0
		.amdhsa_private_segment_fixed_size 0
		.amdhsa_kernarg_size 56
		.amdhsa_user_sgpr_count 6
		.amdhsa_user_sgpr_private_segment_buffer 1
		.amdhsa_user_sgpr_dispatch_ptr 0
		.amdhsa_user_sgpr_queue_ptr 0
		.amdhsa_user_sgpr_kernarg_segment_ptr 1
		.amdhsa_user_sgpr_dispatch_id 0
		.amdhsa_user_sgpr_flat_scratch_init 0
		.amdhsa_user_sgpr_kernarg_preload_length 0
		.amdhsa_user_sgpr_kernarg_preload_offset 0
		.amdhsa_user_sgpr_private_segment_size 0
		.amdhsa_uses_dynamic_stack 0
		.amdhsa_system_sgpr_private_segment_wavefront_offset 0
		.amdhsa_system_sgpr_workgroup_id_x 1
		.amdhsa_system_sgpr_workgroup_id_y 0
		.amdhsa_system_sgpr_workgroup_id_z 0
		.amdhsa_system_sgpr_workgroup_info 0
		.amdhsa_system_vgpr_workitem_id 0
		.amdhsa_next_free_vgpr 1
		.amdhsa_next_free_sgpr 0
		.amdhsa_accum_offset 4
		.amdhsa_reserve_vcc 0
		.amdhsa_reserve_flat_scratch 0
		.amdhsa_float_round_mode_32 0
		.amdhsa_float_round_mode_16_64 0
		.amdhsa_float_denorm_mode_32 3
		.amdhsa_float_denorm_mode_16_64 3
		.amdhsa_dx10_clamp 1
		.amdhsa_ieee_mode 1
		.amdhsa_fp16_overflow 0
		.amdhsa_tg_split 0
		.amdhsa_exception_fp_ieee_invalid_op 0
		.amdhsa_exception_fp_denorm_src 0
		.amdhsa_exception_fp_ieee_div_zero 0
		.amdhsa_exception_fp_ieee_overflow 0
		.amdhsa_exception_fp_ieee_underflow 0
		.amdhsa_exception_fp_ieee_inexact 0
		.amdhsa_exception_int_div_zero 0
	.end_amdhsa_kernel
	.section	.text._ZN7rocprim17ROCPRIM_400000_NS6detail17trampoline_kernelINS0_14default_configENS1_25transform_config_selectorIaLb0EEEZNS1_14transform_implILb0ES3_S5_NS0_18transform_iteratorINS0_17counting_iteratorImlEEZNS1_24adjacent_difference_implIS3_Lb1ELb0EPaSB_N6thrust23THRUST_200600_302600_NS5minusIaEEEE10hipError_tPvRmT2_T3_mT4_P12ihipStream_tbEUlmE_aEESB_NS0_8identityIvEEEESG_SJ_SK_mSL_SN_bEUlT_E_NS1_11comp_targetILNS1_3genE10ELNS1_11target_archE1201ELNS1_3gpuE5ELNS1_3repE0EEENS1_30default_config_static_selectorELNS0_4arch9wavefront6targetE1EEEvT1_,"axG",@progbits,_ZN7rocprim17ROCPRIM_400000_NS6detail17trampoline_kernelINS0_14default_configENS1_25transform_config_selectorIaLb0EEEZNS1_14transform_implILb0ES3_S5_NS0_18transform_iteratorINS0_17counting_iteratorImlEEZNS1_24adjacent_difference_implIS3_Lb1ELb0EPaSB_N6thrust23THRUST_200600_302600_NS5minusIaEEEE10hipError_tPvRmT2_T3_mT4_P12ihipStream_tbEUlmE_aEESB_NS0_8identityIvEEEESG_SJ_SK_mSL_SN_bEUlT_E_NS1_11comp_targetILNS1_3genE10ELNS1_11target_archE1201ELNS1_3gpuE5ELNS1_3repE0EEENS1_30default_config_static_selectorELNS0_4arch9wavefront6targetE1EEEvT1_,comdat
.Lfunc_end14:
	.size	_ZN7rocprim17ROCPRIM_400000_NS6detail17trampoline_kernelINS0_14default_configENS1_25transform_config_selectorIaLb0EEEZNS1_14transform_implILb0ES3_S5_NS0_18transform_iteratorINS0_17counting_iteratorImlEEZNS1_24adjacent_difference_implIS3_Lb1ELb0EPaSB_N6thrust23THRUST_200600_302600_NS5minusIaEEEE10hipError_tPvRmT2_T3_mT4_P12ihipStream_tbEUlmE_aEESB_NS0_8identityIvEEEESG_SJ_SK_mSL_SN_bEUlT_E_NS1_11comp_targetILNS1_3genE10ELNS1_11target_archE1201ELNS1_3gpuE5ELNS1_3repE0EEENS1_30default_config_static_selectorELNS0_4arch9wavefront6targetE1EEEvT1_, .Lfunc_end14-_ZN7rocprim17ROCPRIM_400000_NS6detail17trampoline_kernelINS0_14default_configENS1_25transform_config_selectorIaLb0EEEZNS1_14transform_implILb0ES3_S5_NS0_18transform_iteratorINS0_17counting_iteratorImlEEZNS1_24adjacent_difference_implIS3_Lb1ELb0EPaSB_N6thrust23THRUST_200600_302600_NS5minusIaEEEE10hipError_tPvRmT2_T3_mT4_P12ihipStream_tbEUlmE_aEESB_NS0_8identityIvEEEESG_SJ_SK_mSL_SN_bEUlT_E_NS1_11comp_targetILNS1_3genE10ELNS1_11target_archE1201ELNS1_3gpuE5ELNS1_3repE0EEENS1_30default_config_static_selectorELNS0_4arch9wavefront6targetE1EEEvT1_
                                        ; -- End function
	.section	.AMDGPU.csdata,"",@progbits
; Kernel info:
; codeLenInByte = 0
; NumSgprs: 4
; NumVgprs: 0
; NumAgprs: 0
; TotalNumVgprs: 0
; ScratchSize: 0
; MemoryBound: 0
; FloatMode: 240
; IeeeMode: 1
; LDSByteSize: 0 bytes/workgroup (compile time only)
; SGPRBlocks: 0
; VGPRBlocks: 0
; NumSGPRsForWavesPerEU: 4
; NumVGPRsForWavesPerEU: 1
; AccumOffset: 4
; Occupancy: 8
; WaveLimiterHint : 0
; COMPUTE_PGM_RSRC2:SCRATCH_EN: 0
; COMPUTE_PGM_RSRC2:USER_SGPR: 6
; COMPUTE_PGM_RSRC2:TRAP_HANDLER: 0
; COMPUTE_PGM_RSRC2:TGID_X_EN: 1
; COMPUTE_PGM_RSRC2:TGID_Y_EN: 0
; COMPUTE_PGM_RSRC2:TGID_Z_EN: 0
; COMPUTE_PGM_RSRC2:TIDIG_COMP_CNT: 0
; COMPUTE_PGM_RSRC3_GFX90A:ACCUM_OFFSET: 0
; COMPUTE_PGM_RSRC3_GFX90A:TG_SPLIT: 0
	.section	.text._ZN7rocprim17ROCPRIM_400000_NS6detail17trampoline_kernelINS0_14default_configENS1_25transform_config_selectorIaLb0EEEZNS1_14transform_implILb0ES3_S5_NS0_18transform_iteratorINS0_17counting_iteratorImlEEZNS1_24adjacent_difference_implIS3_Lb1ELb0EPaSB_N6thrust23THRUST_200600_302600_NS5minusIaEEEE10hipError_tPvRmT2_T3_mT4_P12ihipStream_tbEUlmE_aEESB_NS0_8identityIvEEEESG_SJ_SK_mSL_SN_bEUlT_E_NS1_11comp_targetILNS1_3genE10ELNS1_11target_archE1200ELNS1_3gpuE4ELNS1_3repE0EEENS1_30default_config_static_selectorELNS0_4arch9wavefront6targetE1EEEvT1_,"axG",@progbits,_ZN7rocprim17ROCPRIM_400000_NS6detail17trampoline_kernelINS0_14default_configENS1_25transform_config_selectorIaLb0EEEZNS1_14transform_implILb0ES3_S5_NS0_18transform_iteratorINS0_17counting_iteratorImlEEZNS1_24adjacent_difference_implIS3_Lb1ELb0EPaSB_N6thrust23THRUST_200600_302600_NS5minusIaEEEE10hipError_tPvRmT2_T3_mT4_P12ihipStream_tbEUlmE_aEESB_NS0_8identityIvEEEESG_SJ_SK_mSL_SN_bEUlT_E_NS1_11comp_targetILNS1_3genE10ELNS1_11target_archE1200ELNS1_3gpuE4ELNS1_3repE0EEENS1_30default_config_static_selectorELNS0_4arch9wavefront6targetE1EEEvT1_,comdat
	.protected	_ZN7rocprim17ROCPRIM_400000_NS6detail17trampoline_kernelINS0_14default_configENS1_25transform_config_selectorIaLb0EEEZNS1_14transform_implILb0ES3_S5_NS0_18transform_iteratorINS0_17counting_iteratorImlEEZNS1_24adjacent_difference_implIS3_Lb1ELb0EPaSB_N6thrust23THRUST_200600_302600_NS5minusIaEEEE10hipError_tPvRmT2_T3_mT4_P12ihipStream_tbEUlmE_aEESB_NS0_8identityIvEEEESG_SJ_SK_mSL_SN_bEUlT_E_NS1_11comp_targetILNS1_3genE10ELNS1_11target_archE1200ELNS1_3gpuE4ELNS1_3repE0EEENS1_30default_config_static_selectorELNS0_4arch9wavefront6targetE1EEEvT1_ ; -- Begin function _ZN7rocprim17ROCPRIM_400000_NS6detail17trampoline_kernelINS0_14default_configENS1_25transform_config_selectorIaLb0EEEZNS1_14transform_implILb0ES3_S5_NS0_18transform_iteratorINS0_17counting_iteratorImlEEZNS1_24adjacent_difference_implIS3_Lb1ELb0EPaSB_N6thrust23THRUST_200600_302600_NS5minusIaEEEE10hipError_tPvRmT2_T3_mT4_P12ihipStream_tbEUlmE_aEESB_NS0_8identityIvEEEESG_SJ_SK_mSL_SN_bEUlT_E_NS1_11comp_targetILNS1_3genE10ELNS1_11target_archE1200ELNS1_3gpuE4ELNS1_3repE0EEENS1_30default_config_static_selectorELNS0_4arch9wavefront6targetE1EEEvT1_
	.globl	_ZN7rocprim17ROCPRIM_400000_NS6detail17trampoline_kernelINS0_14default_configENS1_25transform_config_selectorIaLb0EEEZNS1_14transform_implILb0ES3_S5_NS0_18transform_iteratorINS0_17counting_iteratorImlEEZNS1_24adjacent_difference_implIS3_Lb1ELb0EPaSB_N6thrust23THRUST_200600_302600_NS5minusIaEEEE10hipError_tPvRmT2_T3_mT4_P12ihipStream_tbEUlmE_aEESB_NS0_8identityIvEEEESG_SJ_SK_mSL_SN_bEUlT_E_NS1_11comp_targetILNS1_3genE10ELNS1_11target_archE1200ELNS1_3gpuE4ELNS1_3repE0EEENS1_30default_config_static_selectorELNS0_4arch9wavefront6targetE1EEEvT1_
	.p2align	8
	.type	_ZN7rocprim17ROCPRIM_400000_NS6detail17trampoline_kernelINS0_14default_configENS1_25transform_config_selectorIaLb0EEEZNS1_14transform_implILb0ES3_S5_NS0_18transform_iteratorINS0_17counting_iteratorImlEEZNS1_24adjacent_difference_implIS3_Lb1ELb0EPaSB_N6thrust23THRUST_200600_302600_NS5minusIaEEEE10hipError_tPvRmT2_T3_mT4_P12ihipStream_tbEUlmE_aEESB_NS0_8identityIvEEEESG_SJ_SK_mSL_SN_bEUlT_E_NS1_11comp_targetILNS1_3genE10ELNS1_11target_archE1200ELNS1_3gpuE4ELNS1_3repE0EEENS1_30default_config_static_selectorELNS0_4arch9wavefront6targetE1EEEvT1_,@function
_ZN7rocprim17ROCPRIM_400000_NS6detail17trampoline_kernelINS0_14default_configENS1_25transform_config_selectorIaLb0EEEZNS1_14transform_implILb0ES3_S5_NS0_18transform_iteratorINS0_17counting_iteratorImlEEZNS1_24adjacent_difference_implIS3_Lb1ELb0EPaSB_N6thrust23THRUST_200600_302600_NS5minusIaEEEE10hipError_tPvRmT2_T3_mT4_P12ihipStream_tbEUlmE_aEESB_NS0_8identityIvEEEESG_SJ_SK_mSL_SN_bEUlT_E_NS1_11comp_targetILNS1_3genE10ELNS1_11target_archE1200ELNS1_3gpuE4ELNS1_3repE0EEENS1_30default_config_static_selectorELNS0_4arch9wavefront6targetE1EEEvT1_: ; @_ZN7rocprim17ROCPRIM_400000_NS6detail17trampoline_kernelINS0_14default_configENS1_25transform_config_selectorIaLb0EEEZNS1_14transform_implILb0ES3_S5_NS0_18transform_iteratorINS0_17counting_iteratorImlEEZNS1_24adjacent_difference_implIS3_Lb1ELb0EPaSB_N6thrust23THRUST_200600_302600_NS5minusIaEEEE10hipError_tPvRmT2_T3_mT4_P12ihipStream_tbEUlmE_aEESB_NS0_8identityIvEEEESG_SJ_SK_mSL_SN_bEUlT_E_NS1_11comp_targetILNS1_3genE10ELNS1_11target_archE1200ELNS1_3gpuE4ELNS1_3repE0EEENS1_30default_config_static_selectorELNS0_4arch9wavefront6targetE1EEEvT1_
; %bb.0:
	.section	.rodata,"a",@progbits
	.p2align	6, 0x0
	.amdhsa_kernel _ZN7rocprim17ROCPRIM_400000_NS6detail17trampoline_kernelINS0_14default_configENS1_25transform_config_selectorIaLb0EEEZNS1_14transform_implILb0ES3_S5_NS0_18transform_iteratorINS0_17counting_iteratorImlEEZNS1_24adjacent_difference_implIS3_Lb1ELb0EPaSB_N6thrust23THRUST_200600_302600_NS5minusIaEEEE10hipError_tPvRmT2_T3_mT4_P12ihipStream_tbEUlmE_aEESB_NS0_8identityIvEEEESG_SJ_SK_mSL_SN_bEUlT_E_NS1_11comp_targetILNS1_3genE10ELNS1_11target_archE1200ELNS1_3gpuE4ELNS1_3repE0EEENS1_30default_config_static_selectorELNS0_4arch9wavefront6targetE1EEEvT1_
		.amdhsa_group_segment_fixed_size 0
		.amdhsa_private_segment_fixed_size 0
		.amdhsa_kernarg_size 56
		.amdhsa_user_sgpr_count 6
		.amdhsa_user_sgpr_private_segment_buffer 1
		.amdhsa_user_sgpr_dispatch_ptr 0
		.amdhsa_user_sgpr_queue_ptr 0
		.amdhsa_user_sgpr_kernarg_segment_ptr 1
		.amdhsa_user_sgpr_dispatch_id 0
		.amdhsa_user_sgpr_flat_scratch_init 0
		.amdhsa_user_sgpr_kernarg_preload_length 0
		.amdhsa_user_sgpr_kernarg_preload_offset 0
		.amdhsa_user_sgpr_private_segment_size 0
		.amdhsa_uses_dynamic_stack 0
		.amdhsa_system_sgpr_private_segment_wavefront_offset 0
		.amdhsa_system_sgpr_workgroup_id_x 1
		.amdhsa_system_sgpr_workgroup_id_y 0
		.amdhsa_system_sgpr_workgroup_id_z 0
		.amdhsa_system_sgpr_workgroup_info 0
		.amdhsa_system_vgpr_workitem_id 0
		.amdhsa_next_free_vgpr 1
		.amdhsa_next_free_sgpr 0
		.amdhsa_accum_offset 4
		.amdhsa_reserve_vcc 0
		.amdhsa_reserve_flat_scratch 0
		.amdhsa_float_round_mode_32 0
		.amdhsa_float_round_mode_16_64 0
		.amdhsa_float_denorm_mode_32 3
		.amdhsa_float_denorm_mode_16_64 3
		.amdhsa_dx10_clamp 1
		.amdhsa_ieee_mode 1
		.amdhsa_fp16_overflow 0
		.amdhsa_tg_split 0
		.amdhsa_exception_fp_ieee_invalid_op 0
		.amdhsa_exception_fp_denorm_src 0
		.amdhsa_exception_fp_ieee_div_zero 0
		.amdhsa_exception_fp_ieee_overflow 0
		.amdhsa_exception_fp_ieee_underflow 0
		.amdhsa_exception_fp_ieee_inexact 0
		.amdhsa_exception_int_div_zero 0
	.end_amdhsa_kernel
	.section	.text._ZN7rocprim17ROCPRIM_400000_NS6detail17trampoline_kernelINS0_14default_configENS1_25transform_config_selectorIaLb0EEEZNS1_14transform_implILb0ES3_S5_NS0_18transform_iteratorINS0_17counting_iteratorImlEEZNS1_24adjacent_difference_implIS3_Lb1ELb0EPaSB_N6thrust23THRUST_200600_302600_NS5minusIaEEEE10hipError_tPvRmT2_T3_mT4_P12ihipStream_tbEUlmE_aEESB_NS0_8identityIvEEEESG_SJ_SK_mSL_SN_bEUlT_E_NS1_11comp_targetILNS1_3genE10ELNS1_11target_archE1200ELNS1_3gpuE4ELNS1_3repE0EEENS1_30default_config_static_selectorELNS0_4arch9wavefront6targetE1EEEvT1_,"axG",@progbits,_ZN7rocprim17ROCPRIM_400000_NS6detail17trampoline_kernelINS0_14default_configENS1_25transform_config_selectorIaLb0EEEZNS1_14transform_implILb0ES3_S5_NS0_18transform_iteratorINS0_17counting_iteratorImlEEZNS1_24adjacent_difference_implIS3_Lb1ELb0EPaSB_N6thrust23THRUST_200600_302600_NS5minusIaEEEE10hipError_tPvRmT2_T3_mT4_P12ihipStream_tbEUlmE_aEESB_NS0_8identityIvEEEESG_SJ_SK_mSL_SN_bEUlT_E_NS1_11comp_targetILNS1_3genE10ELNS1_11target_archE1200ELNS1_3gpuE4ELNS1_3repE0EEENS1_30default_config_static_selectorELNS0_4arch9wavefront6targetE1EEEvT1_,comdat
.Lfunc_end15:
	.size	_ZN7rocprim17ROCPRIM_400000_NS6detail17trampoline_kernelINS0_14default_configENS1_25transform_config_selectorIaLb0EEEZNS1_14transform_implILb0ES3_S5_NS0_18transform_iteratorINS0_17counting_iteratorImlEEZNS1_24adjacent_difference_implIS3_Lb1ELb0EPaSB_N6thrust23THRUST_200600_302600_NS5minusIaEEEE10hipError_tPvRmT2_T3_mT4_P12ihipStream_tbEUlmE_aEESB_NS0_8identityIvEEEESG_SJ_SK_mSL_SN_bEUlT_E_NS1_11comp_targetILNS1_3genE10ELNS1_11target_archE1200ELNS1_3gpuE4ELNS1_3repE0EEENS1_30default_config_static_selectorELNS0_4arch9wavefront6targetE1EEEvT1_, .Lfunc_end15-_ZN7rocprim17ROCPRIM_400000_NS6detail17trampoline_kernelINS0_14default_configENS1_25transform_config_selectorIaLb0EEEZNS1_14transform_implILb0ES3_S5_NS0_18transform_iteratorINS0_17counting_iteratorImlEEZNS1_24adjacent_difference_implIS3_Lb1ELb0EPaSB_N6thrust23THRUST_200600_302600_NS5minusIaEEEE10hipError_tPvRmT2_T3_mT4_P12ihipStream_tbEUlmE_aEESB_NS0_8identityIvEEEESG_SJ_SK_mSL_SN_bEUlT_E_NS1_11comp_targetILNS1_3genE10ELNS1_11target_archE1200ELNS1_3gpuE4ELNS1_3repE0EEENS1_30default_config_static_selectorELNS0_4arch9wavefront6targetE1EEEvT1_
                                        ; -- End function
	.section	.AMDGPU.csdata,"",@progbits
; Kernel info:
; codeLenInByte = 0
; NumSgprs: 4
; NumVgprs: 0
; NumAgprs: 0
; TotalNumVgprs: 0
; ScratchSize: 0
; MemoryBound: 0
; FloatMode: 240
; IeeeMode: 1
; LDSByteSize: 0 bytes/workgroup (compile time only)
; SGPRBlocks: 0
; VGPRBlocks: 0
; NumSGPRsForWavesPerEU: 4
; NumVGPRsForWavesPerEU: 1
; AccumOffset: 4
; Occupancy: 8
; WaveLimiterHint : 0
; COMPUTE_PGM_RSRC2:SCRATCH_EN: 0
; COMPUTE_PGM_RSRC2:USER_SGPR: 6
; COMPUTE_PGM_RSRC2:TRAP_HANDLER: 0
; COMPUTE_PGM_RSRC2:TGID_X_EN: 1
; COMPUTE_PGM_RSRC2:TGID_Y_EN: 0
; COMPUTE_PGM_RSRC2:TGID_Z_EN: 0
; COMPUTE_PGM_RSRC2:TIDIG_COMP_CNT: 0
; COMPUTE_PGM_RSRC3_GFX90A:ACCUM_OFFSET: 0
; COMPUTE_PGM_RSRC3_GFX90A:TG_SPLIT: 0
	.section	.text._ZN7rocprim17ROCPRIM_400000_NS6detail17trampoline_kernelINS0_14default_configENS1_25transform_config_selectorIaLb0EEEZNS1_14transform_implILb0ES3_S5_NS0_18transform_iteratorINS0_17counting_iteratorImlEEZNS1_24adjacent_difference_implIS3_Lb1ELb0EPaSB_N6thrust23THRUST_200600_302600_NS5minusIaEEEE10hipError_tPvRmT2_T3_mT4_P12ihipStream_tbEUlmE_aEESB_NS0_8identityIvEEEESG_SJ_SK_mSL_SN_bEUlT_E_NS1_11comp_targetILNS1_3genE9ELNS1_11target_archE1100ELNS1_3gpuE3ELNS1_3repE0EEENS1_30default_config_static_selectorELNS0_4arch9wavefront6targetE1EEEvT1_,"axG",@progbits,_ZN7rocprim17ROCPRIM_400000_NS6detail17trampoline_kernelINS0_14default_configENS1_25transform_config_selectorIaLb0EEEZNS1_14transform_implILb0ES3_S5_NS0_18transform_iteratorINS0_17counting_iteratorImlEEZNS1_24adjacent_difference_implIS3_Lb1ELb0EPaSB_N6thrust23THRUST_200600_302600_NS5minusIaEEEE10hipError_tPvRmT2_T3_mT4_P12ihipStream_tbEUlmE_aEESB_NS0_8identityIvEEEESG_SJ_SK_mSL_SN_bEUlT_E_NS1_11comp_targetILNS1_3genE9ELNS1_11target_archE1100ELNS1_3gpuE3ELNS1_3repE0EEENS1_30default_config_static_selectorELNS0_4arch9wavefront6targetE1EEEvT1_,comdat
	.protected	_ZN7rocprim17ROCPRIM_400000_NS6detail17trampoline_kernelINS0_14default_configENS1_25transform_config_selectorIaLb0EEEZNS1_14transform_implILb0ES3_S5_NS0_18transform_iteratorINS0_17counting_iteratorImlEEZNS1_24adjacent_difference_implIS3_Lb1ELb0EPaSB_N6thrust23THRUST_200600_302600_NS5minusIaEEEE10hipError_tPvRmT2_T3_mT4_P12ihipStream_tbEUlmE_aEESB_NS0_8identityIvEEEESG_SJ_SK_mSL_SN_bEUlT_E_NS1_11comp_targetILNS1_3genE9ELNS1_11target_archE1100ELNS1_3gpuE3ELNS1_3repE0EEENS1_30default_config_static_selectorELNS0_4arch9wavefront6targetE1EEEvT1_ ; -- Begin function _ZN7rocprim17ROCPRIM_400000_NS6detail17trampoline_kernelINS0_14default_configENS1_25transform_config_selectorIaLb0EEEZNS1_14transform_implILb0ES3_S5_NS0_18transform_iteratorINS0_17counting_iteratorImlEEZNS1_24adjacent_difference_implIS3_Lb1ELb0EPaSB_N6thrust23THRUST_200600_302600_NS5minusIaEEEE10hipError_tPvRmT2_T3_mT4_P12ihipStream_tbEUlmE_aEESB_NS0_8identityIvEEEESG_SJ_SK_mSL_SN_bEUlT_E_NS1_11comp_targetILNS1_3genE9ELNS1_11target_archE1100ELNS1_3gpuE3ELNS1_3repE0EEENS1_30default_config_static_selectorELNS0_4arch9wavefront6targetE1EEEvT1_
	.globl	_ZN7rocprim17ROCPRIM_400000_NS6detail17trampoline_kernelINS0_14default_configENS1_25transform_config_selectorIaLb0EEEZNS1_14transform_implILb0ES3_S5_NS0_18transform_iteratorINS0_17counting_iteratorImlEEZNS1_24adjacent_difference_implIS3_Lb1ELb0EPaSB_N6thrust23THRUST_200600_302600_NS5minusIaEEEE10hipError_tPvRmT2_T3_mT4_P12ihipStream_tbEUlmE_aEESB_NS0_8identityIvEEEESG_SJ_SK_mSL_SN_bEUlT_E_NS1_11comp_targetILNS1_3genE9ELNS1_11target_archE1100ELNS1_3gpuE3ELNS1_3repE0EEENS1_30default_config_static_selectorELNS0_4arch9wavefront6targetE1EEEvT1_
	.p2align	8
	.type	_ZN7rocprim17ROCPRIM_400000_NS6detail17trampoline_kernelINS0_14default_configENS1_25transform_config_selectorIaLb0EEEZNS1_14transform_implILb0ES3_S5_NS0_18transform_iteratorINS0_17counting_iteratorImlEEZNS1_24adjacent_difference_implIS3_Lb1ELb0EPaSB_N6thrust23THRUST_200600_302600_NS5minusIaEEEE10hipError_tPvRmT2_T3_mT4_P12ihipStream_tbEUlmE_aEESB_NS0_8identityIvEEEESG_SJ_SK_mSL_SN_bEUlT_E_NS1_11comp_targetILNS1_3genE9ELNS1_11target_archE1100ELNS1_3gpuE3ELNS1_3repE0EEENS1_30default_config_static_selectorELNS0_4arch9wavefront6targetE1EEEvT1_,@function
_ZN7rocprim17ROCPRIM_400000_NS6detail17trampoline_kernelINS0_14default_configENS1_25transform_config_selectorIaLb0EEEZNS1_14transform_implILb0ES3_S5_NS0_18transform_iteratorINS0_17counting_iteratorImlEEZNS1_24adjacent_difference_implIS3_Lb1ELb0EPaSB_N6thrust23THRUST_200600_302600_NS5minusIaEEEE10hipError_tPvRmT2_T3_mT4_P12ihipStream_tbEUlmE_aEESB_NS0_8identityIvEEEESG_SJ_SK_mSL_SN_bEUlT_E_NS1_11comp_targetILNS1_3genE9ELNS1_11target_archE1100ELNS1_3gpuE3ELNS1_3repE0EEENS1_30default_config_static_selectorELNS0_4arch9wavefront6targetE1EEEvT1_: ; @_ZN7rocprim17ROCPRIM_400000_NS6detail17trampoline_kernelINS0_14default_configENS1_25transform_config_selectorIaLb0EEEZNS1_14transform_implILb0ES3_S5_NS0_18transform_iteratorINS0_17counting_iteratorImlEEZNS1_24adjacent_difference_implIS3_Lb1ELb0EPaSB_N6thrust23THRUST_200600_302600_NS5minusIaEEEE10hipError_tPvRmT2_T3_mT4_P12ihipStream_tbEUlmE_aEESB_NS0_8identityIvEEEESG_SJ_SK_mSL_SN_bEUlT_E_NS1_11comp_targetILNS1_3genE9ELNS1_11target_archE1100ELNS1_3gpuE3ELNS1_3repE0EEENS1_30default_config_static_selectorELNS0_4arch9wavefront6targetE1EEEvT1_
; %bb.0:
	.section	.rodata,"a",@progbits
	.p2align	6, 0x0
	.amdhsa_kernel _ZN7rocprim17ROCPRIM_400000_NS6detail17trampoline_kernelINS0_14default_configENS1_25transform_config_selectorIaLb0EEEZNS1_14transform_implILb0ES3_S5_NS0_18transform_iteratorINS0_17counting_iteratorImlEEZNS1_24adjacent_difference_implIS3_Lb1ELb0EPaSB_N6thrust23THRUST_200600_302600_NS5minusIaEEEE10hipError_tPvRmT2_T3_mT4_P12ihipStream_tbEUlmE_aEESB_NS0_8identityIvEEEESG_SJ_SK_mSL_SN_bEUlT_E_NS1_11comp_targetILNS1_3genE9ELNS1_11target_archE1100ELNS1_3gpuE3ELNS1_3repE0EEENS1_30default_config_static_selectorELNS0_4arch9wavefront6targetE1EEEvT1_
		.amdhsa_group_segment_fixed_size 0
		.amdhsa_private_segment_fixed_size 0
		.amdhsa_kernarg_size 56
		.amdhsa_user_sgpr_count 6
		.amdhsa_user_sgpr_private_segment_buffer 1
		.amdhsa_user_sgpr_dispatch_ptr 0
		.amdhsa_user_sgpr_queue_ptr 0
		.amdhsa_user_sgpr_kernarg_segment_ptr 1
		.amdhsa_user_sgpr_dispatch_id 0
		.amdhsa_user_sgpr_flat_scratch_init 0
		.amdhsa_user_sgpr_kernarg_preload_length 0
		.amdhsa_user_sgpr_kernarg_preload_offset 0
		.amdhsa_user_sgpr_private_segment_size 0
		.amdhsa_uses_dynamic_stack 0
		.amdhsa_system_sgpr_private_segment_wavefront_offset 0
		.amdhsa_system_sgpr_workgroup_id_x 1
		.amdhsa_system_sgpr_workgroup_id_y 0
		.amdhsa_system_sgpr_workgroup_id_z 0
		.amdhsa_system_sgpr_workgroup_info 0
		.amdhsa_system_vgpr_workitem_id 0
		.amdhsa_next_free_vgpr 1
		.amdhsa_next_free_sgpr 0
		.amdhsa_accum_offset 4
		.amdhsa_reserve_vcc 0
		.amdhsa_reserve_flat_scratch 0
		.amdhsa_float_round_mode_32 0
		.amdhsa_float_round_mode_16_64 0
		.amdhsa_float_denorm_mode_32 3
		.amdhsa_float_denorm_mode_16_64 3
		.amdhsa_dx10_clamp 1
		.amdhsa_ieee_mode 1
		.amdhsa_fp16_overflow 0
		.amdhsa_tg_split 0
		.amdhsa_exception_fp_ieee_invalid_op 0
		.amdhsa_exception_fp_denorm_src 0
		.amdhsa_exception_fp_ieee_div_zero 0
		.amdhsa_exception_fp_ieee_overflow 0
		.amdhsa_exception_fp_ieee_underflow 0
		.amdhsa_exception_fp_ieee_inexact 0
		.amdhsa_exception_int_div_zero 0
	.end_amdhsa_kernel
	.section	.text._ZN7rocprim17ROCPRIM_400000_NS6detail17trampoline_kernelINS0_14default_configENS1_25transform_config_selectorIaLb0EEEZNS1_14transform_implILb0ES3_S5_NS0_18transform_iteratorINS0_17counting_iteratorImlEEZNS1_24adjacent_difference_implIS3_Lb1ELb0EPaSB_N6thrust23THRUST_200600_302600_NS5minusIaEEEE10hipError_tPvRmT2_T3_mT4_P12ihipStream_tbEUlmE_aEESB_NS0_8identityIvEEEESG_SJ_SK_mSL_SN_bEUlT_E_NS1_11comp_targetILNS1_3genE9ELNS1_11target_archE1100ELNS1_3gpuE3ELNS1_3repE0EEENS1_30default_config_static_selectorELNS0_4arch9wavefront6targetE1EEEvT1_,"axG",@progbits,_ZN7rocprim17ROCPRIM_400000_NS6detail17trampoline_kernelINS0_14default_configENS1_25transform_config_selectorIaLb0EEEZNS1_14transform_implILb0ES3_S5_NS0_18transform_iteratorINS0_17counting_iteratorImlEEZNS1_24adjacent_difference_implIS3_Lb1ELb0EPaSB_N6thrust23THRUST_200600_302600_NS5minusIaEEEE10hipError_tPvRmT2_T3_mT4_P12ihipStream_tbEUlmE_aEESB_NS0_8identityIvEEEESG_SJ_SK_mSL_SN_bEUlT_E_NS1_11comp_targetILNS1_3genE9ELNS1_11target_archE1100ELNS1_3gpuE3ELNS1_3repE0EEENS1_30default_config_static_selectorELNS0_4arch9wavefront6targetE1EEEvT1_,comdat
.Lfunc_end16:
	.size	_ZN7rocprim17ROCPRIM_400000_NS6detail17trampoline_kernelINS0_14default_configENS1_25transform_config_selectorIaLb0EEEZNS1_14transform_implILb0ES3_S5_NS0_18transform_iteratorINS0_17counting_iteratorImlEEZNS1_24adjacent_difference_implIS3_Lb1ELb0EPaSB_N6thrust23THRUST_200600_302600_NS5minusIaEEEE10hipError_tPvRmT2_T3_mT4_P12ihipStream_tbEUlmE_aEESB_NS0_8identityIvEEEESG_SJ_SK_mSL_SN_bEUlT_E_NS1_11comp_targetILNS1_3genE9ELNS1_11target_archE1100ELNS1_3gpuE3ELNS1_3repE0EEENS1_30default_config_static_selectorELNS0_4arch9wavefront6targetE1EEEvT1_, .Lfunc_end16-_ZN7rocprim17ROCPRIM_400000_NS6detail17trampoline_kernelINS0_14default_configENS1_25transform_config_selectorIaLb0EEEZNS1_14transform_implILb0ES3_S5_NS0_18transform_iteratorINS0_17counting_iteratorImlEEZNS1_24adjacent_difference_implIS3_Lb1ELb0EPaSB_N6thrust23THRUST_200600_302600_NS5minusIaEEEE10hipError_tPvRmT2_T3_mT4_P12ihipStream_tbEUlmE_aEESB_NS0_8identityIvEEEESG_SJ_SK_mSL_SN_bEUlT_E_NS1_11comp_targetILNS1_3genE9ELNS1_11target_archE1100ELNS1_3gpuE3ELNS1_3repE0EEENS1_30default_config_static_selectorELNS0_4arch9wavefront6targetE1EEEvT1_
                                        ; -- End function
	.section	.AMDGPU.csdata,"",@progbits
; Kernel info:
; codeLenInByte = 0
; NumSgprs: 4
; NumVgprs: 0
; NumAgprs: 0
; TotalNumVgprs: 0
; ScratchSize: 0
; MemoryBound: 0
; FloatMode: 240
; IeeeMode: 1
; LDSByteSize: 0 bytes/workgroup (compile time only)
; SGPRBlocks: 0
; VGPRBlocks: 0
; NumSGPRsForWavesPerEU: 4
; NumVGPRsForWavesPerEU: 1
; AccumOffset: 4
; Occupancy: 8
; WaveLimiterHint : 0
; COMPUTE_PGM_RSRC2:SCRATCH_EN: 0
; COMPUTE_PGM_RSRC2:USER_SGPR: 6
; COMPUTE_PGM_RSRC2:TRAP_HANDLER: 0
; COMPUTE_PGM_RSRC2:TGID_X_EN: 1
; COMPUTE_PGM_RSRC2:TGID_Y_EN: 0
; COMPUTE_PGM_RSRC2:TGID_Z_EN: 0
; COMPUTE_PGM_RSRC2:TIDIG_COMP_CNT: 0
; COMPUTE_PGM_RSRC3_GFX90A:ACCUM_OFFSET: 0
; COMPUTE_PGM_RSRC3_GFX90A:TG_SPLIT: 0
	.section	.text._ZN7rocprim17ROCPRIM_400000_NS6detail17trampoline_kernelINS0_14default_configENS1_25transform_config_selectorIaLb0EEEZNS1_14transform_implILb0ES3_S5_NS0_18transform_iteratorINS0_17counting_iteratorImlEEZNS1_24adjacent_difference_implIS3_Lb1ELb0EPaSB_N6thrust23THRUST_200600_302600_NS5minusIaEEEE10hipError_tPvRmT2_T3_mT4_P12ihipStream_tbEUlmE_aEESB_NS0_8identityIvEEEESG_SJ_SK_mSL_SN_bEUlT_E_NS1_11comp_targetILNS1_3genE8ELNS1_11target_archE1030ELNS1_3gpuE2ELNS1_3repE0EEENS1_30default_config_static_selectorELNS0_4arch9wavefront6targetE1EEEvT1_,"axG",@progbits,_ZN7rocprim17ROCPRIM_400000_NS6detail17trampoline_kernelINS0_14default_configENS1_25transform_config_selectorIaLb0EEEZNS1_14transform_implILb0ES3_S5_NS0_18transform_iteratorINS0_17counting_iteratorImlEEZNS1_24adjacent_difference_implIS3_Lb1ELb0EPaSB_N6thrust23THRUST_200600_302600_NS5minusIaEEEE10hipError_tPvRmT2_T3_mT4_P12ihipStream_tbEUlmE_aEESB_NS0_8identityIvEEEESG_SJ_SK_mSL_SN_bEUlT_E_NS1_11comp_targetILNS1_3genE8ELNS1_11target_archE1030ELNS1_3gpuE2ELNS1_3repE0EEENS1_30default_config_static_selectorELNS0_4arch9wavefront6targetE1EEEvT1_,comdat
	.protected	_ZN7rocprim17ROCPRIM_400000_NS6detail17trampoline_kernelINS0_14default_configENS1_25transform_config_selectorIaLb0EEEZNS1_14transform_implILb0ES3_S5_NS0_18transform_iteratorINS0_17counting_iteratorImlEEZNS1_24adjacent_difference_implIS3_Lb1ELb0EPaSB_N6thrust23THRUST_200600_302600_NS5minusIaEEEE10hipError_tPvRmT2_T3_mT4_P12ihipStream_tbEUlmE_aEESB_NS0_8identityIvEEEESG_SJ_SK_mSL_SN_bEUlT_E_NS1_11comp_targetILNS1_3genE8ELNS1_11target_archE1030ELNS1_3gpuE2ELNS1_3repE0EEENS1_30default_config_static_selectorELNS0_4arch9wavefront6targetE1EEEvT1_ ; -- Begin function _ZN7rocprim17ROCPRIM_400000_NS6detail17trampoline_kernelINS0_14default_configENS1_25transform_config_selectorIaLb0EEEZNS1_14transform_implILb0ES3_S5_NS0_18transform_iteratorINS0_17counting_iteratorImlEEZNS1_24adjacent_difference_implIS3_Lb1ELb0EPaSB_N6thrust23THRUST_200600_302600_NS5minusIaEEEE10hipError_tPvRmT2_T3_mT4_P12ihipStream_tbEUlmE_aEESB_NS0_8identityIvEEEESG_SJ_SK_mSL_SN_bEUlT_E_NS1_11comp_targetILNS1_3genE8ELNS1_11target_archE1030ELNS1_3gpuE2ELNS1_3repE0EEENS1_30default_config_static_selectorELNS0_4arch9wavefront6targetE1EEEvT1_
	.globl	_ZN7rocprim17ROCPRIM_400000_NS6detail17trampoline_kernelINS0_14default_configENS1_25transform_config_selectorIaLb0EEEZNS1_14transform_implILb0ES3_S5_NS0_18transform_iteratorINS0_17counting_iteratorImlEEZNS1_24adjacent_difference_implIS3_Lb1ELb0EPaSB_N6thrust23THRUST_200600_302600_NS5minusIaEEEE10hipError_tPvRmT2_T3_mT4_P12ihipStream_tbEUlmE_aEESB_NS0_8identityIvEEEESG_SJ_SK_mSL_SN_bEUlT_E_NS1_11comp_targetILNS1_3genE8ELNS1_11target_archE1030ELNS1_3gpuE2ELNS1_3repE0EEENS1_30default_config_static_selectorELNS0_4arch9wavefront6targetE1EEEvT1_
	.p2align	8
	.type	_ZN7rocprim17ROCPRIM_400000_NS6detail17trampoline_kernelINS0_14default_configENS1_25transform_config_selectorIaLb0EEEZNS1_14transform_implILb0ES3_S5_NS0_18transform_iteratorINS0_17counting_iteratorImlEEZNS1_24adjacent_difference_implIS3_Lb1ELb0EPaSB_N6thrust23THRUST_200600_302600_NS5minusIaEEEE10hipError_tPvRmT2_T3_mT4_P12ihipStream_tbEUlmE_aEESB_NS0_8identityIvEEEESG_SJ_SK_mSL_SN_bEUlT_E_NS1_11comp_targetILNS1_3genE8ELNS1_11target_archE1030ELNS1_3gpuE2ELNS1_3repE0EEENS1_30default_config_static_selectorELNS0_4arch9wavefront6targetE1EEEvT1_,@function
_ZN7rocprim17ROCPRIM_400000_NS6detail17trampoline_kernelINS0_14default_configENS1_25transform_config_selectorIaLb0EEEZNS1_14transform_implILb0ES3_S5_NS0_18transform_iteratorINS0_17counting_iteratorImlEEZNS1_24adjacent_difference_implIS3_Lb1ELb0EPaSB_N6thrust23THRUST_200600_302600_NS5minusIaEEEE10hipError_tPvRmT2_T3_mT4_P12ihipStream_tbEUlmE_aEESB_NS0_8identityIvEEEESG_SJ_SK_mSL_SN_bEUlT_E_NS1_11comp_targetILNS1_3genE8ELNS1_11target_archE1030ELNS1_3gpuE2ELNS1_3repE0EEENS1_30default_config_static_selectorELNS0_4arch9wavefront6targetE1EEEvT1_: ; @_ZN7rocprim17ROCPRIM_400000_NS6detail17trampoline_kernelINS0_14default_configENS1_25transform_config_selectorIaLb0EEEZNS1_14transform_implILb0ES3_S5_NS0_18transform_iteratorINS0_17counting_iteratorImlEEZNS1_24adjacent_difference_implIS3_Lb1ELb0EPaSB_N6thrust23THRUST_200600_302600_NS5minusIaEEEE10hipError_tPvRmT2_T3_mT4_P12ihipStream_tbEUlmE_aEESB_NS0_8identityIvEEEESG_SJ_SK_mSL_SN_bEUlT_E_NS1_11comp_targetILNS1_3genE8ELNS1_11target_archE1030ELNS1_3gpuE2ELNS1_3repE0EEENS1_30default_config_static_selectorELNS0_4arch9wavefront6targetE1EEEvT1_
; %bb.0:
	.section	.rodata,"a",@progbits
	.p2align	6, 0x0
	.amdhsa_kernel _ZN7rocprim17ROCPRIM_400000_NS6detail17trampoline_kernelINS0_14default_configENS1_25transform_config_selectorIaLb0EEEZNS1_14transform_implILb0ES3_S5_NS0_18transform_iteratorINS0_17counting_iteratorImlEEZNS1_24adjacent_difference_implIS3_Lb1ELb0EPaSB_N6thrust23THRUST_200600_302600_NS5minusIaEEEE10hipError_tPvRmT2_T3_mT4_P12ihipStream_tbEUlmE_aEESB_NS0_8identityIvEEEESG_SJ_SK_mSL_SN_bEUlT_E_NS1_11comp_targetILNS1_3genE8ELNS1_11target_archE1030ELNS1_3gpuE2ELNS1_3repE0EEENS1_30default_config_static_selectorELNS0_4arch9wavefront6targetE1EEEvT1_
		.amdhsa_group_segment_fixed_size 0
		.amdhsa_private_segment_fixed_size 0
		.amdhsa_kernarg_size 56
		.amdhsa_user_sgpr_count 6
		.amdhsa_user_sgpr_private_segment_buffer 1
		.amdhsa_user_sgpr_dispatch_ptr 0
		.amdhsa_user_sgpr_queue_ptr 0
		.amdhsa_user_sgpr_kernarg_segment_ptr 1
		.amdhsa_user_sgpr_dispatch_id 0
		.amdhsa_user_sgpr_flat_scratch_init 0
		.amdhsa_user_sgpr_kernarg_preload_length 0
		.amdhsa_user_sgpr_kernarg_preload_offset 0
		.amdhsa_user_sgpr_private_segment_size 0
		.amdhsa_uses_dynamic_stack 0
		.amdhsa_system_sgpr_private_segment_wavefront_offset 0
		.amdhsa_system_sgpr_workgroup_id_x 1
		.amdhsa_system_sgpr_workgroup_id_y 0
		.amdhsa_system_sgpr_workgroup_id_z 0
		.amdhsa_system_sgpr_workgroup_info 0
		.amdhsa_system_vgpr_workitem_id 0
		.amdhsa_next_free_vgpr 1
		.amdhsa_next_free_sgpr 0
		.amdhsa_accum_offset 4
		.amdhsa_reserve_vcc 0
		.amdhsa_reserve_flat_scratch 0
		.amdhsa_float_round_mode_32 0
		.amdhsa_float_round_mode_16_64 0
		.amdhsa_float_denorm_mode_32 3
		.amdhsa_float_denorm_mode_16_64 3
		.amdhsa_dx10_clamp 1
		.amdhsa_ieee_mode 1
		.amdhsa_fp16_overflow 0
		.amdhsa_tg_split 0
		.amdhsa_exception_fp_ieee_invalid_op 0
		.amdhsa_exception_fp_denorm_src 0
		.amdhsa_exception_fp_ieee_div_zero 0
		.amdhsa_exception_fp_ieee_overflow 0
		.amdhsa_exception_fp_ieee_underflow 0
		.amdhsa_exception_fp_ieee_inexact 0
		.amdhsa_exception_int_div_zero 0
	.end_amdhsa_kernel
	.section	.text._ZN7rocprim17ROCPRIM_400000_NS6detail17trampoline_kernelINS0_14default_configENS1_25transform_config_selectorIaLb0EEEZNS1_14transform_implILb0ES3_S5_NS0_18transform_iteratorINS0_17counting_iteratorImlEEZNS1_24adjacent_difference_implIS3_Lb1ELb0EPaSB_N6thrust23THRUST_200600_302600_NS5minusIaEEEE10hipError_tPvRmT2_T3_mT4_P12ihipStream_tbEUlmE_aEESB_NS0_8identityIvEEEESG_SJ_SK_mSL_SN_bEUlT_E_NS1_11comp_targetILNS1_3genE8ELNS1_11target_archE1030ELNS1_3gpuE2ELNS1_3repE0EEENS1_30default_config_static_selectorELNS0_4arch9wavefront6targetE1EEEvT1_,"axG",@progbits,_ZN7rocprim17ROCPRIM_400000_NS6detail17trampoline_kernelINS0_14default_configENS1_25transform_config_selectorIaLb0EEEZNS1_14transform_implILb0ES3_S5_NS0_18transform_iteratorINS0_17counting_iteratorImlEEZNS1_24adjacent_difference_implIS3_Lb1ELb0EPaSB_N6thrust23THRUST_200600_302600_NS5minusIaEEEE10hipError_tPvRmT2_T3_mT4_P12ihipStream_tbEUlmE_aEESB_NS0_8identityIvEEEESG_SJ_SK_mSL_SN_bEUlT_E_NS1_11comp_targetILNS1_3genE8ELNS1_11target_archE1030ELNS1_3gpuE2ELNS1_3repE0EEENS1_30default_config_static_selectorELNS0_4arch9wavefront6targetE1EEEvT1_,comdat
.Lfunc_end17:
	.size	_ZN7rocprim17ROCPRIM_400000_NS6detail17trampoline_kernelINS0_14default_configENS1_25transform_config_selectorIaLb0EEEZNS1_14transform_implILb0ES3_S5_NS0_18transform_iteratorINS0_17counting_iteratorImlEEZNS1_24adjacent_difference_implIS3_Lb1ELb0EPaSB_N6thrust23THRUST_200600_302600_NS5minusIaEEEE10hipError_tPvRmT2_T3_mT4_P12ihipStream_tbEUlmE_aEESB_NS0_8identityIvEEEESG_SJ_SK_mSL_SN_bEUlT_E_NS1_11comp_targetILNS1_3genE8ELNS1_11target_archE1030ELNS1_3gpuE2ELNS1_3repE0EEENS1_30default_config_static_selectorELNS0_4arch9wavefront6targetE1EEEvT1_, .Lfunc_end17-_ZN7rocprim17ROCPRIM_400000_NS6detail17trampoline_kernelINS0_14default_configENS1_25transform_config_selectorIaLb0EEEZNS1_14transform_implILb0ES3_S5_NS0_18transform_iteratorINS0_17counting_iteratorImlEEZNS1_24adjacent_difference_implIS3_Lb1ELb0EPaSB_N6thrust23THRUST_200600_302600_NS5minusIaEEEE10hipError_tPvRmT2_T3_mT4_P12ihipStream_tbEUlmE_aEESB_NS0_8identityIvEEEESG_SJ_SK_mSL_SN_bEUlT_E_NS1_11comp_targetILNS1_3genE8ELNS1_11target_archE1030ELNS1_3gpuE2ELNS1_3repE0EEENS1_30default_config_static_selectorELNS0_4arch9wavefront6targetE1EEEvT1_
                                        ; -- End function
	.section	.AMDGPU.csdata,"",@progbits
; Kernel info:
; codeLenInByte = 0
; NumSgprs: 4
; NumVgprs: 0
; NumAgprs: 0
; TotalNumVgprs: 0
; ScratchSize: 0
; MemoryBound: 0
; FloatMode: 240
; IeeeMode: 1
; LDSByteSize: 0 bytes/workgroup (compile time only)
; SGPRBlocks: 0
; VGPRBlocks: 0
; NumSGPRsForWavesPerEU: 4
; NumVGPRsForWavesPerEU: 1
; AccumOffset: 4
; Occupancy: 8
; WaveLimiterHint : 0
; COMPUTE_PGM_RSRC2:SCRATCH_EN: 0
; COMPUTE_PGM_RSRC2:USER_SGPR: 6
; COMPUTE_PGM_RSRC2:TRAP_HANDLER: 0
; COMPUTE_PGM_RSRC2:TGID_X_EN: 1
; COMPUTE_PGM_RSRC2:TGID_Y_EN: 0
; COMPUTE_PGM_RSRC2:TGID_Z_EN: 0
; COMPUTE_PGM_RSRC2:TIDIG_COMP_CNT: 0
; COMPUTE_PGM_RSRC3_GFX90A:ACCUM_OFFSET: 0
; COMPUTE_PGM_RSRC3_GFX90A:TG_SPLIT: 0
	.section	.text._ZN7rocprim17ROCPRIM_400000_NS6detail17trampoline_kernelINS0_14default_configENS1_35adjacent_difference_config_selectorILb1EaEEZNS1_24adjacent_difference_implIS3_Lb1ELb0EPaS7_N6thrust23THRUST_200600_302600_NS5minusIaEEEE10hipError_tPvRmT2_T3_mT4_P12ihipStream_tbEUlT_E_NS1_11comp_targetILNS1_3genE0ELNS1_11target_archE4294967295ELNS1_3gpuE0ELNS1_3repE0EEENS1_30default_config_static_selectorELNS0_4arch9wavefront6targetE1EEEvT1_,"axG",@progbits,_ZN7rocprim17ROCPRIM_400000_NS6detail17trampoline_kernelINS0_14default_configENS1_35adjacent_difference_config_selectorILb1EaEEZNS1_24adjacent_difference_implIS3_Lb1ELb0EPaS7_N6thrust23THRUST_200600_302600_NS5minusIaEEEE10hipError_tPvRmT2_T3_mT4_P12ihipStream_tbEUlT_E_NS1_11comp_targetILNS1_3genE0ELNS1_11target_archE4294967295ELNS1_3gpuE0ELNS1_3repE0EEENS1_30default_config_static_selectorELNS0_4arch9wavefront6targetE1EEEvT1_,comdat
	.protected	_ZN7rocprim17ROCPRIM_400000_NS6detail17trampoline_kernelINS0_14default_configENS1_35adjacent_difference_config_selectorILb1EaEEZNS1_24adjacent_difference_implIS3_Lb1ELb0EPaS7_N6thrust23THRUST_200600_302600_NS5minusIaEEEE10hipError_tPvRmT2_T3_mT4_P12ihipStream_tbEUlT_E_NS1_11comp_targetILNS1_3genE0ELNS1_11target_archE4294967295ELNS1_3gpuE0ELNS1_3repE0EEENS1_30default_config_static_selectorELNS0_4arch9wavefront6targetE1EEEvT1_ ; -- Begin function _ZN7rocprim17ROCPRIM_400000_NS6detail17trampoline_kernelINS0_14default_configENS1_35adjacent_difference_config_selectorILb1EaEEZNS1_24adjacent_difference_implIS3_Lb1ELb0EPaS7_N6thrust23THRUST_200600_302600_NS5minusIaEEEE10hipError_tPvRmT2_T3_mT4_P12ihipStream_tbEUlT_E_NS1_11comp_targetILNS1_3genE0ELNS1_11target_archE4294967295ELNS1_3gpuE0ELNS1_3repE0EEENS1_30default_config_static_selectorELNS0_4arch9wavefront6targetE1EEEvT1_
	.globl	_ZN7rocprim17ROCPRIM_400000_NS6detail17trampoline_kernelINS0_14default_configENS1_35adjacent_difference_config_selectorILb1EaEEZNS1_24adjacent_difference_implIS3_Lb1ELb0EPaS7_N6thrust23THRUST_200600_302600_NS5minusIaEEEE10hipError_tPvRmT2_T3_mT4_P12ihipStream_tbEUlT_E_NS1_11comp_targetILNS1_3genE0ELNS1_11target_archE4294967295ELNS1_3gpuE0ELNS1_3repE0EEENS1_30default_config_static_selectorELNS0_4arch9wavefront6targetE1EEEvT1_
	.p2align	8
	.type	_ZN7rocprim17ROCPRIM_400000_NS6detail17trampoline_kernelINS0_14default_configENS1_35adjacent_difference_config_selectorILb1EaEEZNS1_24adjacent_difference_implIS3_Lb1ELb0EPaS7_N6thrust23THRUST_200600_302600_NS5minusIaEEEE10hipError_tPvRmT2_T3_mT4_P12ihipStream_tbEUlT_E_NS1_11comp_targetILNS1_3genE0ELNS1_11target_archE4294967295ELNS1_3gpuE0ELNS1_3repE0EEENS1_30default_config_static_selectorELNS0_4arch9wavefront6targetE1EEEvT1_,@function
_ZN7rocprim17ROCPRIM_400000_NS6detail17trampoline_kernelINS0_14default_configENS1_35adjacent_difference_config_selectorILb1EaEEZNS1_24adjacent_difference_implIS3_Lb1ELb0EPaS7_N6thrust23THRUST_200600_302600_NS5minusIaEEEE10hipError_tPvRmT2_T3_mT4_P12ihipStream_tbEUlT_E_NS1_11comp_targetILNS1_3genE0ELNS1_11target_archE4294967295ELNS1_3gpuE0ELNS1_3repE0EEENS1_30default_config_static_selectorELNS0_4arch9wavefront6targetE1EEEvT1_: ; @_ZN7rocprim17ROCPRIM_400000_NS6detail17trampoline_kernelINS0_14default_configENS1_35adjacent_difference_config_selectorILb1EaEEZNS1_24adjacent_difference_implIS3_Lb1ELb0EPaS7_N6thrust23THRUST_200600_302600_NS5minusIaEEEE10hipError_tPvRmT2_T3_mT4_P12ihipStream_tbEUlT_E_NS1_11comp_targetILNS1_3genE0ELNS1_11target_archE4294967295ELNS1_3gpuE0ELNS1_3repE0EEENS1_30default_config_static_selectorELNS0_4arch9wavefront6targetE1EEEvT1_
; %bb.0:
	.section	.rodata,"a",@progbits
	.p2align	6, 0x0
	.amdhsa_kernel _ZN7rocprim17ROCPRIM_400000_NS6detail17trampoline_kernelINS0_14default_configENS1_35adjacent_difference_config_selectorILb1EaEEZNS1_24adjacent_difference_implIS3_Lb1ELb0EPaS7_N6thrust23THRUST_200600_302600_NS5minusIaEEEE10hipError_tPvRmT2_T3_mT4_P12ihipStream_tbEUlT_E_NS1_11comp_targetILNS1_3genE0ELNS1_11target_archE4294967295ELNS1_3gpuE0ELNS1_3repE0EEENS1_30default_config_static_selectorELNS0_4arch9wavefront6targetE1EEEvT1_
		.amdhsa_group_segment_fixed_size 0
		.amdhsa_private_segment_fixed_size 0
		.amdhsa_kernarg_size 56
		.amdhsa_user_sgpr_count 6
		.amdhsa_user_sgpr_private_segment_buffer 1
		.amdhsa_user_sgpr_dispatch_ptr 0
		.amdhsa_user_sgpr_queue_ptr 0
		.amdhsa_user_sgpr_kernarg_segment_ptr 1
		.amdhsa_user_sgpr_dispatch_id 0
		.amdhsa_user_sgpr_flat_scratch_init 0
		.amdhsa_user_sgpr_kernarg_preload_length 0
		.amdhsa_user_sgpr_kernarg_preload_offset 0
		.amdhsa_user_sgpr_private_segment_size 0
		.amdhsa_uses_dynamic_stack 0
		.amdhsa_system_sgpr_private_segment_wavefront_offset 0
		.amdhsa_system_sgpr_workgroup_id_x 1
		.amdhsa_system_sgpr_workgroup_id_y 0
		.amdhsa_system_sgpr_workgroup_id_z 0
		.amdhsa_system_sgpr_workgroup_info 0
		.amdhsa_system_vgpr_workitem_id 0
		.amdhsa_next_free_vgpr 1
		.amdhsa_next_free_sgpr 0
		.amdhsa_accum_offset 4
		.amdhsa_reserve_vcc 0
		.amdhsa_reserve_flat_scratch 0
		.amdhsa_float_round_mode_32 0
		.amdhsa_float_round_mode_16_64 0
		.amdhsa_float_denorm_mode_32 3
		.amdhsa_float_denorm_mode_16_64 3
		.amdhsa_dx10_clamp 1
		.amdhsa_ieee_mode 1
		.amdhsa_fp16_overflow 0
		.amdhsa_tg_split 0
		.amdhsa_exception_fp_ieee_invalid_op 0
		.amdhsa_exception_fp_denorm_src 0
		.amdhsa_exception_fp_ieee_div_zero 0
		.amdhsa_exception_fp_ieee_overflow 0
		.amdhsa_exception_fp_ieee_underflow 0
		.amdhsa_exception_fp_ieee_inexact 0
		.amdhsa_exception_int_div_zero 0
	.end_amdhsa_kernel
	.section	.text._ZN7rocprim17ROCPRIM_400000_NS6detail17trampoline_kernelINS0_14default_configENS1_35adjacent_difference_config_selectorILb1EaEEZNS1_24adjacent_difference_implIS3_Lb1ELb0EPaS7_N6thrust23THRUST_200600_302600_NS5minusIaEEEE10hipError_tPvRmT2_T3_mT4_P12ihipStream_tbEUlT_E_NS1_11comp_targetILNS1_3genE0ELNS1_11target_archE4294967295ELNS1_3gpuE0ELNS1_3repE0EEENS1_30default_config_static_selectorELNS0_4arch9wavefront6targetE1EEEvT1_,"axG",@progbits,_ZN7rocprim17ROCPRIM_400000_NS6detail17trampoline_kernelINS0_14default_configENS1_35adjacent_difference_config_selectorILb1EaEEZNS1_24adjacent_difference_implIS3_Lb1ELb0EPaS7_N6thrust23THRUST_200600_302600_NS5minusIaEEEE10hipError_tPvRmT2_T3_mT4_P12ihipStream_tbEUlT_E_NS1_11comp_targetILNS1_3genE0ELNS1_11target_archE4294967295ELNS1_3gpuE0ELNS1_3repE0EEENS1_30default_config_static_selectorELNS0_4arch9wavefront6targetE1EEEvT1_,comdat
.Lfunc_end18:
	.size	_ZN7rocprim17ROCPRIM_400000_NS6detail17trampoline_kernelINS0_14default_configENS1_35adjacent_difference_config_selectorILb1EaEEZNS1_24adjacent_difference_implIS3_Lb1ELb0EPaS7_N6thrust23THRUST_200600_302600_NS5minusIaEEEE10hipError_tPvRmT2_T3_mT4_P12ihipStream_tbEUlT_E_NS1_11comp_targetILNS1_3genE0ELNS1_11target_archE4294967295ELNS1_3gpuE0ELNS1_3repE0EEENS1_30default_config_static_selectorELNS0_4arch9wavefront6targetE1EEEvT1_, .Lfunc_end18-_ZN7rocprim17ROCPRIM_400000_NS6detail17trampoline_kernelINS0_14default_configENS1_35adjacent_difference_config_selectorILb1EaEEZNS1_24adjacent_difference_implIS3_Lb1ELb0EPaS7_N6thrust23THRUST_200600_302600_NS5minusIaEEEE10hipError_tPvRmT2_T3_mT4_P12ihipStream_tbEUlT_E_NS1_11comp_targetILNS1_3genE0ELNS1_11target_archE4294967295ELNS1_3gpuE0ELNS1_3repE0EEENS1_30default_config_static_selectorELNS0_4arch9wavefront6targetE1EEEvT1_
                                        ; -- End function
	.section	.AMDGPU.csdata,"",@progbits
; Kernel info:
; codeLenInByte = 0
; NumSgprs: 4
; NumVgprs: 0
; NumAgprs: 0
; TotalNumVgprs: 0
; ScratchSize: 0
; MemoryBound: 0
; FloatMode: 240
; IeeeMode: 1
; LDSByteSize: 0 bytes/workgroup (compile time only)
; SGPRBlocks: 0
; VGPRBlocks: 0
; NumSGPRsForWavesPerEU: 4
; NumVGPRsForWavesPerEU: 1
; AccumOffset: 4
; Occupancy: 8
; WaveLimiterHint : 0
; COMPUTE_PGM_RSRC2:SCRATCH_EN: 0
; COMPUTE_PGM_RSRC2:USER_SGPR: 6
; COMPUTE_PGM_RSRC2:TRAP_HANDLER: 0
; COMPUTE_PGM_RSRC2:TGID_X_EN: 1
; COMPUTE_PGM_RSRC2:TGID_Y_EN: 0
; COMPUTE_PGM_RSRC2:TGID_Z_EN: 0
; COMPUTE_PGM_RSRC2:TIDIG_COMP_CNT: 0
; COMPUTE_PGM_RSRC3_GFX90A:ACCUM_OFFSET: 0
; COMPUTE_PGM_RSRC3_GFX90A:TG_SPLIT: 0
	.section	.text._ZN7rocprim17ROCPRIM_400000_NS6detail17trampoline_kernelINS0_14default_configENS1_35adjacent_difference_config_selectorILb1EaEEZNS1_24adjacent_difference_implIS3_Lb1ELb0EPaS7_N6thrust23THRUST_200600_302600_NS5minusIaEEEE10hipError_tPvRmT2_T3_mT4_P12ihipStream_tbEUlT_E_NS1_11comp_targetILNS1_3genE10ELNS1_11target_archE1201ELNS1_3gpuE5ELNS1_3repE0EEENS1_30default_config_static_selectorELNS0_4arch9wavefront6targetE1EEEvT1_,"axG",@progbits,_ZN7rocprim17ROCPRIM_400000_NS6detail17trampoline_kernelINS0_14default_configENS1_35adjacent_difference_config_selectorILb1EaEEZNS1_24adjacent_difference_implIS3_Lb1ELb0EPaS7_N6thrust23THRUST_200600_302600_NS5minusIaEEEE10hipError_tPvRmT2_T3_mT4_P12ihipStream_tbEUlT_E_NS1_11comp_targetILNS1_3genE10ELNS1_11target_archE1201ELNS1_3gpuE5ELNS1_3repE0EEENS1_30default_config_static_selectorELNS0_4arch9wavefront6targetE1EEEvT1_,comdat
	.protected	_ZN7rocprim17ROCPRIM_400000_NS6detail17trampoline_kernelINS0_14default_configENS1_35adjacent_difference_config_selectorILb1EaEEZNS1_24adjacent_difference_implIS3_Lb1ELb0EPaS7_N6thrust23THRUST_200600_302600_NS5minusIaEEEE10hipError_tPvRmT2_T3_mT4_P12ihipStream_tbEUlT_E_NS1_11comp_targetILNS1_3genE10ELNS1_11target_archE1201ELNS1_3gpuE5ELNS1_3repE0EEENS1_30default_config_static_selectorELNS0_4arch9wavefront6targetE1EEEvT1_ ; -- Begin function _ZN7rocprim17ROCPRIM_400000_NS6detail17trampoline_kernelINS0_14default_configENS1_35adjacent_difference_config_selectorILb1EaEEZNS1_24adjacent_difference_implIS3_Lb1ELb0EPaS7_N6thrust23THRUST_200600_302600_NS5minusIaEEEE10hipError_tPvRmT2_T3_mT4_P12ihipStream_tbEUlT_E_NS1_11comp_targetILNS1_3genE10ELNS1_11target_archE1201ELNS1_3gpuE5ELNS1_3repE0EEENS1_30default_config_static_selectorELNS0_4arch9wavefront6targetE1EEEvT1_
	.globl	_ZN7rocprim17ROCPRIM_400000_NS6detail17trampoline_kernelINS0_14default_configENS1_35adjacent_difference_config_selectorILb1EaEEZNS1_24adjacent_difference_implIS3_Lb1ELb0EPaS7_N6thrust23THRUST_200600_302600_NS5minusIaEEEE10hipError_tPvRmT2_T3_mT4_P12ihipStream_tbEUlT_E_NS1_11comp_targetILNS1_3genE10ELNS1_11target_archE1201ELNS1_3gpuE5ELNS1_3repE0EEENS1_30default_config_static_selectorELNS0_4arch9wavefront6targetE1EEEvT1_
	.p2align	8
	.type	_ZN7rocprim17ROCPRIM_400000_NS6detail17trampoline_kernelINS0_14default_configENS1_35adjacent_difference_config_selectorILb1EaEEZNS1_24adjacent_difference_implIS3_Lb1ELb0EPaS7_N6thrust23THRUST_200600_302600_NS5minusIaEEEE10hipError_tPvRmT2_T3_mT4_P12ihipStream_tbEUlT_E_NS1_11comp_targetILNS1_3genE10ELNS1_11target_archE1201ELNS1_3gpuE5ELNS1_3repE0EEENS1_30default_config_static_selectorELNS0_4arch9wavefront6targetE1EEEvT1_,@function
_ZN7rocprim17ROCPRIM_400000_NS6detail17trampoline_kernelINS0_14default_configENS1_35adjacent_difference_config_selectorILb1EaEEZNS1_24adjacent_difference_implIS3_Lb1ELb0EPaS7_N6thrust23THRUST_200600_302600_NS5minusIaEEEE10hipError_tPvRmT2_T3_mT4_P12ihipStream_tbEUlT_E_NS1_11comp_targetILNS1_3genE10ELNS1_11target_archE1201ELNS1_3gpuE5ELNS1_3repE0EEENS1_30default_config_static_selectorELNS0_4arch9wavefront6targetE1EEEvT1_: ; @_ZN7rocprim17ROCPRIM_400000_NS6detail17trampoline_kernelINS0_14default_configENS1_35adjacent_difference_config_selectorILb1EaEEZNS1_24adjacent_difference_implIS3_Lb1ELb0EPaS7_N6thrust23THRUST_200600_302600_NS5minusIaEEEE10hipError_tPvRmT2_T3_mT4_P12ihipStream_tbEUlT_E_NS1_11comp_targetILNS1_3genE10ELNS1_11target_archE1201ELNS1_3gpuE5ELNS1_3repE0EEENS1_30default_config_static_selectorELNS0_4arch9wavefront6targetE1EEEvT1_
; %bb.0:
	.section	.rodata,"a",@progbits
	.p2align	6, 0x0
	.amdhsa_kernel _ZN7rocprim17ROCPRIM_400000_NS6detail17trampoline_kernelINS0_14default_configENS1_35adjacent_difference_config_selectorILb1EaEEZNS1_24adjacent_difference_implIS3_Lb1ELb0EPaS7_N6thrust23THRUST_200600_302600_NS5minusIaEEEE10hipError_tPvRmT2_T3_mT4_P12ihipStream_tbEUlT_E_NS1_11comp_targetILNS1_3genE10ELNS1_11target_archE1201ELNS1_3gpuE5ELNS1_3repE0EEENS1_30default_config_static_selectorELNS0_4arch9wavefront6targetE1EEEvT1_
		.amdhsa_group_segment_fixed_size 0
		.amdhsa_private_segment_fixed_size 0
		.amdhsa_kernarg_size 56
		.amdhsa_user_sgpr_count 6
		.amdhsa_user_sgpr_private_segment_buffer 1
		.amdhsa_user_sgpr_dispatch_ptr 0
		.amdhsa_user_sgpr_queue_ptr 0
		.amdhsa_user_sgpr_kernarg_segment_ptr 1
		.amdhsa_user_sgpr_dispatch_id 0
		.amdhsa_user_sgpr_flat_scratch_init 0
		.amdhsa_user_sgpr_kernarg_preload_length 0
		.amdhsa_user_sgpr_kernarg_preload_offset 0
		.amdhsa_user_sgpr_private_segment_size 0
		.amdhsa_uses_dynamic_stack 0
		.amdhsa_system_sgpr_private_segment_wavefront_offset 0
		.amdhsa_system_sgpr_workgroup_id_x 1
		.amdhsa_system_sgpr_workgroup_id_y 0
		.amdhsa_system_sgpr_workgroup_id_z 0
		.amdhsa_system_sgpr_workgroup_info 0
		.amdhsa_system_vgpr_workitem_id 0
		.amdhsa_next_free_vgpr 1
		.amdhsa_next_free_sgpr 0
		.amdhsa_accum_offset 4
		.amdhsa_reserve_vcc 0
		.amdhsa_reserve_flat_scratch 0
		.amdhsa_float_round_mode_32 0
		.amdhsa_float_round_mode_16_64 0
		.amdhsa_float_denorm_mode_32 3
		.amdhsa_float_denorm_mode_16_64 3
		.amdhsa_dx10_clamp 1
		.amdhsa_ieee_mode 1
		.amdhsa_fp16_overflow 0
		.amdhsa_tg_split 0
		.amdhsa_exception_fp_ieee_invalid_op 0
		.amdhsa_exception_fp_denorm_src 0
		.amdhsa_exception_fp_ieee_div_zero 0
		.amdhsa_exception_fp_ieee_overflow 0
		.amdhsa_exception_fp_ieee_underflow 0
		.amdhsa_exception_fp_ieee_inexact 0
		.amdhsa_exception_int_div_zero 0
	.end_amdhsa_kernel
	.section	.text._ZN7rocprim17ROCPRIM_400000_NS6detail17trampoline_kernelINS0_14default_configENS1_35adjacent_difference_config_selectorILb1EaEEZNS1_24adjacent_difference_implIS3_Lb1ELb0EPaS7_N6thrust23THRUST_200600_302600_NS5minusIaEEEE10hipError_tPvRmT2_T3_mT4_P12ihipStream_tbEUlT_E_NS1_11comp_targetILNS1_3genE10ELNS1_11target_archE1201ELNS1_3gpuE5ELNS1_3repE0EEENS1_30default_config_static_selectorELNS0_4arch9wavefront6targetE1EEEvT1_,"axG",@progbits,_ZN7rocprim17ROCPRIM_400000_NS6detail17trampoline_kernelINS0_14default_configENS1_35adjacent_difference_config_selectorILb1EaEEZNS1_24adjacent_difference_implIS3_Lb1ELb0EPaS7_N6thrust23THRUST_200600_302600_NS5minusIaEEEE10hipError_tPvRmT2_T3_mT4_P12ihipStream_tbEUlT_E_NS1_11comp_targetILNS1_3genE10ELNS1_11target_archE1201ELNS1_3gpuE5ELNS1_3repE0EEENS1_30default_config_static_selectorELNS0_4arch9wavefront6targetE1EEEvT1_,comdat
.Lfunc_end19:
	.size	_ZN7rocprim17ROCPRIM_400000_NS6detail17trampoline_kernelINS0_14default_configENS1_35adjacent_difference_config_selectorILb1EaEEZNS1_24adjacent_difference_implIS3_Lb1ELb0EPaS7_N6thrust23THRUST_200600_302600_NS5minusIaEEEE10hipError_tPvRmT2_T3_mT4_P12ihipStream_tbEUlT_E_NS1_11comp_targetILNS1_3genE10ELNS1_11target_archE1201ELNS1_3gpuE5ELNS1_3repE0EEENS1_30default_config_static_selectorELNS0_4arch9wavefront6targetE1EEEvT1_, .Lfunc_end19-_ZN7rocprim17ROCPRIM_400000_NS6detail17trampoline_kernelINS0_14default_configENS1_35adjacent_difference_config_selectorILb1EaEEZNS1_24adjacent_difference_implIS3_Lb1ELb0EPaS7_N6thrust23THRUST_200600_302600_NS5minusIaEEEE10hipError_tPvRmT2_T3_mT4_P12ihipStream_tbEUlT_E_NS1_11comp_targetILNS1_3genE10ELNS1_11target_archE1201ELNS1_3gpuE5ELNS1_3repE0EEENS1_30default_config_static_selectorELNS0_4arch9wavefront6targetE1EEEvT1_
                                        ; -- End function
	.section	.AMDGPU.csdata,"",@progbits
; Kernel info:
; codeLenInByte = 0
; NumSgprs: 4
; NumVgprs: 0
; NumAgprs: 0
; TotalNumVgprs: 0
; ScratchSize: 0
; MemoryBound: 0
; FloatMode: 240
; IeeeMode: 1
; LDSByteSize: 0 bytes/workgroup (compile time only)
; SGPRBlocks: 0
; VGPRBlocks: 0
; NumSGPRsForWavesPerEU: 4
; NumVGPRsForWavesPerEU: 1
; AccumOffset: 4
; Occupancy: 8
; WaveLimiterHint : 0
; COMPUTE_PGM_RSRC2:SCRATCH_EN: 0
; COMPUTE_PGM_RSRC2:USER_SGPR: 6
; COMPUTE_PGM_RSRC2:TRAP_HANDLER: 0
; COMPUTE_PGM_RSRC2:TGID_X_EN: 1
; COMPUTE_PGM_RSRC2:TGID_Y_EN: 0
; COMPUTE_PGM_RSRC2:TGID_Z_EN: 0
; COMPUTE_PGM_RSRC2:TIDIG_COMP_CNT: 0
; COMPUTE_PGM_RSRC3_GFX90A:ACCUM_OFFSET: 0
; COMPUTE_PGM_RSRC3_GFX90A:TG_SPLIT: 0
	.section	.text._ZN7rocprim17ROCPRIM_400000_NS6detail17trampoline_kernelINS0_14default_configENS1_35adjacent_difference_config_selectorILb1EaEEZNS1_24adjacent_difference_implIS3_Lb1ELb0EPaS7_N6thrust23THRUST_200600_302600_NS5minusIaEEEE10hipError_tPvRmT2_T3_mT4_P12ihipStream_tbEUlT_E_NS1_11comp_targetILNS1_3genE5ELNS1_11target_archE942ELNS1_3gpuE9ELNS1_3repE0EEENS1_30default_config_static_selectorELNS0_4arch9wavefront6targetE1EEEvT1_,"axG",@progbits,_ZN7rocprim17ROCPRIM_400000_NS6detail17trampoline_kernelINS0_14default_configENS1_35adjacent_difference_config_selectorILb1EaEEZNS1_24adjacent_difference_implIS3_Lb1ELb0EPaS7_N6thrust23THRUST_200600_302600_NS5minusIaEEEE10hipError_tPvRmT2_T3_mT4_P12ihipStream_tbEUlT_E_NS1_11comp_targetILNS1_3genE5ELNS1_11target_archE942ELNS1_3gpuE9ELNS1_3repE0EEENS1_30default_config_static_selectorELNS0_4arch9wavefront6targetE1EEEvT1_,comdat
	.protected	_ZN7rocprim17ROCPRIM_400000_NS6detail17trampoline_kernelINS0_14default_configENS1_35adjacent_difference_config_selectorILb1EaEEZNS1_24adjacent_difference_implIS3_Lb1ELb0EPaS7_N6thrust23THRUST_200600_302600_NS5minusIaEEEE10hipError_tPvRmT2_T3_mT4_P12ihipStream_tbEUlT_E_NS1_11comp_targetILNS1_3genE5ELNS1_11target_archE942ELNS1_3gpuE9ELNS1_3repE0EEENS1_30default_config_static_selectorELNS0_4arch9wavefront6targetE1EEEvT1_ ; -- Begin function _ZN7rocprim17ROCPRIM_400000_NS6detail17trampoline_kernelINS0_14default_configENS1_35adjacent_difference_config_selectorILb1EaEEZNS1_24adjacent_difference_implIS3_Lb1ELb0EPaS7_N6thrust23THRUST_200600_302600_NS5minusIaEEEE10hipError_tPvRmT2_T3_mT4_P12ihipStream_tbEUlT_E_NS1_11comp_targetILNS1_3genE5ELNS1_11target_archE942ELNS1_3gpuE9ELNS1_3repE0EEENS1_30default_config_static_selectorELNS0_4arch9wavefront6targetE1EEEvT1_
	.globl	_ZN7rocprim17ROCPRIM_400000_NS6detail17trampoline_kernelINS0_14default_configENS1_35adjacent_difference_config_selectorILb1EaEEZNS1_24adjacent_difference_implIS3_Lb1ELb0EPaS7_N6thrust23THRUST_200600_302600_NS5minusIaEEEE10hipError_tPvRmT2_T3_mT4_P12ihipStream_tbEUlT_E_NS1_11comp_targetILNS1_3genE5ELNS1_11target_archE942ELNS1_3gpuE9ELNS1_3repE0EEENS1_30default_config_static_selectorELNS0_4arch9wavefront6targetE1EEEvT1_
	.p2align	8
	.type	_ZN7rocprim17ROCPRIM_400000_NS6detail17trampoline_kernelINS0_14default_configENS1_35adjacent_difference_config_selectorILb1EaEEZNS1_24adjacent_difference_implIS3_Lb1ELb0EPaS7_N6thrust23THRUST_200600_302600_NS5minusIaEEEE10hipError_tPvRmT2_T3_mT4_P12ihipStream_tbEUlT_E_NS1_11comp_targetILNS1_3genE5ELNS1_11target_archE942ELNS1_3gpuE9ELNS1_3repE0EEENS1_30default_config_static_selectorELNS0_4arch9wavefront6targetE1EEEvT1_,@function
_ZN7rocprim17ROCPRIM_400000_NS6detail17trampoline_kernelINS0_14default_configENS1_35adjacent_difference_config_selectorILb1EaEEZNS1_24adjacent_difference_implIS3_Lb1ELb0EPaS7_N6thrust23THRUST_200600_302600_NS5minusIaEEEE10hipError_tPvRmT2_T3_mT4_P12ihipStream_tbEUlT_E_NS1_11comp_targetILNS1_3genE5ELNS1_11target_archE942ELNS1_3gpuE9ELNS1_3repE0EEENS1_30default_config_static_selectorELNS0_4arch9wavefront6targetE1EEEvT1_: ; @_ZN7rocprim17ROCPRIM_400000_NS6detail17trampoline_kernelINS0_14default_configENS1_35adjacent_difference_config_selectorILb1EaEEZNS1_24adjacent_difference_implIS3_Lb1ELb0EPaS7_N6thrust23THRUST_200600_302600_NS5minusIaEEEE10hipError_tPvRmT2_T3_mT4_P12ihipStream_tbEUlT_E_NS1_11comp_targetILNS1_3genE5ELNS1_11target_archE942ELNS1_3gpuE9ELNS1_3repE0EEENS1_30default_config_static_selectorELNS0_4arch9wavefront6targetE1EEEvT1_
; %bb.0:
	.section	.rodata,"a",@progbits
	.p2align	6, 0x0
	.amdhsa_kernel _ZN7rocprim17ROCPRIM_400000_NS6detail17trampoline_kernelINS0_14default_configENS1_35adjacent_difference_config_selectorILb1EaEEZNS1_24adjacent_difference_implIS3_Lb1ELb0EPaS7_N6thrust23THRUST_200600_302600_NS5minusIaEEEE10hipError_tPvRmT2_T3_mT4_P12ihipStream_tbEUlT_E_NS1_11comp_targetILNS1_3genE5ELNS1_11target_archE942ELNS1_3gpuE9ELNS1_3repE0EEENS1_30default_config_static_selectorELNS0_4arch9wavefront6targetE1EEEvT1_
		.amdhsa_group_segment_fixed_size 0
		.amdhsa_private_segment_fixed_size 0
		.amdhsa_kernarg_size 56
		.amdhsa_user_sgpr_count 6
		.amdhsa_user_sgpr_private_segment_buffer 1
		.amdhsa_user_sgpr_dispatch_ptr 0
		.amdhsa_user_sgpr_queue_ptr 0
		.amdhsa_user_sgpr_kernarg_segment_ptr 1
		.amdhsa_user_sgpr_dispatch_id 0
		.amdhsa_user_sgpr_flat_scratch_init 0
		.amdhsa_user_sgpr_kernarg_preload_length 0
		.amdhsa_user_sgpr_kernarg_preload_offset 0
		.amdhsa_user_sgpr_private_segment_size 0
		.amdhsa_uses_dynamic_stack 0
		.amdhsa_system_sgpr_private_segment_wavefront_offset 0
		.amdhsa_system_sgpr_workgroup_id_x 1
		.amdhsa_system_sgpr_workgroup_id_y 0
		.amdhsa_system_sgpr_workgroup_id_z 0
		.amdhsa_system_sgpr_workgroup_info 0
		.amdhsa_system_vgpr_workitem_id 0
		.amdhsa_next_free_vgpr 1
		.amdhsa_next_free_sgpr 0
		.amdhsa_accum_offset 4
		.amdhsa_reserve_vcc 0
		.amdhsa_reserve_flat_scratch 0
		.amdhsa_float_round_mode_32 0
		.amdhsa_float_round_mode_16_64 0
		.amdhsa_float_denorm_mode_32 3
		.amdhsa_float_denorm_mode_16_64 3
		.amdhsa_dx10_clamp 1
		.amdhsa_ieee_mode 1
		.amdhsa_fp16_overflow 0
		.amdhsa_tg_split 0
		.amdhsa_exception_fp_ieee_invalid_op 0
		.amdhsa_exception_fp_denorm_src 0
		.amdhsa_exception_fp_ieee_div_zero 0
		.amdhsa_exception_fp_ieee_overflow 0
		.amdhsa_exception_fp_ieee_underflow 0
		.amdhsa_exception_fp_ieee_inexact 0
		.amdhsa_exception_int_div_zero 0
	.end_amdhsa_kernel
	.section	.text._ZN7rocprim17ROCPRIM_400000_NS6detail17trampoline_kernelINS0_14default_configENS1_35adjacent_difference_config_selectorILb1EaEEZNS1_24adjacent_difference_implIS3_Lb1ELb0EPaS7_N6thrust23THRUST_200600_302600_NS5minusIaEEEE10hipError_tPvRmT2_T3_mT4_P12ihipStream_tbEUlT_E_NS1_11comp_targetILNS1_3genE5ELNS1_11target_archE942ELNS1_3gpuE9ELNS1_3repE0EEENS1_30default_config_static_selectorELNS0_4arch9wavefront6targetE1EEEvT1_,"axG",@progbits,_ZN7rocprim17ROCPRIM_400000_NS6detail17trampoline_kernelINS0_14default_configENS1_35adjacent_difference_config_selectorILb1EaEEZNS1_24adjacent_difference_implIS3_Lb1ELb0EPaS7_N6thrust23THRUST_200600_302600_NS5minusIaEEEE10hipError_tPvRmT2_T3_mT4_P12ihipStream_tbEUlT_E_NS1_11comp_targetILNS1_3genE5ELNS1_11target_archE942ELNS1_3gpuE9ELNS1_3repE0EEENS1_30default_config_static_selectorELNS0_4arch9wavefront6targetE1EEEvT1_,comdat
.Lfunc_end20:
	.size	_ZN7rocprim17ROCPRIM_400000_NS6detail17trampoline_kernelINS0_14default_configENS1_35adjacent_difference_config_selectorILb1EaEEZNS1_24adjacent_difference_implIS3_Lb1ELb0EPaS7_N6thrust23THRUST_200600_302600_NS5minusIaEEEE10hipError_tPvRmT2_T3_mT4_P12ihipStream_tbEUlT_E_NS1_11comp_targetILNS1_3genE5ELNS1_11target_archE942ELNS1_3gpuE9ELNS1_3repE0EEENS1_30default_config_static_selectorELNS0_4arch9wavefront6targetE1EEEvT1_, .Lfunc_end20-_ZN7rocprim17ROCPRIM_400000_NS6detail17trampoline_kernelINS0_14default_configENS1_35adjacent_difference_config_selectorILb1EaEEZNS1_24adjacent_difference_implIS3_Lb1ELb0EPaS7_N6thrust23THRUST_200600_302600_NS5minusIaEEEE10hipError_tPvRmT2_T3_mT4_P12ihipStream_tbEUlT_E_NS1_11comp_targetILNS1_3genE5ELNS1_11target_archE942ELNS1_3gpuE9ELNS1_3repE0EEENS1_30default_config_static_selectorELNS0_4arch9wavefront6targetE1EEEvT1_
                                        ; -- End function
	.section	.AMDGPU.csdata,"",@progbits
; Kernel info:
; codeLenInByte = 0
; NumSgprs: 4
; NumVgprs: 0
; NumAgprs: 0
; TotalNumVgprs: 0
; ScratchSize: 0
; MemoryBound: 0
; FloatMode: 240
; IeeeMode: 1
; LDSByteSize: 0 bytes/workgroup (compile time only)
; SGPRBlocks: 0
; VGPRBlocks: 0
; NumSGPRsForWavesPerEU: 4
; NumVGPRsForWavesPerEU: 1
; AccumOffset: 4
; Occupancy: 8
; WaveLimiterHint : 0
; COMPUTE_PGM_RSRC2:SCRATCH_EN: 0
; COMPUTE_PGM_RSRC2:USER_SGPR: 6
; COMPUTE_PGM_RSRC2:TRAP_HANDLER: 0
; COMPUTE_PGM_RSRC2:TGID_X_EN: 1
; COMPUTE_PGM_RSRC2:TGID_Y_EN: 0
; COMPUTE_PGM_RSRC2:TGID_Z_EN: 0
; COMPUTE_PGM_RSRC2:TIDIG_COMP_CNT: 0
; COMPUTE_PGM_RSRC3_GFX90A:ACCUM_OFFSET: 0
; COMPUTE_PGM_RSRC3_GFX90A:TG_SPLIT: 0
	.section	.text._ZN7rocprim17ROCPRIM_400000_NS6detail17trampoline_kernelINS0_14default_configENS1_35adjacent_difference_config_selectorILb1EaEEZNS1_24adjacent_difference_implIS3_Lb1ELb0EPaS7_N6thrust23THRUST_200600_302600_NS5minusIaEEEE10hipError_tPvRmT2_T3_mT4_P12ihipStream_tbEUlT_E_NS1_11comp_targetILNS1_3genE4ELNS1_11target_archE910ELNS1_3gpuE8ELNS1_3repE0EEENS1_30default_config_static_selectorELNS0_4arch9wavefront6targetE1EEEvT1_,"axG",@progbits,_ZN7rocprim17ROCPRIM_400000_NS6detail17trampoline_kernelINS0_14default_configENS1_35adjacent_difference_config_selectorILb1EaEEZNS1_24adjacent_difference_implIS3_Lb1ELb0EPaS7_N6thrust23THRUST_200600_302600_NS5minusIaEEEE10hipError_tPvRmT2_T3_mT4_P12ihipStream_tbEUlT_E_NS1_11comp_targetILNS1_3genE4ELNS1_11target_archE910ELNS1_3gpuE8ELNS1_3repE0EEENS1_30default_config_static_selectorELNS0_4arch9wavefront6targetE1EEEvT1_,comdat
	.protected	_ZN7rocprim17ROCPRIM_400000_NS6detail17trampoline_kernelINS0_14default_configENS1_35adjacent_difference_config_selectorILb1EaEEZNS1_24adjacent_difference_implIS3_Lb1ELb0EPaS7_N6thrust23THRUST_200600_302600_NS5minusIaEEEE10hipError_tPvRmT2_T3_mT4_P12ihipStream_tbEUlT_E_NS1_11comp_targetILNS1_3genE4ELNS1_11target_archE910ELNS1_3gpuE8ELNS1_3repE0EEENS1_30default_config_static_selectorELNS0_4arch9wavefront6targetE1EEEvT1_ ; -- Begin function _ZN7rocprim17ROCPRIM_400000_NS6detail17trampoline_kernelINS0_14default_configENS1_35adjacent_difference_config_selectorILb1EaEEZNS1_24adjacent_difference_implIS3_Lb1ELb0EPaS7_N6thrust23THRUST_200600_302600_NS5minusIaEEEE10hipError_tPvRmT2_T3_mT4_P12ihipStream_tbEUlT_E_NS1_11comp_targetILNS1_3genE4ELNS1_11target_archE910ELNS1_3gpuE8ELNS1_3repE0EEENS1_30default_config_static_selectorELNS0_4arch9wavefront6targetE1EEEvT1_
	.globl	_ZN7rocprim17ROCPRIM_400000_NS6detail17trampoline_kernelINS0_14default_configENS1_35adjacent_difference_config_selectorILb1EaEEZNS1_24adjacent_difference_implIS3_Lb1ELb0EPaS7_N6thrust23THRUST_200600_302600_NS5minusIaEEEE10hipError_tPvRmT2_T3_mT4_P12ihipStream_tbEUlT_E_NS1_11comp_targetILNS1_3genE4ELNS1_11target_archE910ELNS1_3gpuE8ELNS1_3repE0EEENS1_30default_config_static_selectorELNS0_4arch9wavefront6targetE1EEEvT1_
	.p2align	8
	.type	_ZN7rocprim17ROCPRIM_400000_NS6detail17trampoline_kernelINS0_14default_configENS1_35adjacent_difference_config_selectorILb1EaEEZNS1_24adjacent_difference_implIS3_Lb1ELb0EPaS7_N6thrust23THRUST_200600_302600_NS5minusIaEEEE10hipError_tPvRmT2_T3_mT4_P12ihipStream_tbEUlT_E_NS1_11comp_targetILNS1_3genE4ELNS1_11target_archE910ELNS1_3gpuE8ELNS1_3repE0EEENS1_30default_config_static_selectorELNS0_4arch9wavefront6targetE1EEEvT1_,@function
_ZN7rocprim17ROCPRIM_400000_NS6detail17trampoline_kernelINS0_14default_configENS1_35adjacent_difference_config_selectorILb1EaEEZNS1_24adjacent_difference_implIS3_Lb1ELb0EPaS7_N6thrust23THRUST_200600_302600_NS5minusIaEEEE10hipError_tPvRmT2_T3_mT4_P12ihipStream_tbEUlT_E_NS1_11comp_targetILNS1_3genE4ELNS1_11target_archE910ELNS1_3gpuE8ELNS1_3repE0EEENS1_30default_config_static_selectorELNS0_4arch9wavefront6targetE1EEEvT1_: ; @_ZN7rocprim17ROCPRIM_400000_NS6detail17trampoline_kernelINS0_14default_configENS1_35adjacent_difference_config_selectorILb1EaEEZNS1_24adjacent_difference_implIS3_Lb1ELb0EPaS7_N6thrust23THRUST_200600_302600_NS5minusIaEEEE10hipError_tPvRmT2_T3_mT4_P12ihipStream_tbEUlT_E_NS1_11comp_targetILNS1_3genE4ELNS1_11target_archE910ELNS1_3gpuE8ELNS1_3repE0EEENS1_30default_config_static_selectorELNS0_4arch9wavefront6targetE1EEEvT1_
; %bb.0:
	s_load_dwordx8 s[8:15], s[4:5], 0x0
	s_mov_b32 s1, 0x5ca1aca0
	v_bfrev_b32_e32 v1, 6
	s_load_dwordx4 s[16:19], s[4:5], 0x28
	s_movk_i32 s0, 0x980
	s_waitcnt lgkmcnt(0)
	s_add_u32 s7, s8, s10
	s_addc_u32 s25, s9, s11
	s_add_u32 s1, 0x14a, s1
	s_addc_u32 s2, 0, 0
	v_add_co_u32_e32 v1, vcc, s1, v1
	s_cmp_lg_u64 vcc, 0
	v_readfirstlane_b32 s3, v1
	s_addc_u32 s1, s2, 0x1af286
	s_mul_hi_u32 s4, s3, 0xfffff680
	s_mul_i32 s2, s1, 0xfffff680
	s_sub_i32 s4, s4, s3
	s_add_i32 s4, s4, s2
	s_mul_i32 s8, s3, 0xfffff680
	s_mul_hi_u32 s2, s3, s4
	s_mul_i32 s5, s3, s4
	s_mul_hi_u32 s3, s3, s8
	s_add_u32 s3, s3, s5
	s_addc_u32 s2, 0, s2
	s_mul_hi_u32 s9, s1, s8
	s_mul_i32 s8, s1, s8
	s_add_u32 s3, s3, s8
	s_mul_hi_u32 s5, s1, s4
	s_addc_u32 s2, s2, s9
	s_addc_u32 s3, s5, 0
	s_mul_i32 s4, s1, s4
	s_add_u32 s2, s2, s4
	s_addc_u32 s3, 0, s3
	v_add_co_u32_e32 v1, vcc, s2, v1
	s_cmp_lg_u64 vcc, 0
	s_addc_u32 s1, s1, s3
	v_readfirstlane_b32 s4, v1
	s_mul_i32 s3, s14, s1
	s_mul_hi_u32 s5, s14, s4
	s_mul_hi_u32 s2, s14, s1
	s_add_u32 s3, s5, s3
	s_addc_u32 s2, 0, s2
	s_mul_hi_u32 s8, s15, s4
	s_mul_i32 s4, s15, s4
	s_add_u32 s3, s3, s4
	s_mul_hi_u32 s5, s15, s1
	s_addc_u32 s2, s2, s8
	s_addc_u32 s3, s5, 0
	s_mul_i32 s1, s15, s1
	s_add_u32 s1, s2, s1
	s_addc_u32 s2, 0, s3
	s_add_u32 s3, s1, 1
	s_addc_u32 s4, s2, 0
	s_add_u32 s5, s1, 2
	s_mul_i32 s9, s2, 0x980
	s_mul_hi_u32 s20, s1, 0x980
	s_addc_u32 s8, s2, 0
	s_add_i32 s20, s20, s9
	s_mul_i32 s9, s1, 0x980
	v_mov_b32_e32 v1, s9
	v_sub_co_u32_e32 v1, vcc, s14, v1
	s_cmp_lg_u64 vcc, 0
	s_subb_u32 s9, s15, s20
	v_subrev_co_u32_e32 v2, vcc, s0, v1
	s_cmp_lg_u64 vcc, 0
	s_subb_u32 s0, s9, 0
	v_readfirstlane_b32 s20, v2
	s_cmpk_gt_u32 s20, 0x97f
	s_cselect_b32 s20, -1, 0
	s_cmp_eq_u32 s0, 0
	s_cselect_b32 s0, s20, -1
	s_cmp_lg_u32 s0, 0
	s_cselect_b32 s0, s5, s3
	s_cselect_b32 s3, s8, s4
	v_readfirstlane_b32 s4, v1
	s_cmpk_gt_u32 s4, 0x97f
	s_cselect_b32 s4, -1, 0
	s_cmp_eq_u32 s9, 0
	s_cselect_b32 s4, s4, -1
	s_cmp_lg_u32 s4, 0
	s_cselect_b32 s3, s3, s2
	s_cselect_b32 s2, s0, s1
	s_mul_i32 s0, s3, 0x980
	s_mul_hi_u32 s1, s2, 0x980
	s_add_i32 s1, s1, s0
	s_mul_i32 s0, s2, 0x980
	s_sub_u32 s0, s14, s0
	s_subb_u32 s1, s15, s1
	s_cmp_lg_u64 s[0:1], 0
	s_cselect_b64 s[0:1], -1, 0
	v_cndmask_b32_e64 v1, 0, 1, s[0:1]
	v_readfirstlane_b32 s0, v1
	s_add_u32 s2, s2, s0
	s_addc_u32 s3, s3, 0
	s_add_u32 s4, s18, s6
	s_addc_u32 s5, s19, 0
	s_add_u32 s8, s2, -1
	s_addc_u32 s9, s3, -1
	v_pk_mov_b32 v[2:3], s[8:9], s[8:9] op_sel:[0,1]
	v_cmp_ge_u64_e64 s[0:1], s[4:5], v[2:3]
	s_mul_i32 s24, s6, 0x980
	s_mov_b64 s[20:21], -1
	s_and_b64 vcc, exec, s[0:1]
	s_mul_i32 s15, s8, 0xfffff680
	s_cbranch_vccz .LBB21_40
; %bb.1:
	s_add_i32 s26, s15, s14
	s_add_u32 s20, s7, s24
	s_addc_u32 s21, s25, 0
	v_cmp_gt_u32_e32 vcc, s26, v0
                                        ; implicit-def: $vgpr1
	s_and_saveexec_b64 s[22:23], vcc
	s_cbranch_execz .LBB21_3
; %bb.2:
	global_load_ubyte v1, v0, s[20:21]
.LBB21_3:
	s_or_b64 exec, exec, s[22:23]
	v_or_b32_e32 v2, 0x80, v0
	v_cmp_gt_u32_e32 vcc, s26, v2
                                        ; implicit-def: $vgpr2
	s_and_saveexec_b64 s[22:23], vcc
	s_cbranch_execz .LBB21_5
; %bb.4:
	global_load_ubyte v2, v0, s[20:21] offset:128
.LBB21_5:
	s_or_b64 exec, exec, s[22:23]
	v_or_b32_e32 v3, 0x100, v0
	v_cmp_gt_u32_e32 vcc, s26, v3
                                        ; implicit-def: $vgpr3
	s_and_saveexec_b64 s[22:23], vcc
	s_cbranch_execz .LBB21_7
; %bb.6:
	global_load_ubyte v3, v0, s[20:21] offset:256
.LBB21_7:
	s_or_b64 exec, exec, s[22:23]
	v_or_b32_e32 v4, 0x180, v0
	v_cmp_gt_u32_e32 vcc, s26, v4
                                        ; implicit-def: $vgpr4
	s_and_saveexec_b64 s[22:23], vcc
	s_cbranch_execz .LBB21_9
; %bb.8:
	global_load_ubyte v4, v0, s[20:21] offset:384
.LBB21_9:
	s_or_b64 exec, exec, s[22:23]
	v_or_b32_e32 v5, 0x200, v0
	v_cmp_gt_u32_e32 vcc, s26, v5
                                        ; implicit-def: $vgpr5
	s_and_saveexec_b64 s[22:23], vcc
	s_cbranch_execz .LBB21_11
; %bb.10:
	global_load_ubyte v5, v0, s[20:21] offset:512
.LBB21_11:
	s_or_b64 exec, exec, s[22:23]
	v_or_b32_e32 v6, 0x280, v0
	v_cmp_gt_u32_e32 vcc, s26, v6
                                        ; implicit-def: $vgpr6
	s_and_saveexec_b64 s[22:23], vcc
	s_cbranch_execz .LBB21_13
; %bb.12:
	global_load_ubyte v6, v0, s[20:21] offset:640
.LBB21_13:
	s_or_b64 exec, exec, s[22:23]
	v_or_b32_e32 v7, 0x300, v0
	v_cmp_gt_u32_e32 vcc, s26, v7
                                        ; implicit-def: $vgpr7
	s_and_saveexec_b64 s[22:23], vcc
	s_cbranch_execz .LBB21_15
; %bb.14:
	global_load_ubyte v7, v0, s[20:21] offset:768
.LBB21_15:
	s_or_b64 exec, exec, s[22:23]
	v_or_b32_e32 v8, 0x380, v0
	v_cmp_gt_u32_e32 vcc, s26, v8
                                        ; implicit-def: $vgpr8
	s_and_saveexec_b64 s[22:23], vcc
	s_cbranch_execz .LBB21_17
; %bb.16:
	global_load_ubyte v8, v0, s[20:21] offset:896
.LBB21_17:
	s_or_b64 exec, exec, s[22:23]
	v_or_b32_e32 v9, 0x400, v0
	v_cmp_gt_u32_e32 vcc, s26, v9
                                        ; implicit-def: $vgpr9
	s_and_saveexec_b64 s[22:23], vcc
	s_cbranch_execz .LBB21_19
; %bb.18:
	global_load_ubyte v9, v0, s[20:21] offset:1024
.LBB21_19:
	s_or_b64 exec, exec, s[22:23]
	v_or_b32_e32 v10, 0x480, v0
	v_cmp_gt_u32_e32 vcc, s26, v10
                                        ; implicit-def: $vgpr10
	s_and_saveexec_b64 s[22:23], vcc
	s_cbranch_execz .LBB21_21
; %bb.20:
	global_load_ubyte v10, v0, s[20:21] offset:1152
.LBB21_21:
	s_or_b64 exec, exec, s[22:23]
	v_or_b32_e32 v11, 0x500, v0
	v_cmp_gt_u32_e32 vcc, s26, v11
                                        ; implicit-def: $vgpr11
	s_and_saveexec_b64 s[22:23], vcc
	s_cbranch_execz .LBB21_23
; %bb.22:
	global_load_ubyte v11, v0, s[20:21] offset:1280
.LBB21_23:
	s_or_b64 exec, exec, s[22:23]
	v_or_b32_e32 v12, 0x580, v0
	v_cmp_gt_u32_e32 vcc, s26, v12
                                        ; implicit-def: $vgpr12
	s_and_saveexec_b64 s[22:23], vcc
	s_cbranch_execz .LBB21_25
; %bb.24:
	global_load_ubyte v12, v0, s[20:21] offset:1408
.LBB21_25:
	s_or_b64 exec, exec, s[22:23]
	v_or_b32_e32 v13, 0x600, v0
	v_cmp_gt_u32_e32 vcc, s26, v13
                                        ; implicit-def: $vgpr13
	s_and_saveexec_b64 s[22:23], vcc
	s_cbranch_execz .LBB21_27
; %bb.26:
	global_load_ubyte v13, v0, s[20:21] offset:1536
.LBB21_27:
	s_or_b64 exec, exec, s[22:23]
	v_or_b32_e32 v14, 0x680, v0
	v_cmp_gt_u32_e32 vcc, s26, v14
                                        ; implicit-def: $vgpr14
	s_and_saveexec_b64 s[22:23], vcc
	s_cbranch_execz .LBB21_29
; %bb.28:
	global_load_ubyte v14, v0, s[20:21] offset:1664
.LBB21_29:
	s_or_b64 exec, exec, s[22:23]
	v_or_b32_e32 v15, 0x700, v0
	v_cmp_gt_u32_e32 vcc, s26, v15
                                        ; implicit-def: $vgpr15
	s_and_saveexec_b64 s[22:23], vcc
	s_cbranch_execz .LBB21_31
; %bb.30:
	global_load_ubyte v15, v0, s[20:21] offset:1792
.LBB21_31:
	s_or_b64 exec, exec, s[22:23]
	v_or_b32_e32 v16, 0x780, v0
	v_cmp_gt_u32_e32 vcc, s26, v16
                                        ; implicit-def: $vgpr16
	s_and_saveexec_b64 s[22:23], vcc
	s_cbranch_execz .LBB21_33
; %bb.32:
	global_load_ubyte v16, v0, s[20:21] offset:1920
.LBB21_33:
	s_or_b64 exec, exec, s[22:23]
	v_or_b32_e32 v17, 0x800, v0
	v_cmp_gt_u32_e32 vcc, s26, v17
                                        ; implicit-def: $vgpr17
	s_and_saveexec_b64 s[22:23], vcc
	s_cbranch_execz .LBB21_35
; %bb.34:
	global_load_ubyte v17, v0, s[20:21] offset:2048
.LBB21_35:
	s_or_b64 exec, exec, s[22:23]
	v_or_b32_e32 v18, 0x880, v0
	v_cmp_gt_u32_e32 vcc, s26, v18
                                        ; implicit-def: $vgpr18
	s_and_saveexec_b64 s[22:23], vcc
	s_cbranch_execz .LBB21_37
; %bb.36:
	global_load_ubyte v18, v0, s[20:21] offset:2176
.LBB21_37:
	s_or_b64 exec, exec, s[22:23]
	v_or_b32_e32 v19, 0x900, v0
	v_cmp_gt_u32_e32 vcc, s26, v19
                                        ; implicit-def: $vgpr19
	s_and_saveexec_b64 s[22:23], vcc
	s_cbranch_execz .LBB21_39
; %bb.38:
	global_load_ubyte v19, v0, s[20:21] offset:2304
.LBB21_39:
	s_or_b64 exec, exec, s[22:23]
	s_mov_b64 s[20:21], 0
	s_waitcnt vmcnt(0)
	ds_write_b8 v0, v1
	ds_write_b8 v0, v2 offset:128
	ds_write_b8 v0, v3 offset:256
	;; [unrolled: 1-line block ×18, first 2 shown]
	s_waitcnt lgkmcnt(0)
	s_barrier
.LBB21_40:
	s_and_b64 vcc, exec, s[20:21]
	s_cbranch_vccz .LBB21_42
; %bb.41:
	s_add_u32 s20, s7, s24
	s_addc_u32 s21, s25, 0
	global_load_ubyte v1, v0, s[20:21]
	global_load_ubyte v2, v0, s[20:21] offset:128
	global_load_ubyte v3, v0, s[20:21] offset:256
	;; [unrolled: 1-line block ×18, first 2 shown]
	s_waitcnt vmcnt(18)
	ds_write_b8 v0, v1
	s_waitcnt vmcnt(17)
	ds_write_b8 v0, v2 offset:128
	s_waitcnt vmcnt(16)
	ds_write_b8 v0, v3 offset:256
	;; [unrolled: 2-line block ×18, first 2 shown]
	s_waitcnt lgkmcnt(0)
	s_barrier
.LBB21_42:
	v_mul_u32_u24_e32 v1, 19, v0
	ds_read_u8 v7, v1
	ds_read_b64 v[4:5], v1 offset:1
	ds_read_u8 v6, v1 offset:9
	ds_read_b64 v[2:3], v1 offset:10
	ds_read_u8 v1, v1 offset:18
	s_cmp_eq_u64 s[4:5], 0
	s_waitcnt lgkmcnt(0)
	s_barrier
	s_cbranch_scc1 .LBB21_47
; %bb.43:
	s_add_u32 s7, s16, s18
	s_addc_u32 s16, s17, s19
	s_add_u32 s6, s7, s6
	s_addc_u32 s7, s16, 0
	v_mov_b32_e32 v8, 0
	global_load_ubyte v12, v8, s[6:7] offset:-1
	s_cmp_eq_u64 s[4:5], s[8:9]
	s_cbranch_scc1 .LBB21_48
; %bb.44:
	v_cmp_ne_u32_e32 vcc, 0, v0
	s_waitcnt vmcnt(0)
	v_mov_b32_e32 v8, v12
	ds_write_b8 v0, v1
	s_waitcnt lgkmcnt(0)
	s_barrier
	s_and_saveexec_b64 s[6:7], vcc
	s_cbranch_execz .LBB21_46
; %bb.45:
	v_add_u32_e32 v8, -1, v0
	ds_read_u8 v8, v8
.LBB21_46:
	s_or_b64 exec, exec, s[6:7]
	v_lshrrev_b32_e32 v9, 16, v4
	v_lshlrev_b16_e32 v13, 8, v4
	v_lshlrev_b16_e32 v15, 8, v9
	v_mov_b32_e32 v18, 8
	v_lshrrev_b32_e32 v9, 16, v2
	v_lshrrev_b32_sdwa v13, v18, v13 dst_sel:BYTE_1 dst_unused:UNUSED_PAD src0_sel:DWORD src1_sel:DWORD
	v_lshrrev_b32_sdwa v15, v18, v15 dst_sel:BYTE_1 dst_unused:UNUSED_PAD src0_sel:DWORD src1_sel:DWORD
	v_lshlrev_b16_e32 v16, 8, v2
	v_lshlrev_b16_e32 v17, 8, v9
	v_or_b32_sdwa v13, v7, v13 dst_sel:DWORD dst_unused:UNUSED_PAD src0_sel:BYTE_0 src1_sel:DWORD
	v_or_b32_sdwa v15, v4, v15 dst_sel:WORD_1 dst_unused:UNUSED_PAD src0_sel:BYTE_1 src1_sel:DWORD
	v_or_b32_sdwa v15, v13, v15 dst_sel:DWORD dst_unused:UNUSED_PAD src0_sel:WORD_0 src1_sel:DWORD
	v_lshrrev_b32_sdwa v13, v18, v16 dst_sel:BYTE_1 dst_unused:UNUSED_PAD src0_sel:DWORD src1_sel:DWORD
	v_lshrrev_b32_sdwa v16, v18, v17 dst_sel:BYTE_1 dst_unused:UNUSED_PAD src0_sel:DWORD src1_sel:DWORD
	s_mov_b32 s5, 0x2010007
	v_or_b32_sdwa v13, v6, v13 dst_sel:DWORD dst_unused:UNUSED_PAD src0_sel:BYTE_0 src1_sel:DWORD
	v_or_b32_sdwa v16, v2, v16 dst_sel:WORD_1 dst_unused:UNUSED_PAD src0_sel:BYTE_1 src1_sel:DWORD
	s_waitcnt lgkmcnt(0)
	v_sub_u16_e32 v8, v7, v8
	v_perm_b32 v14, v4, v5, s5
	v_lshrrev_b32_e32 v10, 24, v5
	v_perm_b32 v11, v2, v3, s5
	v_lshrrev_b32_e32 v9, 24, v3
	v_or_b32_sdwa v13, v13, v16 dst_sel:DWORD dst_unused:UNUSED_PAD src0_sel:WORD_0 src1_sel:DWORD
	s_branch .LBB21_52
.LBB21_47:
                                        ; implicit-def: $vgpr11
                                        ; implicit-def: $vgpr13
                                        ; implicit-def: $vgpr14
                                        ; implicit-def: $vgpr15
                                        ; implicit-def: $vgpr8
                                        ; implicit-def: $vgpr10
                                        ; implicit-def: $vgpr9
	s_branch .LBB21_53
.LBB21_48:
                                        ; implicit-def: $vgpr11
                                        ; implicit-def: $vgpr13
                                        ; implicit-def: $vgpr14
                                        ; implicit-def: $vgpr15
                                        ; implicit-def: $vgpr8
                                        ; implicit-def: $vgpr10
                                        ; implicit-def: $vgpr9
	s_cbranch_execz .LBB21_52
; %bb.49:
	v_mul_u32_u24_e32 v8, 19, v0
	v_cmp_ne_u32_e32 vcc, 0, v0
	ds_write_b8 v0, v1
	s_waitcnt lgkmcnt(0)
	s_barrier
	s_and_saveexec_b64 s[6:7], vcc
	s_cbranch_execz .LBB21_51
; %bb.50:
	v_add_u32_e32 v9, -1, v0
	s_waitcnt vmcnt(0)
	ds_read_u8 v12, v9
.LBB21_51:
	s_or_b64 exec, exec, s[6:7]
	s_mulk_i32 s4, 0xf680
	s_add_i32 s4, s4, s14
	v_add_u32_e32 v9, 18, v8
	v_lshrrev_b32_e32 v21, 24, v3
	v_cmp_gt_u32_e32 vcc, s4, v9
	v_cndmask_b32_e32 v9, 0, v21, vcc
	v_add_u32_e32 v21, 16, v8
	v_lshrrev_b16_e32 v20, 8, v3
	v_add_u32_e32 v22, 17, v8
	v_cmp_gt_u32_e32 vcc, s4, v21
	v_lshrrev_b32_e32 v19, 16, v3
	v_add_u32_e32 v23, 14, v8
	v_cndmask_b32_e32 v20, 0, v20, vcc
	v_cmp_gt_u32_e32 vcc, s4, v22
	v_lshrrev_b32_e32 v18, 24, v2
	v_add_u32_e32 v24, 15, v8
	v_cndmask_b32_e32 v19, 0, v19, vcc
	v_cmp_gt_u32_e32 vcc, s4, v23
	v_add_u32_e32 v25, 12, v8
	v_cndmask_b32_e32 v18, 0, v18, vcc
	v_cmp_gt_u32_e32 vcc, s4, v24
	v_lshrrev_b16_e32 v17, 8, v2
	v_add_u32_e32 v26, 13, v8
	v_cndmask_b32_e32 v22, 0, v3, vcc
	v_cmp_gt_u32_e32 vcc, s4, v25
	v_lshrrev_b32_e32 v10, 16, v2
	v_add_u32_e32 v27, 11, v8
	v_cndmask_b32_e32 v17, 0, v17, vcc
	v_cmp_gt_u32_e32 vcc, s4, v26
	v_cndmask_b32_e32 v10, 0, v10, vcc
	v_cmp_gt_u32_e32 vcc, s4, v27
	v_add_u32_e32 v28, 10, v8
	v_lshlrev_b16_e32 v23, 8, v10
	v_cndmask_b32_e32 v10, 0, v2, vcc
	v_lshlrev_b16_e32 v24, 8, v10
	v_cmp_gt_u32_e32 vcc, s4, v28
	v_add_u32_e32 v10, 9, v8
	v_cndmask_b32_e32 v25, 0, v6, vcc
	v_lshrrev_b32_e32 v26, 24, v5
	v_cmp_gt_u32_e32 vcc, s4, v10
	v_cndmask_b32_e32 v10, 0, v26, vcc
	v_add_u32_e32 v26, 7, v8
	v_lshrrev_b16_e32 v16, 8, v5
	v_add_u32_e32 v27, 8, v8
	v_cmp_gt_u32_e32 vcc, s4, v26
	v_lshrrev_b32_e32 v15, 16, v5
	v_add_u32_e32 v28, 5, v8
	v_cndmask_b32_e32 v16, 0, v16, vcc
	v_cmp_gt_u32_e32 vcc, s4, v27
	v_lshrrev_b32_e32 v14, 24, v4
	v_add_u32_e32 v29, 6, v8
	v_cndmask_b32_e32 v15, 0, v15, vcc
	v_cmp_gt_u32_e32 vcc, s4, v28
	v_mov_b32_e32 v21, 8
	v_add_u32_e32 v30, 3, v8
	v_lshlrev_b16_e32 v15, 8, v15
	v_cndmask_b32_e32 v14, 0, v14, vcc
	v_cmp_gt_u32_e32 vcc, s4, v29
	v_lshrrev_b16_e32 v13, 8, v4
	v_add_u32_e32 v31, 4, v8
	v_lshrrev_b32_sdwa v26, v21, v15 dst_sel:BYTE_1 dst_unused:UNUSED_PAD src0_sel:DWORD src1_sel:DWORD
	v_cndmask_b32_e32 v15, 0, v5, vcc
	v_cmp_gt_u32_e32 vcc, s4, v30
	v_lshrrev_b32_e32 v11, 16, v4
	v_add_u32_e32 v32, 2, v8
	v_cndmask_b32_e32 v13, 0, v13, vcc
	v_cmp_gt_u32_e32 vcc, s4, v31
	v_add_u32_e32 v33, 1, v8
	v_lshlrev_b16_e32 v15, 8, v15
	v_cndmask_b32_e32 v11, 0, v11, vcc
	v_cmp_gt_u32_e32 vcc, s4, v32
	v_lshrrev_b32_sdwa v27, v21, v15 dst_sel:BYTE_1 dst_unused:UNUSED_PAD src0_sel:DWORD src1_sel:DWORD
	v_cndmask_b32_e32 v15, 0, v4, vcc
	v_cmp_gt_u32_e32 vcc, s4, v33
	v_lshlrev_b16_e32 v11, 8, v11
	v_lshlrev_b16_e32 v15, 8, v15
	v_cndmask_b32_e32 v28, 0, v7, vcc
	v_cmp_gt_u32_e32 vcc, s4, v8
	s_waitcnt vmcnt(0) lgkmcnt(0)
	v_cndmask_b32_e32 v8, 0, v12, vcc
	v_lshrrev_b32_sdwa v12, v21, v15 dst_sel:BYTE_1 dst_unused:UNUSED_PAD src0_sel:DWORD src1_sel:DWORD
	v_lshrrev_b32_sdwa v11, v21, v11 dst_sel:BYTE_1 dst_unused:UNUSED_PAD src0_sel:DWORD src1_sel:DWORD
	v_or_b32_sdwa v12, v28, v12 dst_sel:DWORD dst_unused:UNUSED_PAD src0_sel:BYTE_0 src1_sel:DWORD
	v_or_b32_sdwa v11, v13, v11 dst_sel:WORD_1 dst_unused:UNUSED_PAD src0_sel:DWORD src1_sel:DWORD
	v_or_b32_sdwa v15, v12, v11 dst_sel:DWORD dst_unused:UNUSED_PAD src0_sel:WORD_0 src1_sel:DWORD
	v_or_b32_e32 v11, v14, v27
	v_or_b32_sdwa v12, v16, v26 dst_sel:WORD_1 dst_unused:UNUSED_PAD src0_sel:DWORD src1_sel:DWORD
	v_lshlrev_b16_e32 v19, 8, v19
	v_lshlrev_b16_e32 v22, 8, v22
	v_or_b32_sdwa v14, v11, v12 dst_sel:DWORD dst_unused:UNUSED_PAD src0_sel:WORD_0 src1_sel:DWORD
	v_lshrrev_b32_sdwa v11, v21, v24 dst_sel:BYTE_1 dst_unused:UNUSED_PAD src0_sel:DWORD src1_sel:DWORD
	v_lshrrev_b32_sdwa v12, v21, v23 dst_sel:BYTE_1 dst_unused:UNUSED_PAD src0_sel:DWORD src1_sel:DWORD
	;; [unrolled: 1-line block ×4, first 2 shown]
	v_or_b32_sdwa v11, v25, v11 dst_sel:DWORD dst_unused:UNUSED_PAD src0_sel:BYTE_0 src1_sel:DWORD
	v_or_b32_sdwa v12, v17, v12 dst_sel:WORD_1 dst_unused:UNUSED_PAD src0_sel:DWORD src1_sel:DWORD
	v_or_b32_sdwa v13, v11, v12 dst_sel:DWORD dst_unused:UNUSED_PAD src0_sel:WORD_0 src1_sel:DWORD
	v_or_b32_e32 v11, v18, v22
	v_or_b32_sdwa v12, v20, v19 dst_sel:WORD_1 dst_unused:UNUSED_PAD src0_sel:DWORD src1_sel:DWORD
	v_sub_u16_e32 v8, v7, v8
	v_or_b32_sdwa v11, v11, v12 dst_sel:DWORD dst_unused:UNUSED_PAD src0_sel:WORD_0 src1_sel:DWORD
.LBB21_52:
	s_cbranch_execnz .LBB21_61
.LBB21_53:
	s_cmp_eq_u64 s[2:3], 1
	v_cmp_ne_u32_e32 vcc, 0, v0
	s_cbranch_scc1 .LBB21_57
; %bb.54:
	v_lshlrev_b16_e32 v8, 8, v4
	v_lshrrev_b32_e32 v9, 16, v4
	v_mov_b32_e32 v14, 8
	v_lshlrev_b16_e32 v9, 8, v9
	v_lshrrev_b32_sdwa v8, v14, v8 dst_sel:BYTE_1 dst_unused:UNUSED_PAD src0_sel:DWORD src1_sel:DWORD
	v_lshlrev_b16_e32 v10, 8, v2
	v_lshrrev_b32_e32 v11, 16, v2
	s_waitcnt vmcnt(0)
	v_or_b32_sdwa v12, v7, v8 dst_sel:DWORD dst_unused:UNUSED_PAD src0_sel:BYTE_0 src1_sel:DWORD
	v_lshrrev_b32_sdwa v8, v14, v9 dst_sel:BYTE_1 dst_unused:UNUSED_PAD src0_sel:DWORD src1_sel:DWORD
	v_lshlrev_b16_e32 v11, 8, v11
	v_or_b32_sdwa v13, v4, v8 dst_sel:WORD_1 dst_unused:UNUSED_PAD src0_sel:BYTE_1 src1_sel:DWORD
	v_lshrrev_b32_sdwa v8, v14, v10 dst_sel:BYTE_1 dst_unused:UNUSED_PAD src0_sel:DWORD src1_sel:DWORD
	v_or_b32_sdwa v16, v6, v8 dst_sel:DWORD dst_unused:UNUSED_PAD src0_sel:BYTE_0 src1_sel:DWORD
	v_lshrrev_b32_sdwa v8, v14, v11 dst_sel:BYTE_1 dst_unused:UNUSED_PAD src0_sel:DWORD src1_sel:DWORD
	s_mov_b32 s4, 0x2010007
	v_or_b32_sdwa v17, v2, v8 dst_sel:WORD_1 dst_unused:UNUSED_PAD src0_sel:BYTE_1 src1_sel:DWORD
	v_mov_b32_e32 v8, v7
	ds_write_b8 v0, v1
	s_waitcnt lgkmcnt(0)
	s_barrier
	s_and_saveexec_b64 s[2:3], vcc
	s_cbranch_execz .LBB21_56
; %bb.55:
	v_add_u32_e32 v8, -1, v0
	ds_read_u8 v8, v8
	s_waitcnt lgkmcnt(0)
	v_sub_u16_e32 v8, v7, v8
.LBB21_56:
	s_or_b64 exec, exec, s[2:3]
	v_perm_b32 v14, v4, v5, s4
	v_lshrrev_b32_e32 v10, 24, v5
	v_perm_b32 v11, v2, v3, s4
	v_lshrrev_b32_e32 v9, 24, v3
	v_or_b32_sdwa v15, v12, v13 dst_sel:DWORD dst_unused:UNUSED_PAD src0_sel:WORD_0 src1_sel:DWORD
	v_or_b32_sdwa v13, v16, v17 dst_sel:DWORD dst_unused:UNUSED_PAD src0_sel:WORD_0 src1_sel:DWORD
	s_cbranch_execz .LBB21_58
	s_branch .LBB21_61
.LBB21_57:
                                        ; implicit-def: $vgpr11
                                        ; implicit-def: $vgpr13
                                        ; implicit-def: $vgpr14
                                        ; implicit-def: $vgpr15
                                        ; implicit-def: $vgpr8
                                        ; implicit-def: $vgpr10
                                        ; implicit-def: $vgpr9
.LBB21_58:
	v_mad_u32_u24 v20, v0, 19, 16
	v_lshrrev_b16_e32 v18, 8, v3
	v_mad_u32_u24 v21, v0, 19, 17
	v_cmp_gt_u32_e64 s[2:3], s14, v20
	v_lshrrev_b32_e32 v17, 16, v3
	v_mad_u32_u24 v22, v0, 19, 14
	v_cndmask_b32_e64 v20, 0, v18, s[2:3]
	v_cmp_gt_u32_e64 s[2:3], s14, v21
	v_lshrrev_b32_e32 v16, 24, v2
	v_mad_u32_u24 v23, v0, 19, 15
	v_cndmask_b32_e64 v17, 0, v17, s[2:3]
	v_cmp_gt_u32_e64 s[2:3], s14, v22
	v_mad_u32_u24 v24, v0, 19, 12
	v_cndmask_b32_e64 v22, 0, v16, s[2:3]
	v_cmp_gt_u32_e64 s[2:3], s14, v23
	v_lshrrev_b16_e32 v15, 8, v2
	v_mad_u32_u24 v25, v0, 19, 13
	v_cndmask_b32_e64 v16, 0, v3, s[2:3]
	v_cmp_gt_u32_e64 s[2:3], s14, v24
	v_lshrrev_b32_e32 v10, 16, v2
	v_mad_u32_u24 v26, v0, 19, 11
	v_cndmask_b32_e64 v15, 0, v15, s[2:3]
	v_cmp_gt_u32_e64 s[2:3], s14, v25
	v_mad_u32_u24 v25, v0, 19, 7
	v_lshrrev_b16_e32 v14, 8, v5
	v_cndmask_b32_e64 v10, 0, v10, s[2:3]
	v_cmp_gt_u32_e64 s[2:3], s14, v26
	v_mad_u32_u24 v26, v0, 19, 8
	v_cmp_gt_u32_e64 s[4:5], s14, v25
	v_lshrrev_b32_e32 v13, 16, v5
	v_mad_u32_u24 v27, v0, 19, 10
	v_lshlrev_b16_e32 v17, 8, v17
	v_mov_b32_e32 v18, 8
	v_cndmask_b32_e64 v14, 0, v14, s[4:5]
	v_cmp_gt_u32_e64 s[4:5], s14, v26
	v_lshrrev_b32_sdwa v21, v18, v17 dst_sel:BYTE_1 dst_unused:UNUSED_PAD src0_sel:DWORD src1_sel:DWORD
	v_lshlrev_b16_e32 v17, 8, v10
	v_cndmask_b32_e64 v10, 0, v2, s[2:3]
	v_cmp_gt_u32_e64 s[2:3], s14, v27
	v_mad_u32_u24 v27, v0, 19, 5
	v_cndmask_b32_e64 v13, 0, v13, s[4:5]
	s_waitcnt vmcnt(0)
	v_lshrrev_b32_e32 v12, 24, v4
	v_mad_u32_u24 v28, v0, 19, 6
	v_lshlrev_b16_e32 v13, 8, v13
	v_cmp_gt_u32_e64 s[4:5], s14, v27
	v_lshrrev_b32_sdwa v25, v18, v13 dst_sel:BYTE_1 dst_unused:UNUSED_PAD src0_sel:DWORD src1_sel:DWORD
	v_cndmask_b32_e64 v13, 0, v12, s[4:5]
	v_cmp_gt_u32_e64 s[4:5], s14, v28
	v_mad_u32_u24 v29, v0, 19, 3
	v_cndmask_b32_e64 v12, 0, v5, s[4:5]
	v_lshrrev_b16_e32 v11, 8, v4
	v_mad_u32_u24 v30, v0, 19, 4
	v_lshlrev_b16_e32 v12, 8, v12
	v_cmp_gt_u32_e64 s[4:5], s14, v29
	v_lshrrev_b32_e32 v9, 16, v4
	v_lshrrev_b32_sdwa v26, v18, v12 dst_sel:BYTE_1 dst_unused:UNUSED_PAD src0_sel:DWORD src1_sel:DWORD
	v_cndmask_b32_e64 v12, 0, v11, s[4:5]
	v_cmp_gt_u32_e64 s[4:5], s14, v30
	v_mad_u32_u24 v31, v0, 19, 2
	v_cndmask_b32_e64 v9, 0, v9, s[4:5]
	v_lshlrev_b16_e32 v16, 8, v16
	v_lshlrev_b16_e32 v9, 8, v9
	v_cmp_gt_u32_e64 s[4:5], s14, v31
	v_lshrrev_b32_sdwa v23, v18, v16 dst_sel:BYTE_1 dst_unused:UNUSED_PAD src0_sel:DWORD src1_sel:DWORD
	v_lshlrev_b16_e32 v16, 8, v10
	v_mad_u32_u24 v32, v0, 19, 1
	v_cndmask_b32_e64 v11, 0, v4, s[4:5]
	v_lshrrev_b32_sdwa v9, v18, v9 dst_sel:BYTE_1 dst_unused:UNUSED_PAD src0_sel:DWORD src1_sel:DWORD
	v_mul_u32_u24_e32 v19, 19, v0
	v_cndmask_b32_e64 v24, 0, v6, s[2:3]
	v_lshlrev_b16_e32 v11, 8, v11
	v_cmp_gt_u32_e64 s[4:5], s14, v32
	v_or_b32_sdwa v12, v12, v9 dst_sel:WORD_1 dst_unused:UNUSED_PAD src0_sel:DWORD src1_sel:DWORD
	v_lshrrev_b32_sdwa v9, v18, v16 dst_sel:BYTE_1 dst_unused:UNUSED_PAD src0_sel:DWORD src1_sel:DWORD
	v_mad_u32_u24 v8, v0, 19, 18
	v_mad_u32_u24 v10, v0, 19, 9
	v_cndmask_b32_e64 v27, 0, v7, s[4:5]
	v_cmp_ne_u32_e64 s[4:5], 0, v0
	v_cmp_gt_u32_e64 s[6:7], s14, v19
	v_lshrrev_b32_sdwa v11, v18, v11 dst_sel:BYTE_1 dst_unused:UNUSED_PAD src0_sel:DWORD src1_sel:DWORD
	v_or_b32_sdwa v16, v24, v9 dst_sel:DWORD dst_unused:UNUSED_PAD src0_sel:BYTE_0 src1_sel:DWORD
	v_lshrrev_b32_sdwa v9, v18, v17 dst_sel:BYTE_1 dst_unused:UNUSED_PAD src0_sel:DWORD src1_sel:DWORD
	v_cmp_gt_u32_e32 vcc, s14, v8
	v_lshrrev_b32_e32 v8, 24, v3
	v_cmp_gt_u32_e64 s[2:3], s14, v10
	v_lshrrev_b32_e32 v10, 24, v5
	s_and_b64 s[6:7], s[4:5], s[6:7]
	v_or_b32_sdwa v11, v27, v11 dst_sel:DWORD dst_unused:UNUSED_PAD src0_sel:BYTE_0 src1_sel:DWORD
	v_or_b32_e32 v13, v13, v26
	v_or_b32_sdwa v14, v14, v25 dst_sel:WORD_1 dst_unused:UNUSED_PAD src0_sel:DWORD src1_sel:DWORD
	v_or_b32_sdwa v17, v15, v9 dst_sel:WORD_1 dst_unused:UNUSED_PAD src0_sel:DWORD src1_sel:DWORD
	v_or_b32_e32 v18, v22, v23
	v_or_b32_sdwa v19, v20, v21 dst_sel:WORD_1 dst_unused:UNUSED_PAD src0_sel:DWORD src1_sel:DWORD
	ds_write_b8 v0, v1
	s_waitcnt lgkmcnt(0)
	s_barrier
	s_and_saveexec_b64 s[4:5], s[6:7]
	s_cbranch_execz .LBB21_60
; %bb.59:
	v_add_u32_e32 v9, -1, v0
	ds_read_u8 v9, v9
	s_waitcnt lgkmcnt(0)
	v_sub_u16_e32 v7, v7, v9
.LBB21_60:
	s_or_b64 exec, exec, s[4:5]
	v_cndmask_b32_e32 v9, 0, v8, vcc
	v_cndmask_b32_e64 v10, 0, v10, s[2:3]
	v_or_b32_sdwa v15, v11, v12 dst_sel:DWORD dst_unused:UNUSED_PAD src0_sel:WORD_0 src1_sel:DWORD
	v_or_b32_sdwa v14, v13, v14 dst_sel:DWORD dst_unused:UNUSED_PAD src0_sel:WORD_0 src1_sel:DWORD
	v_or_b32_sdwa v13, v16, v17 dst_sel:DWORD dst_unused:UNUSED_PAD src0_sel:WORD_0 src1_sel:DWORD
	v_or_b32_sdwa v11, v18, v19 dst_sel:DWORD dst_unused:UNUSED_PAD src0_sel:WORD_0 src1_sel:DWORD
	v_mov_b32_e32 v8, v7
.LBB21_61:
	v_sub_u16_sdwa v7, v5, v14 dst_sel:BYTE_1 dst_unused:UNUSED_PAD src0_sel:BYTE_3 src1_sel:BYTE_3
	s_waitcnt vmcnt(0)
	v_sub_u16_sdwa v12, v5, v14 dst_sel:DWORD dst_unused:UNUSED_PAD src0_sel:WORD_1 src1_sel:WORD_1
	v_or_b32_sdwa v7, v12, v7 dst_sel:WORD_1 dst_unused:UNUSED_PAD src0_sel:BYTE_0 src1_sel:DWORD
	v_sub_u16_sdwa v12, v5, v14 dst_sel:BYTE_1 dst_unused:UNUSED_PAD src0_sel:BYTE_1 src1_sel:BYTE_1
	v_sub_u16_e32 v5, v5, v14
	v_or_b32_sdwa v5, v5, v12 dst_sel:DWORD dst_unused:UNUSED_PAD src0_sel:BYTE_0 src1_sel:DWORD
	v_or_b32_sdwa v5, v5, v7 dst_sel:DWORD dst_unused:UNUSED_PAD src0_sel:WORD_0 src1_sel:DWORD
	v_sub_u16_sdwa v7, v4, v15 dst_sel:BYTE_1 dst_unused:UNUSED_PAD src0_sel:BYTE_3 src1_sel:BYTE_3
	v_sub_u16_sdwa v12, v4, v15 dst_sel:DWORD dst_unused:UNUSED_PAD src0_sel:WORD_1 src1_sel:WORD_1
	v_or_b32_sdwa v7, v12, v7 dst_sel:WORD_1 dst_unused:UNUSED_PAD src0_sel:BYTE_0 src1_sel:DWORD
	v_sub_u16_sdwa v12, v4, v15 dst_sel:BYTE_1 dst_unused:UNUSED_PAD src0_sel:BYTE_1 src1_sel:BYTE_1
	v_sub_u16_e32 v4, v4, v15
	v_or_b32_sdwa v4, v4, v12 dst_sel:DWORD dst_unused:UNUSED_PAD src0_sel:BYTE_0 src1_sel:DWORD
	v_or_b32_sdwa v4, v4, v7 dst_sel:DWORD dst_unused:UNUSED_PAD src0_sel:WORD_0 src1_sel:DWORD
	v_sub_u16_e32 v10, v6, v10
	v_sub_u16_sdwa v6, v3, v11 dst_sel:BYTE_1 dst_unused:UNUSED_PAD src0_sel:BYTE_3 src1_sel:BYTE_3
	v_sub_u16_sdwa v7, v3, v11 dst_sel:DWORD dst_unused:UNUSED_PAD src0_sel:WORD_1 src1_sel:WORD_1
	v_or_b32_sdwa v6, v7, v6 dst_sel:WORD_1 dst_unused:UNUSED_PAD src0_sel:BYTE_0 src1_sel:DWORD
	v_sub_u16_sdwa v7, v3, v11 dst_sel:BYTE_1 dst_unused:UNUSED_PAD src0_sel:BYTE_1 src1_sel:BYTE_1
	v_sub_u16_e32 v3, v3, v11
	v_or_b32_sdwa v3, v3, v7 dst_sel:DWORD dst_unused:UNUSED_PAD src0_sel:BYTE_0 src1_sel:DWORD
	v_or_b32_sdwa v3, v3, v6 dst_sel:DWORD dst_unused:UNUSED_PAD src0_sel:WORD_0 src1_sel:DWORD
	v_sub_u16_sdwa v6, v2, v13 dst_sel:BYTE_1 dst_unused:UNUSED_PAD src0_sel:BYTE_3 src1_sel:BYTE_3
	v_sub_u16_sdwa v7, v2, v13 dst_sel:DWORD dst_unused:UNUSED_PAD src0_sel:WORD_1 src1_sel:WORD_1
	v_or_b32_sdwa v6, v7, v6 dst_sel:WORD_1 dst_unused:UNUSED_PAD src0_sel:BYTE_0 src1_sel:DWORD
	v_sub_u16_sdwa v7, v2, v13 dst_sel:BYTE_1 dst_unused:UNUSED_PAD src0_sel:BYTE_1 src1_sel:BYTE_1
	v_sub_u16_e32 v2, v2, v13
	s_add_u32 s4, s12, s10
	v_or_b32_sdwa v2, v2, v7 dst_sel:DWORD dst_unused:UNUSED_PAD src0_sel:BYTE_0 src1_sel:DWORD
	s_addc_u32 s5, s13, s11
	v_or_b32_sdwa v2, v2, v6 dst_sel:DWORD dst_unused:UNUSED_PAD src0_sel:WORD_0 src1_sel:DWORD
	v_sub_u16_e32 v1, v1, v9
	s_and_b64 vcc, exec, s[0:1]
	v_mul_u32_u24_e32 v9, 19, v0
	s_barrier
	s_cbranch_vccz .LBB21_99
; %bb.62:
	ds_write_b8 v9, v8
	ds_write_b64 v9, v[4:5] offset:1
	ds_write_b8 v9, v10 offset:9
	ds_write_b64 v9, v[2:3] offset:10
	ds_write_b8 v9, v1 offset:18
	s_waitcnt lgkmcnt(0)
	s_barrier
	ds_read_u8 v28, v0 offset:128
	ds_read_u8 v27, v0 offset:256
	;; [unrolled: 1-line block ×18, first 2 shown]
	s_add_i32 s15, s15, s14
	s_add_u32 s0, s4, s24
	s_addc_u32 s1, s5, 0
	v_mov_b32_e32 v7, s1
	v_add_co_u32_e32 v6, vcc, s0, v0
	v_addc_co_u32_e32 v7, vcc, 0, v7, vcc
	v_cmp_gt_u32_e32 vcc, s15, v0
	s_and_saveexec_b64 s[0:1], vcc
	s_cbranch_execz .LBB21_64
; %bb.63:
	ds_read_u8 v29, v0
	s_waitcnt lgkmcnt(0)
	global_store_byte v[6:7], v29, off
.LBB21_64:
	s_or_b64 exec, exec, s[0:1]
	v_or_b32_e32 v29, 0x80, v0
	v_cmp_gt_u32_e32 vcc, s15, v29
	s_and_saveexec_b64 s[0:1], vcc
	s_cbranch_execz .LBB21_66
; %bb.65:
	s_waitcnt lgkmcnt(14)
	global_store_byte v[6:7], v28, off offset:128
.LBB21_66:
	s_or_b64 exec, exec, s[0:1]
	s_waitcnt lgkmcnt(14)
	v_or_b32_e32 v28, 0x100, v0
	v_cmp_gt_u32_e32 vcc, s15, v28
	s_and_saveexec_b64 s[0:1], vcc
	s_cbranch_execz .LBB21_68
; %bb.67:
	global_store_byte v[6:7], v27, off offset:256
.LBB21_68:
	s_or_b64 exec, exec, s[0:1]
	v_or_b32_e32 v27, 0x180, v0
	v_cmp_gt_u32_e32 vcc, s15, v27
	s_and_saveexec_b64 s[0:1], vcc
	s_cbranch_execz .LBB21_70
; %bb.69:
	global_store_byte v[6:7], v26, off offset:384
.LBB21_70:
	s_or_b64 exec, exec, s[0:1]
	;; [unrolled: 8-line block ×3, first 2 shown]
	v_or_b32_e32 v25, 0x280, v0
	v_cmp_gt_u32_e32 vcc, s15, v25
	s_and_saveexec_b64 s[0:1], vcc
	s_cbranch_execz .LBB21_74
; %bb.73:
	s_waitcnt lgkmcnt(13)
	global_store_byte v[6:7], v24, off offset:640
.LBB21_74:
	s_or_b64 exec, exec, s[0:1]
	s_waitcnt lgkmcnt(13)
	v_or_b32_e32 v24, 0x300, v0
	v_cmp_gt_u32_e32 vcc, s15, v24
	s_and_saveexec_b64 s[0:1], vcc
	s_cbranch_execz .LBB21_76
; %bb.75:
	s_waitcnt lgkmcnt(12)
	global_store_byte v[6:7], v23, off offset:768
.LBB21_76:
	s_or_b64 exec, exec, s[0:1]
	s_waitcnt lgkmcnt(12)
	;; [unrolled: 10-line block ×13, first 2 shown]
	v_or_b32_e32 v12, 0x900, v0
	v_cmp_gt_u32_e64 s[0:1], s15, v12
	s_branch .LBB21_101
.LBB21_99:
	s_mov_b64 s[0:1], 0
                                        ; implicit-def: $vgpr11
                                        ; implicit-def: $vgpr6_vgpr7
	s_cbranch_execz .LBB21_101
; %bb.100:
	s_add_u32 s2, s4, s24
	ds_write_b8 v9, v8
	ds_write_b64 v9, v[4:5] offset:1
	ds_write_b8 v9, v10 offset:9
	ds_write_b64 v9, v[2:3] offset:10
	ds_write_b8 v9, v1 offset:18
	s_waitcnt lgkmcnt(0)
	s_barrier
	ds_read_u8 v1, v0
	ds_read_u8 v2, v0 offset:128
	ds_read_u8 v3, v0 offset:256
	;; [unrolled: 1-line block ×18, first 2 shown]
	s_addc_u32 s3, s5, 0
	v_mov_b32_e32 v7, s3
	v_add_co_u32_e32 v6, vcc, s2, v0
	v_addc_co_u32_e32 v7, vcc, 0, v7, vcc
	s_or_b64 s[0:1], s[0:1], exec
	s_waitcnt lgkmcnt(14)
	global_store_byte v0, v1, s[2:3]
	global_store_byte v0, v2, s[2:3] offset:128
	global_store_byte v0, v3, s[2:3] offset:256
	;; [unrolled: 1-line block ×4, first 2 shown]
	s_waitcnt lgkmcnt(13)
	global_store_byte v0, v8, s[2:3] offset:640
	s_waitcnt lgkmcnt(12)
	global_store_byte v0, v9, s[2:3] offset:768
	;; [unrolled: 2-line block ×13, first 2 shown]
.LBB21_101:
	s_and_saveexec_b64 s[2:3], s[0:1]
	s_cbranch_execnz .LBB21_103
; %bb.102:
	s_endpgm
.LBB21_103:
	s_waitcnt lgkmcnt(0)
	global_store_byte v[6:7], v11, off offset:2304
	s_endpgm
	.section	.rodata,"a",@progbits
	.p2align	6, 0x0
	.amdhsa_kernel _ZN7rocprim17ROCPRIM_400000_NS6detail17trampoline_kernelINS0_14default_configENS1_35adjacent_difference_config_selectorILb1EaEEZNS1_24adjacent_difference_implIS3_Lb1ELb0EPaS7_N6thrust23THRUST_200600_302600_NS5minusIaEEEE10hipError_tPvRmT2_T3_mT4_P12ihipStream_tbEUlT_E_NS1_11comp_targetILNS1_3genE4ELNS1_11target_archE910ELNS1_3gpuE8ELNS1_3repE0EEENS1_30default_config_static_selectorELNS0_4arch9wavefront6targetE1EEEvT1_
		.amdhsa_group_segment_fixed_size 2432
		.amdhsa_private_segment_fixed_size 0
		.amdhsa_kernarg_size 56
		.amdhsa_user_sgpr_count 6
		.amdhsa_user_sgpr_private_segment_buffer 1
		.amdhsa_user_sgpr_dispatch_ptr 0
		.amdhsa_user_sgpr_queue_ptr 0
		.amdhsa_user_sgpr_kernarg_segment_ptr 1
		.amdhsa_user_sgpr_dispatch_id 0
		.amdhsa_user_sgpr_flat_scratch_init 0
		.amdhsa_user_sgpr_kernarg_preload_length 0
		.amdhsa_user_sgpr_kernarg_preload_offset 0
		.amdhsa_user_sgpr_private_segment_size 0
		.amdhsa_uses_dynamic_stack 0
		.amdhsa_system_sgpr_private_segment_wavefront_offset 0
		.amdhsa_system_sgpr_workgroup_id_x 1
		.amdhsa_system_sgpr_workgroup_id_y 0
		.amdhsa_system_sgpr_workgroup_id_z 0
		.amdhsa_system_sgpr_workgroup_info 0
		.amdhsa_system_vgpr_workitem_id 0
		.amdhsa_next_free_vgpr 34
		.amdhsa_next_free_sgpr 27
		.amdhsa_accum_offset 36
		.amdhsa_reserve_vcc 1
		.amdhsa_reserve_flat_scratch 0
		.amdhsa_float_round_mode_32 0
		.amdhsa_float_round_mode_16_64 0
		.amdhsa_float_denorm_mode_32 3
		.amdhsa_float_denorm_mode_16_64 3
		.amdhsa_dx10_clamp 1
		.amdhsa_ieee_mode 1
		.amdhsa_fp16_overflow 0
		.amdhsa_tg_split 0
		.amdhsa_exception_fp_ieee_invalid_op 0
		.amdhsa_exception_fp_denorm_src 0
		.amdhsa_exception_fp_ieee_div_zero 0
		.amdhsa_exception_fp_ieee_overflow 0
		.amdhsa_exception_fp_ieee_underflow 0
		.amdhsa_exception_fp_ieee_inexact 0
		.amdhsa_exception_int_div_zero 0
	.end_amdhsa_kernel
	.section	.text._ZN7rocprim17ROCPRIM_400000_NS6detail17trampoline_kernelINS0_14default_configENS1_35adjacent_difference_config_selectorILb1EaEEZNS1_24adjacent_difference_implIS3_Lb1ELb0EPaS7_N6thrust23THRUST_200600_302600_NS5minusIaEEEE10hipError_tPvRmT2_T3_mT4_P12ihipStream_tbEUlT_E_NS1_11comp_targetILNS1_3genE4ELNS1_11target_archE910ELNS1_3gpuE8ELNS1_3repE0EEENS1_30default_config_static_selectorELNS0_4arch9wavefront6targetE1EEEvT1_,"axG",@progbits,_ZN7rocprim17ROCPRIM_400000_NS6detail17trampoline_kernelINS0_14default_configENS1_35adjacent_difference_config_selectorILb1EaEEZNS1_24adjacent_difference_implIS3_Lb1ELb0EPaS7_N6thrust23THRUST_200600_302600_NS5minusIaEEEE10hipError_tPvRmT2_T3_mT4_P12ihipStream_tbEUlT_E_NS1_11comp_targetILNS1_3genE4ELNS1_11target_archE910ELNS1_3gpuE8ELNS1_3repE0EEENS1_30default_config_static_selectorELNS0_4arch9wavefront6targetE1EEEvT1_,comdat
.Lfunc_end21:
	.size	_ZN7rocprim17ROCPRIM_400000_NS6detail17trampoline_kernelINS0_14default_configENS1_35adjacent_difference_config_selectorILb1EaEEZNS1_24adjacent_difference_implIS3_Lb1ELb0EPaS7_N6thrust23THRUST_200600_302600_NS5minusIaEEEE10hipError_tPvRmT2_T3_mT4_P12ihipStream_tbEUlT_E_NS1_11comp_targetILNS1_3genE4ELNS1_11target_archE910ELNS1_3gpuE8ELNS1_3repE0EEENS1_30default_config_static_selectorELNS0_4arch9wavefront6targetE1EEEvT1_, .Lfunc_end21-_ZN7rocprim17ROCPRIM_400000_NS6detail17trampoline_kernelINS0_14default_configENS1_35adjacent_difference_config_selectorILb1EaEEZNS1_24adjacent_difference_implIS3_Lb1ELb0EPaS7_N6thrust23THRUST_200600_302600_NS5minusIaEEEE10hipError_tPvRmT2_T3_mT4_P12ihipStream_tbEUlT_E_NS1_11comp_targetILNS1_3genE4ELNS1_11target_archE910ELNS1_3gpuE8ELNS1_3repE0EEENS1_30default_config_static_selectorELNS0_4arch9wavefront6targetE1EEEvT1_
                                        ; -- End function
	.section	.AMDGPU.csdata,"",@progbits
; Kernel info:
; codeLenInByte = 5108
; NumSgprs: 31
; NumVgprs: 34
; NumAgprs: 0
; TotalNumVgprs: 34
; ScratchSize: 0
; MemoryBound: 0
; FloatMode: 240
; IeeeMode: 1
; LDSByteSize: 2432 bytes/workgroup (compile time only)
; SGPRBlocks: 3
; VGPRBlocks: 4
; NumSGPRsForWavesPerEU: 31
; NumVGPRsForWavesPerEU: 34
; AccumOffset: 36
; Occupancy: 8
; WaveLimiterHint : 1
; COMPUTE_PGM_RSRC2:SCRATCH_EN: 0
; COMPUTE_PGM_RSRC2:USER_SGPR: 6
; COMPUTE_PGM_RSRC2:TRAP_HANDLER: 0
; COMPUTE_PGM_RSRC2:TGID_X_EN: 1
; COMPUTE_PGM_RSRC2:TGID_Y_EN: 0
; COMPUTE_PGM_RSRC2:TGID_Z_EN: 0
; COMPUTE_PGM_RSRC2:TIDIG_COMP_CNT: 0
; COMPUTE_PGM_RSRC3_GFX90A:ACCUM_OFFSET: 8
; COMPUTE_PGM_RSRC3_GFX90A:TG_SPLIT: 0
	.section	.text._ZN7rocprim17ROCPRIM_400000_NS6detail17trampoline_kernelINS0_14default_configENS1_35adjacent_difference_config_selectorILb1EaEEZNS1_24adjacent_difference_implIS3_Lb1ELb0EPaS7_N6thrust23THRUST_200600_302600_NS5minusIaEEEE10hipError_tPvRmT2_T3_mT4_P12ihipStream_tbEUlT_E_NS1_11comp_targetILNS1_3genE3ELNS1_11target_archE908ELNS1_3gpuE7ELNS1_3repE0EEENS1_30default_config_static_selectorELNS0_4arch9wavefront6targetE1EEEvT1_,"axG",@progbits,_ZN7rocprim17ROCPRIM_400000_NS6detail17trampoline_kernelINS0_14default_configENS1_35adjacent_difference_config_selectorILb1EaEEZNS1_24adjacent_difference_implIS3_Lb1ELb0EPaS7_N6thrust23THRUST_200600_302600_NS5minusIaEEEE10hipError_tPvRmT2_T3_mT4_P12ihipStream_tbEUlT_E_NS1_11comp_targetILNS1_3genE3ELNS1_11target_archE908ELNS1_3gpuE7ELNS1_3repE0EEENS1_30default_config_static_selectorELNS0_4arch9wavefront6targetE1EEEvT1_,comdat
	.protected	_ZN7rocprim17ROCPRIM_400000_NS6detail17trampoline_kernelINS0_14default_configENS1_35adjacent_difference_config_selectorILb1EaEEZNS1_24adjacent_difference_implIS3_Lb1ELb0EPaS7_N6thrust23THRUST_200600_302600_NS5minusIaEEEE10hipError_tPvRmT2_T3_mT4_P12ihipStream_tbEUlT_E_NS1_11comp_targetILNS1_3genE3ELNS1_11target_archE908ELNS1_3gpuE7ELNS1_3repE0EEENS1_30default_config_static_selectorELNS0_4arch9wavefront6targetE1EEEvT1_ ; -- Begin function _ZN7rocprim17ROCPRIM_400000_NS6detail17trampoline_kernelINS0_14default_configENS1_35adjacent_difference_config_selectorILb1EaEEZNS1_24adjacent_difference_implIS3_Lb1ELb0EPaS7_N6thrust23THRUST_200600_302600_NS5minusIaEEEE10hipError_tPvRmT2_T3_mT4_P12ihipStream_tbEUlT_E_NS1_11comp_targetILNS1_3genE3ELNS1_11target_archE908ELNS1_3gpuE7ELNS1_3repE0EEENS1_30default_config_static_selectorELNS0_4arch9wavefront6targetE1EEEvT1_
	.globl	_ZN7rocprim17ROCPRIM_400000_NS6detail17trampoline_kernelINS0_14default_configENS1_35adjacent_difference_config_selectorILb1EaEEZNS1_24adjacent_difference_implIS3_Lb1ELb0EPaS7_N6thrust23THRUST_200600_302600_NS5minusIaEEEE10hipError_tPvRmT2_T3_mT4_P12ihipStream_tbEUlT_E_NS1_11comp_targetILNS1_3genE3ELNS1_11target_archE908ELNS1_3gpuE7ELNS1_3repE0EEENS1_30default_config_static_selectorELNS0_4arch9wavefront6targetE1EEEvT1_
	.p2align	8
	.type	_ZN7rocprim17ROCPRIM_400000_NS6detail17trampoline_kernelINS0_14default_configENS1_35adjacent_difference_config_selectorILb1EaEEZNS1_24adjacent_difference_implIS3_Lb1ELb0EPaS7_N6thrust23THRUST_200600_302600_NS5minusIaEEEE10hipError_tPvRmT2_T3_mT4_P12ihipStream_tbEUlT_E_NS1_11comp_targetILNS1_3genE3ELNS1_11target_archE908ELNS1_3gpuE7ELNS1_3repE0EEENS1_30default_config_static_selectorELNS0_4arch9wavefront6targetE1EEEvT1_,@function
_ZN7rocprim17ROCPRIM_400000_NS6detail17trampoline_kernelINS0_14default_configENS1_35adjacent_difference_config_selectorILb1EaEEZNS1_24adjacent_difference_implIS3_Lb1ELb0EPaS7_N6thrust23THRUST_200600_302600_NS5minusIaEEEE10hipError_tPvRmT2_T3_mT4_P12ihipStream_tbEUlT_E_NS1_11comp_targetILNS1_3genE3ELNS1_11target_archE908ELNS1_3gpuE7ELNS1_3repE0EEENS1_30default_config_static_selectorELNS0_4arch9wavefront6targetE1EEEvT1_: ; @_ZN7rocprim17ROCPRIM_400000_NS6detail17trampoline_kernelINS0_14default_configENS1_35adjacent_difference_config_selectorILb1EaEEZNS1_24adjacent_difference_implIS3_Lb1ELb0EPaS7_N6thrust23THRUST_200600_302600_NS5minusIaEEEE10hipError_tPvRmT2_T3_mT4_P12ihipStream_tbEUlT_E_NS1_11comp_targetILNS1_3genE3ELNS1_11target_archE908ELNS1_3gpuE7ELNS1_3repE0EEENS1_30default_config_static_selectorELNS0_4arch9wavefront6targetE1EEEvT1_
; %bb.0:
	.section	.rodata,"a",@progbits
	.p2align	6, 0x0
	.amdhsa_kernel _ZN7rocprim17ROCPRIM_400000_NS6detail17trampoline_kernelINS0_14default_configENS1_35adjacent_difference_config_selectorILb1EaEEZNS1_24adjacent_difference_implIS3_Lb1ELb0EPaS7_N6thrust23THRUST_200600_302600_NS5minusIaEEEE10hipError_tPvRmT2_T3_mT4_P12ihipStream_tbEUlT_E_NS1_11comp_targetILNS1_3genE3ELNS1_11target_archE908ELNS1_3gpuE7ELNS1_3repE0EEENS1_30default_config_static_selectorELNS0_4arch9wavefront6targetE1EEEvT1_
		.amdhsa_group_segment_fixed_size 0
		.amdhsa_private_segment_fixed_size 0
		.amdhsa_kernarg_size 56
		.amdhsa_user_sgpr_count 6
		.amdhsa_user_sgpr_private_segment_buffer 1
		.amdhsa_user_sgpr_dispatch_ptr 0
		.amdhsa_user_sgpr_queue_ptr 0
		.amdhsa_user_sgpr_kernarg_segment_ptr 1
		.amdhsa_user_sgpr_dispatch_id 0
		.amdhsa_user_sgpr_flat_scratch_init 0
		.amdhsa_user_sgpr_kernarg_preload_length 0
		.amdhsa_user_sgpr_kernarg_preload_offset 0
		.amdhsa_user_sgpr_private_segment_size 0
		.amdhsa_uses_dynamic_stack 0
		.amdhsa_system_sgpr_private_segment_wavefront_offset 0
		.amdhsa_system_sgpr_workgroup_id_x 1
		.amdhsa_system_sgpr_workgroup_id_y 0
		.amdhsa_system_sgpr_workgroup_id_z 0
		.amdhsa_system_sgpr_workgroup_info 0
		.amdhsa_system_vgpr_workitem_id 0
		.amdhsa_next_free_vgpr 1
		.amdhsa_next_free_sgpr 0
		.amdhsa_accum_offset 4
		.amdhsa_reserve_vcc 0
		.amdhsa_reserve_flat_scratch 0
		.amdhsa_float_round_mode_32 0
		.amdhsa_float_round_mode_16_64 0
		.amdhsa_float_denorm_mode_32 3
		.amdhsa_float_denorm_mode_16_64 3
		.amdhsa_dx10_clamp 1
		.amdhsa_ieee_mode 1
		.amdhsa_fp16_overflow 0
		.amdhsa_tg_split 0
		.amdhsa_exception_fp_ieee_invalid_op 0
		.amdhsa_exception_fp_denorm_src 0
		.amdhsa_exception_fp_ieee_div_zero 0
		.amdhsa_exception_fp_ieee_overflow 0
		.amdhsa_exception_fp_ieee_underflow 0
		.amdhsa_exception_fp_ieee_inexact 0
		.amdhsa_exception_int_div_zero 0
	.end_amdhsa_kernel
	.section	.text._ZN7rocprim17ROCPRIM_400000_NS6detail17trampoline_kernelINS0_14default_configENS1_35adjacent_difference_config_selectorILb1EaEEZNS1_24adjacent_difference_implIS3_Lb1ELb0EPaS7_N6thrust23THRUST_200600_302600_NS5minusIaEEEE10hipError_tPvRmT2_T3_mT4_P12ihipStream_tbEUlT_E_NS1_11comp_targetILNS1_3genE3ELNS1_11target_archE908ELNS1_3gpuE7ELNS1_3repE0EEENS1_30default_config_static_selectorELNS0_4arch9wavefront6targetE1EEEvT1_,"axG",@progbits,_ZN7rocprim17ROCPRIM_400000_NS6detail17trampoline_kernelINS0_14default_configENS1_35adjacent_difference_config_selectorILb1EaEEZNS1_24adjacent_difference_implIS3_Lb1ELb0EPaS7_N6thrust23THRUST_200600_302600_NS5minusIaEEEE10hipError_tPvRmT2_T3_mT4_P12ihipStream_tbEUlT_E_NS1_11comp_targetILNS1_3genE3ELNS1_11target_archE908ELNS1_3gpuE7ELNS1_3repE0EEENS1_30default_config_static_selectorELNS0_4arch9wavefront6targetE1EEEvT1_,comdat
.Lfunc_end22:
	.size	_ZN7rocprim17ROCPRIM_400000_NS6detail17trampoline_kernelINS0_14default_configENS1_35adjacent_difference_config_selectorILb1EaEEZNS1_24adjacent_difference_implIS3_Lb1ELb0EPaS7_N6thrust23THRUST_200600_302600_NS5minusIaEEEE10hipError_tPvRmT2_T3_mT4_P12ihipStream_tbEUlT_E_NS1_11comp_targetILNS1_3genE3ELNS1_11target_archE908ELNS1_3gpuE7ELNS1_3repE0EEENS1_30default_config_static_selectorELNS0_4arch9wavefront6targetE1EEEvT1_, .Lfunc_end22-_ZN7rocprim17ROCPRIM_400000_NS6detail17trampoline_kernelINS0_14default_configENS1_35adjacent_difference_config_selectorILb1EaEEZNS1_24adjacent_difference_implIS3_Lb1ELb0EPaS7_N6thrust23THRUST_200600_302600_NS5minusIaEEEE10hipError_tPvRmT2_T3_mT4_P12ihipStream_tbEUlT_E_NS1_11comp_targetILNS1_3genE3ELNS1_11target_archE908ELNS1_3gpuE7ELNS1_3repE0EEENS1_30default_config_static_selectorELNS0_4arch9wavefront6targetE1EEEvT1_
                                        ; -- End function
	.section	.AMDGPU.csdata,"",@progbits
; Kernel info:
; codeLenInByte = 0
; NumSgprs: 4
; NumVgprs: 0
; NumAgprs: 0
; TotalNumVgprs: 0
; ScratchSize: 0
; MemoryBound: 0
; FloatMode: 240
; IeeeMode: 1
; LDSByteSize: 0 bytes/workgroup (compile time only)
; SGPRBlocks: 0
; VGPRBlocks: 0
; NumSGPRsForWavesPerEU: 4
; NumVGPRsForWavesPerEU: 1
; AccumOffset: 4
; Occupancy: 8
; WaveLimiterHint : 0
; COMPUTE_PGM_RSRC2:SCRATCH_EN: 0
; COMPUTE_PGM_RSRC2:USER_SGPR: 6
; COMPUTE_PGM_RSRC2:TRAP_HANDLER: 0
; COMPUTE_PGM_RSRC2:TGID_X_EN: 1
; COMPUTE_PGM_RSRC2:TGID_Y_EN: 0
; COMPUTE_PGM_RSRC2:TGID_Z_EN: 0
; COMPUTE_PGM_RSRC2:TIDIG_COMP_CNT: 0
; COMPUTE_PGM_RSRC3_GFX90A:ACCUM_OFFSET: 0
; COMPUTE_PGM_RSRC3_GFX90A:TG_SPLIT: 0
	.section	.text._ZN7rocprim17ROCPRIM_400000_NS6detail17trampoline_kernelINS0_14default_configENS1_35adjacent_difference_config_selectorILb1EaEEZNS1_24adjacent_difference_implIS3_Lb1ELb0EPaS7_N6thrust23THRUST_200600_302600_NS5minusIaEEEE10hipError_tPvRmT2_T3_mT4_P12ihipStream_tbEUlT_E_NS1_11comp_targetILNS1_3genE2ELNS1_11target_archE906ELNS1_3gpuE6ELNS1_3repE0EEENS1_30default_config_static_selectorELNS0_4arch9wavefront6targetE1EEEvT1_,"axG",@progbits,_ZN7rocprim17ROCPRIM_400000_NS6detail17trampoline_kernelINS0_14default_configENS1_35adjacent_difference_config_selectorILb1EaEEZNS1_24adjacent_difference_implIS3_Lb1ELb0EPaS7_N6thrust23THRUST_200600_302600_NS5minusIaEEEE10hipError_tPvRmT2_T3_mT4_P12ihipStream_tbEUlT_E_NS1_11comp_targetILNS1_3genE2ELNS1_11target_archE906ELNS1_3gpuE6ELNS1_3repE0EEENS1_30default_config_static_selectorELNS0_4arch9wavefront6targetE1EEEvT1_,comdat
	.protected	_ZN7rocprim17ROCPRIM_400000_NS6detail17trampoline_kernelINS0_14default_configENS1_35adjacent_difference_config_selectorILb1EaEEZNS1_24adjacent_difference_implIS3_Lb1ELb0EPaS7_N6thrust23THRUST_200600_302600_NS5minusIaEEEE10hipError_tPvRmT2_T3_mT4_P12ihipStream_tbEUlT_E_NS1_11comp_targetILNS1_3genE2ELNS1_11target_archE906ELNS1_3gpuE6ELNS1_3repE0EEENS1_30default_config_static_selectorELNS0_4arch9wavefront6targetE1EEEvT1_ ; -- Begin function _ZN7rocprim17ROCPRIM_400000_NS6detail17trampoline_kernelINS0_14default_configENS1_35adjacent_difference_config_selectorILb1EaEEZNS1_24adjacent_difference_implIS3_Lb1ELb0EPaS7_N6thrust23THRUST_200600_302600_NS5minusIaEEEE10hipError_tPvRmT2_T3_mT4_P12ihipStream_tbEUlT_E_NS1_11comp_targetILNS1_3genE2ELNS1_11target_archE906ELNS1_3gpuE6ELNS1_3repE0EEENS1_30default_config_static_selectorELNS0_4arch9wavefront6targetE1EEEvT1_
	.globl	_ZN7rocprim17ROCPRIM_400000_NS6detail17trampoline_kernelINS0_14default_configENS1_35adjacent_difference_config_selectorILb1EaEEZNS1_24adjacent_difference_implIS3_Lb1ELb0EPaS7_N6thrust23THRUST_200600_302600_NS5minusIaEEEE10hipError_tPvRmT2_T3_mT4_P12ihipStream_tbEUlT_E_NS1_11comp_targetILNS1_3genE2ELNS1_11target_archE906ELNS1_3gpuE6ELNS1_3repE0EEENS1_30default_config_static_selectorELNS0_4arch9wavefront6targetE1EEEvT1_
	.p2align	8
	.type	_ZN7rocprim17ROCPRIM_400000_NS6detail17trampoline_kernelINS0_14default_configENS1_35adjacent_difference_config_selectorILb1EaEEZNS1_24adjacent_difference_implIS3_Lb1ELb0EPaS7_N6thrust23THRUST_200600_302600_NS5minusIaEEEE10hipError_tPvRmT2_T3_mT4_P12ihipStream_tbEUlT_E_NS1_11comp_targetILNS1_3genE2ELNS1_11target_archE906ELNS1_3gpuE6ELNS1_3repE0EEENS1_30default_config_static_selectorELNS0_4arch9wavefront6targetE1EEEvT1_,@function
_ZN7rocprim17ROCPRIM_400000_NS6detail17trampoline_kernelINS0_14default_configENS1_35adjacent_difference_config_selectorILb1EaEEZNS1_24adjacent_difference_implIS3_Lb1ELb0EPaS7_N6thrust23THRUST_200600_302600_NS5minusIaEEEE10hipError_tPvRmT2_T3_mT4_P12ihipStream_tbEUlT_E_NS1_11comp_targetILNS1_3genE2ELNS1_11target_archE906ELNS1_3gpuE6ELNS1_3repE0EEENS1_30default_config_static_selectorELNS0_4arch9wavefront6targetE1EEEvT1_: ; @_ZN7rocprim17ROCPRIM_400000_NS6detail17trampoline_kernelINS0_14default_configENS1_35adjacent_difference_config_selectorILb1EaEEZNS1_24adjacent_difference_implIS3_Lb1ELb0EPaS7_N6thrust23THRUST_200600_302600_NS5minusIaEEEE10hipError_tPvRmT2_T3_mT4_P12ihipStream_tbEUlT_E_NS1_11comp_targetILNS1_3genE2ELNS1_11target_archE906ELNS1_3gpuE6ELNS1_3repE0EEENS1_30default_config_static_selectorELNS0_4arch9wavefront6targetE1EEEvT1_
; %bb.0:
	.section	.rodata,"a",@progbits
	.p2align	6, 0x0
	.amdhsa_kernel _ZN7rocprim17ROCPRIM_400000_NS6detail17trampoline_kernelINS0_14default_configENS1_35adjacent_difference_config_selectorILb1EaEEZNS1_24adjacent_difference_implIS3_Lb1ELb0EPaS7_N6thrust23THRUST_200600_302600_NS5minusIaEEEE10hipError_tPvRmT2_T3_mT4_P12ihipStream_tbEUlT_E_NS1_11comp_targetILNS1_3genE2ELNS1_11target_archE906ELNS1_3gpuE6ELNS1_3repE0EEENS1_30default_config_static_selectorELNS0_4arch9wavefront6targetE1EEEvT1_
		.amdhsa_group_segment_fixed_size 0
		.amdhsa_private_segment_fixed_size 0
		.amdhsa_kernarg_size 56
		.amdhsa_user_sgpr_count 6
		.amdhsa_user_sgpr_private_segment_buffer 1
		.amdhsa_user_sgpr_dispatch_ptr 0
		.amdhsa_user_sgpr_queue_ptr 0
		.amdhsa_user_sgpr_kernarg_segment_ptr 1
		.amdhsa_user_sgpr_dispatch_id 0
		.amdhsa_user_sgpr_flat_scratch_init 0
		.amdhsa_user_sgpr_kernarg_preload_length 0
		.amdhsa_user_sgpr_kernarg_preload_offset 0
		.amdhsa_user_sgpr_private_segment_size 0
		.amdhsa_uses_dynamic_stack 0
		.amdhsa_system_sgpr_private_segment_wavefront_offset 0
		.amdhsa_system_sgpr_workgroup_id_x 1
		.amdhsa_system_sgpr_workgroup_id_y 0
		.amdhsa_system_sgpr_workgroup_id_z 0
		.amdhsa_system_sgpr_workgroup_info 0
		.amdhsa_system_vgpr_workitem_id 0
		.amdhsa_next_free_vgpr 1
		.amdhsa_next_free_sgpr 0
		.amdhsa_accum_offset 4
		.amdhsa_reserve_vcc 0
		.amdhsa_reserve_flat_scratch 0
		.amdhsa_float_round_mode_32 0
		.amdhsa_float_round_mode_16_64 0
		.amdhsa_float_denorm_mode_32 3
		.amdhsa_float_denorm_mode_16_64 3
		.amdhsa_dx10_clamp 1
		.amdhsa_ieee_mode 1
		.amdhsa_fp16_overflow 0
		.amdhsa_tg_split 0
		.amdhsa_exception_fp_ieee_invalid_op 0
		.amdhsa_exception_fp_denorm_src 0
		.amdhsa_exception_fp_ieee_div_zero 0
		.amdhsa_exception_fp_ieee_overflow 0
		.amdhsa_exception_fp_ieee_underflow 0
		.amdhsa_exception_fp_ieee_inexact 0
		.amdhsa_exception_int_div_zero 0
	.end_amdhsa_kernel
	.section	.text._ZN7rocprim17ROCPRIM_400000_NS6detail17trampoline_kernelINS0_14default_configENS1_35adjacent_difference_config_selectorILb1EaEEZNS1_24adjacent_difference_implIS3_Lb1ELb0EPaS7_N6thrust23THRUST_200600_302600_NS5minusIaEEEE10hipError_tPvRmT2_T3_mT4_P12ihipStream_tbEUlT_E_NS1_11comp_targetILNS1_3genE2ELNS1_11target_archE906ELNS1_3gpuE6ELNS1_3repE0EEENS1_30default_config_static_selectorELNS0_4arch9wavefront6targetE1EEEvT1_,"axG",@progbits,_ZN7rocprim17ROCPRIM_400000_NS6detail17trampoline_kernelINS0_14default_configENS1_35adjacent_difference_config_selectorILb1EaEEZNS1_24adjacent_difference_implIS3_Lb1ELb0EPaS7_N6thrust23THRUST_200600_302600_NS5minusIaEEEE10hipError_tPvRmT2_T3_mT4_P12ihipStream_tbEUlT_E_NS1_11comp_targetILNS1_3genE2ELNS1_11target_archE906ELNS1_3gpuE6ELNS1_3repE0EEENS1_30default_config_static_selectorELNS0_4arch9wavefront6targetE1EEEvT1_,comdat
.Lfunc_end23:
	.size	_ZN7rocprim17ROCPRIM_400000_NS6detail17trampoline_kernelINS0_14default_configENS1_35adjacent_difference_config_selectorILb1EaEEZNS1_24adjacent_difference_implIS3_Lb1ELb0EPaS7_N6thrust23THRUST_200600_302600_NS5minusIaEEEE10hipError_tPvRmT2_T3_mT4_P12ihipStream_tbEUlT_E_NS1_11comp_targetILNS1_3genE2ELNS1_11target_archE906ELNS1_3gpuE6ELNS1_3repE0EEENS1_30default_config_static_selectorELNS0_4arch9wavefront6targetE1EEEvT1_, .Lfunc_end23-_ZN7rocprim17ROCPRIM_400000_NS6detail17trampoline_kernelINS0_14default_configENS1_35adjacent_difference_config_selectorILb1EaEEZNS1_24adjacent_difference_implIS3_Lb1ELb0EPaS7_N6thrust23THRUST_200600_302600_NS5minusIaEEEE10hipError_tPvRmT2_T3_mT4_P12ihipStream_tbEUlT_E_NS1_11comp_targetILNS1_3genE2ELNS1_11target_archE906ELNS1_3gpuE6ELNS1_3repE0EEENS1_30default_config_static_selectorELNS0_4arch9wavefront6targetE1EEEvT1_
                                        ; -- End function
	.section	.AMDGPU.csdata,"",@progbits
; Kernel info:
; codeLenInByte = 0
; NumSgprs: 4
; NumVgprs: 0
; NumAgprs: 0
; TotalNumVgprs: 0
; ScratchSize: 0
; MemoryBound: 0
; FloatMode: 240
; IeeeMode: 1
; LDSByteSize: 0 bytes/workgroup (compile time only)
; SGPRBlocks: 0
; VGPRBlocks: 0
; NumSGPRsForWavesPerEU: 4
; NumVGPRsForWavesPerEU: 1
; AccumOffset: 4
; Occupancy: 8
; WaveLimiterHint : 0
; COMPUTE_PGM_RSRC2:SCRATCH_EN: 0
; COMPUTE_PGM_RSRC2:USER_SGPR: 6
; COMPUTE_PGM_RSRC2:TRAP_HANDLER: 0
; COMPUTE_PGM_RSRC2:TGID_X_EN: 1
; COMPUTE_PGM_RSRC2:TGID_Y_EN: 0
; COMPUTE_PGM_RSRC2:TGID_Z_EN: 0
; COMPUTE_PGM_RSRC2:TIDIG_COMP_CNT: 0
; COMPUTE_PGM_RSRC3_GFX90A:ACCUM_OFFSET: 0
; COMPUTE_PGM_RSRC3_GFX90A:TG_SPLIT: 0
	.section	.text._ZN7rocprim17ROCPRIM_400000_NS6detail17trampoline_kernelINS0_14default_configENS1_35adjacent_difference_config_selectorILb1EaEEZNS1_24adjacent_difference_implIS3_Lb1ELb0EPaS7_N6thrust23THRUST_200600_302600_NS5minusIaEEEE10hipError_tPvRmT2_T3_mT4_P12ihipStream_tbEUlT_E_NS1_11comp_targetILNS1_3genE9ELNS1_11target_archE1100ELNS1_3gpuE3ELNS1_3repE0EEENS1_30default_config_static_selectorELNS0_4arch9wavefront6targetE1EEEvT1_,"axG",@progbits,_ZN7rocprim17ROCPRIM_400000_NS6detail17trampoline_kernelINS0_14default_configENS1_35adjacent_difference_config_selectorILb1EaEEZNS1_24adjacent_difference_implIS3_Lb1ELb0EPaS7_N6thrust23THRUST_200600_302600_NS5minusIaEEEE10hipError_tPvRmT2_T3_mT4_P12ihipStream_tbEUlT_E_NS1_11comp_targetILNS1_3genE9ELNS1_11target_archE1100ELNS1_3gpuE3ELNS1_3repE0EEENS1_30default_config_static_selectorELNS0_4arch9wavefront6targetE1EEEvT1_,comdat
	.protected	_ZN7rocprim17ROCPRIM_400000_NS6detail17trampoline_kernelINS0_14default_configENS1_35adjacent_difference_config_selectorILb1EaEEZNS1_24adjacent_difference_implIS3_Lb1ELb0EPaS7_N6thrust23THRUST_200600_302600_NS5minusIaEEEE10hipError_tPvRmT2_T3_mT4_P12ihipStream_tbEUlT_E_NS1_11comp_targetILNS1_3genE9ELNS1_11target_archE1100ELNS1_3gpuE3ELNS1_3repE0EEENS1_30default_config_static_selectorELNS0_4arch9wavefront6targetE1EEEvT1_ ; -- Begin function _ZN7rocprim17ROCPRIM_400000_NS6detail17trampoline_kernelINS0_14default_configENS1_35adjacent_difference_config_selectorILb1EaEEZNS1_24adjacent_difference_implIS3_Lb1ELb0EPaS7_N6thrust23THRUST_200600_302600_NS5minusIaEEEE10hipError_tPvRmT2_T3_mT4_P12ihipStream_tbEUlT_E_NS1_11comp_targetILNS1_3genE9ELNS1_11target_archE1100ELNS1_3gpuE3ELNS1_3repE0EEENS1_30default_config_static_selectorELNS0_4arch9wavefront6targetE1EEEvT1_
	.globl	_ZN7rocprim17ROCPRIM_400000_NS6detail17trampoline_kernelINS0_14default_configENS1_35adjacent_difference_config_selectorILb1EaEEZNS1_24adjacent_difference_implIS3_Lb1ELb0EPaS7_N6thrust23THRUST_200600_302600_NS5minusIaEEEE10hipError_tPvRmT2_T3_mT4_P12ihipStream_tbEUlT_E_NS1_11comp_targetILNS1_3genE9ELNS1_11target_archE1100ELNS1_3gpuE3ELNS1_3repE0EEENS1_30default_config_static_selectorELNS0_4arch9wavefront6targetE1EEEvT1_
	.p2align	8
	.type	_ZN7rocprim17ROCPRIM_400000_NS6detail17trampoline_kernelINS0_14default_configENS1_35adjacent_difference_config_selectorILb1EaEEZNS1_24adjacent_difference_implIS3_Lb1ELb0EPaS7_N6thrust23THRUST_200600_302600_NS5minusIaEEEE10hipError_tPvRmT2_T3_mT4_P12ihipStream_tbEUlT_E_NS1_11comp_targetILNS1_3genE9ELNS1_11target_archE1100ELNS1_3gpuE3ELNS1_3repE0EEENS1_30default_config_static_selectorELNS0_4arch9wavefront6targetE1EEEvT1_,@function
_ZN7rocprim17ROCPRIM_400000_NS6detail17trampoline_kernelINS0_14default_configENS1_35adjacent_difference_config_selectorILb1EaEEZNS1_24adjacent_difference_implIS3_Lb1ELb0EPaS7_N6thrust23THRUST_200600_302600_NS5minusIaEEEE10hipError_tPvRmT2_T3_mT4_P12ihipStream_tbEUlT_E_NS1_11comp_targetILNS1_3genE9ELNS1_11target_archE1100ELNS1_3gpuE3ELNS1_3repE0EEENS1_30default_config_static_selectorELNS0_4arch9wavefront6targetE1EEEvT1_: ; @_ZN7rocprim17ROCPRIM_400000_NS6detail17trampoline_kernelINS0_14default_configENS1_35adjacent_difference_config_selectorILb1EaEEZNS1_24adjacent_difference_implIS3_Lb1ELb0EPaS7_N6thrust23THRUST_200600_302600_NS5minusIaEEEE10hipError_tPvRmT2_T3_mT4_P12ihipStream_tbEUlT_E_NS1_11comp_targetILNS1_3genE9ELNS1_11target_archE1100ELNS1_3gpuE3ELNS1_3repE0EEENS1_30default_config_static_selectorELNS0_4arch9wavefront6targetE1EEEvT1_
; %bb.0:
	.section	.rodata,"a",@progbits
	.p2align	6, 0x0
	.amdhsa_kernel _ZN7rocprim17ROCPRIM_400000_NS6detail17trampoline_kernelINS0_14default_configENS1_35adjacent_difference_config_selectorILb1EaEEZNS1_24adjacent_difference_implIS3_Lb1ELb0EPaS7_N6thrust23THRUST_200600_302600_NS5minusIaEEEE10hipError_tPvRmT2_T3_mT4_P12ihipStream_tbEUlT_E_NS1_11comp_targetILNS1_3genE9ELNS1_11target_archE1100ELNS1_3gpuE3ELNS1_3repE0EEENS1_30default_config_static_selectorELNS0_4arch9wavefront6targetE1EEEvT1_
		.amdhsa_group_segment_fixed_size 0
		.amdhsa_private_segment_fixed_size 0
		.amdhsa_kernarg_size 56
		.amdhsa_user_sgpr_count 6
		.amdhsa_user_sgpr_private_segment_buffer 1
		.amdhsa_user_sgpr_dispatch_ptr 0
		.amdhsa_user_sgpr_queue_ptr 0
		.amdhsa_user_sgpr_kernarg_segment_ptr 1
		.amdhsa_user_sgpr_dispatch_id 0
		.amdhsa_user_sgpr_flat_scratch_init 0
		.amdhsa_user_sgpr_kernarg_preload_length 0
		.amdhsa_user_sgpr_kernarg_preload_offset 0
		.amdhsa_user_sgpr_private_segment_size 0
		.amdhsa_uses_dynamic_stack 0
		.amdhsa_system_sgpr_private_segment_wavefront_offset 0
		.amdhsa_system_sgpr_workgroup_id_x 1
		.amdhsa_system_sgpr_workgroup_id_y 0
		.amdhsa_system_sgpr_workgroup_id_z 0
		.amdhsa_system_sgpr_workgroup_info 0
		.amdhsa_system_vgpr_workitem_id 0
		.amdhsa_next_free_vgpr 1
		.amdhsa_next_free_sgpr 0
		.amdhsa_accum_offset 4
		.amdhsa_reserve_vcc 0
		.amdhsa_reserve_flat_scratch 0
		.amdhsa_float_round_mode_32 0
		.amdhsa_float_round_mode_16_64 0
		.amdhsa_float_denorm_mode_32 3
		.amdhsa_float_denorm_mode_16_64 3
		.amdhsa_dx10_clamp 1
		.amdhsa_ieee_mode 1
		.amdhsa_fp16_overflow 0
		.amdhsa_tg_split 0
		.amdhsa_exception_fp_ieee_invalid_op 0
		.amdhsa_exception_fp_denorm_src 0
		.amdhsa_exception_fp_ieee_div_zero 0
		.amdhsa_exception_fp_ieee_overflow 0
		.amdhsa_exception_fp_ieee_underflow 0
		.amdhsa_exception_fp_ieee_inexact 0
		.amdhsa_exception_int_div_zero 0
	.end_amdhsa_kernel
	.section	.text._ZN7rocprim17ROCPRIM_400000_NS6detail17trampoline_kernelINS0_14default_configENS1_35adjacent_difference_config_selectorILb1EaEEZNS1_24adjacent_difference_implIS3_Lb1ELb0EPaS7_N6thrust23THRUST_200600_302600_NS5minusIaEEEE10hipError_tPvRmT2_T3_mT4_P12ihipStream_tbEUlT_E_NS1_11comp_targetILNS1_3genE9ELNS1_11target_archE1100ELNS1_3gpuE3ELNS1_3repE0EEENS1_30default_config_static_selectorELNS0_4arch9wavefront6targetE1EEEvT1_,"axG",@progbits,_ZN7rocprim17ROCPRIM_400000_NS6detail17trampoline_kernelINS0_14default_configENS1_35adjacent_difference_config_selectorILb1EaEEZNS1_24adjacent_difference_implIS3_Lb1ELb0EPaS7_N6thrust23THRUST_200600_302600_NS5minusIaEEEE10hipError_tPvRmT2_T3_mT4_P12ihipStream_tbEUlT_E_NS1_11comp_targetILNS1_3genE9ELNS1_11target_archE1100ELNS1_3gpuE3ELNS1_3repE0EEENS1_30default_config_static_selectorELNS0_4arch9wavefront6targetE1EEEvT1_,comdat
.Lfunc_end24:
	.size	_ZN7rocprim17ROCPRIM_400000_NS6detail17trampoline_kernelINS0_14default_configENS1_35adjacent_difference_config_selectorILb1EaEEZNS1_24adjacent_difference_implIS3_Lb1ELb0EPaS7_N6thrust23THRUST_200600_302600_NS5minusIaEEEE10hipError_tPvRmT2_T3_mT4_P12ihipStream_tbEUlT_E_NS1_11comp_targetILNS1_3genE9ELNS1_11target_archE1100ELNS1_3gpuE3ELNS1_3repE0EEENS1_30default_config_static_selectorELNS0_4arch9wavefront6targetE1EEEvT1_, .Lfunc_end24-_ZN7rocprim17ROCPRIM_400000_NS6detail17trampoline_kernelINS0_14default_configENS1_35adjacent_difference_config_selectorILb1EaEEZNS1_24adjacent_difference_implIS3_Lb1ELb0EPaS7_N6thrust23THRUST_200600_302600_NS5minusIaEEEE10hipError_tPvRmT2_T3_mT4_P12ihipStream_tbEUlT_E_NS1_11comp_targetILNS1_3genE9ELNS1_11target_archE1100ELNS1_3gpuE3ELNS1_3repE0EEENS1_30default_config_static_selectorELNS0_4arch9wavefront6targetE1EEEvT1_
                                        ; -- End function
	.section	.AMDGPU.csdata,"",@progbits
; Kernel info:
; codeLenInByte = 0
; NumSgprs: 4
; NumVgprs: 0
; NumAgprs: 0
; TotalNumVgprs: 0
; ScratchSize: 0
; MemoryBound: 0
; FloatMode: 240
; IeeeMode: 1
; LDSByteSize: 0 bytes/workgroup (compile time only)
; SGPRBlocks: 0
; VGPRBlocks: 0
; NumSGPRsForWavesPerEU: 4
; NumVGPRsForWavesPerEU: 1
; AccumOffset: 4
; Occupancy: 8
; WaveLimiterHint : 0
; COMPUTE_PGM_RSRC2:SCRATCH_EN: 0
; COMPUTE_PGM_RSRC2:USER_SGPR: 6
; COMPUTE_PGM_RSRC2:TRAP_HANDLER: 0
; COMPUTE_PGM_RSRC2:TGID_X_EN: 1
; COMPUTE_PGM_RSRC2:TGID_Y_EN: 0
; COMPUTE_PGM_RSRC2:TGID_Z_EN: 0
; COMPUTE_PGM_RSRC2:TIDIG_COMP_CNT: 0
; COMPUTE_PGM_RSRC3_GFX90A:ACCUM_OFFSET: 0
; COMPUTE_PGM_RSRC3_GFX90A:TG_SPLIT: 0
	.section	.text._ZN7rocprim17ROCPRIM_400000_NS6detail17trampoline_kernelINS0_14default_configENS1_35adjacent_difference_config_selectorILb1EaEEZNS1_24adjacent_difference_implIS3_Lb1ELb0EPaS7_N6thrust23THRUST_200600_302600_NS5minusIaEEEE10hipError_tPvRmT2_T3_mT4_P12ihipStream_tbEUlT_E_NS1_11comp_targetILNS1_3genE8ELNS1_11target_archE1030ELNS1_3gpuE2ELNS1_3repE0EEENS1_30default_config_static_selectorELNS0_4arch9wavefront6targetE1EEEvT1_,"axG",@progbits,_ZN7rocprim17ROCPRIM_400000_NS6detail17trampoline_kernelINS0_14default_configENS1_35adjacent_difference_config_selectorILb1EaEEZNS1_24adjacent_difference_implIS3_Lb1ELb0EPaS7_N6thrust23THRUST_200600_302600_NS5minusIaEEEE10hipError_tPvRmT2_T3_mT4_P12ihipStream_tbEUlT_E_NS1_11comp_targetILNS1_3genE8ELNS1_11target_archE1030ELNS1_3gpuE2ELNS1_3repE0EEENS1_30default_config_static_selectorELNS0_4arch9wavefront6targetE1EEEvT1_,comdat
	.protected	_ZN7rocprim17ROCPRIM_400000_NS6detail17trampoline_kernelINS0_14default_configENS1_35adjacent_difference_config_selectorILb1EaEEZNS1_24adjacent_difference_implIS3_Lb1ELb0EPaS7_N6thrust23THRUST_200600_302600_NS5minusIaEEEE10hipError_tPvRmT2_T3_mT4_P12ihipStream_tbEUlT_E_NS1_11comp_targetILNS1_3genE8ELNS1_11target_archE1030ELNS1_3gpuE2ELNS1_3repE0EEENS1_30default_config_static_selectorELNS0_4arch9wavefront6targetE1EEEvT1_ ; -- Begin function _ZN7rocprim17ROCPRIM_400000_NS6detail17trampoline_kernelINS0_14default_configENS1_35adjacent_difference_config_selectorILb1EaEEZNS1_24adjacent_difference_implIS3_Lb1ELb0EPaS7_N6thrust23THRUST_200600_302600_NS5minusIaEEEE10hipError_tPvRmT2_T3_mT4_P12ihipStream_tbEUlT_E_NS1_11comp_targetILNS1_3genE8ELNS1_11target_archE1030ELNS1_3gpuE2ELNS1_3repE0EEENS1_30default_config_static_selectorELNS0_4arch9wavefront6targetE1EEEvT1_
	.globl	_ZN7rocprim17ROCPRIM_400000_NS6detail17trampoline_kernelINS0_14default_configENS1_35adjacent_difference_config_selectorILb1EaEEZNS1_24adjacent_difference_implIS3_Lb1ELb0EPaS7_N6thrust23THRUST_200600_302600_NS5minusIaEEEE10hipError_tPvRmT2_T3_mT4_P12ihipStream_tbEUlT_E_NS1_11comp_targetILNS1_3genE8ELNS1_11target_archE1030ELNS1_3gpuE2ELNS1_3repE0EEENS1_30default_config_static_selectorELNS0_4arch9wavefront6targetE1EEEvT1_
	.p2align	8
	.type	_ZN7rocprim17ROCPRIM_400000_NS6detail17trampoline_kernelINS0_14default_configENS1_35adjacent_difference_config_selectorILb1EaEEZNS1_24adjacent_difference_implIS3_Lb1ELb0EPaS7_N6thrust23THRUST_200600_302600_NS5minusIaEEEE10hipError_tPvRmT2_T3_mT4_P12ihipStream_tbEUlT_E_NS1_11comp_targetILNS1_3genE8ELNS1_11target_archE1030ELNS1_3gpuE2ELNS1_3repE0EEENS1_30default_config_static_selectorELNS0_4arch9wavefront6targetE1EEEvT1_,@function
_ZN7rocprim17ROCPRIM_400000_NS6detail17trampoline_kernelINS0_14default_configENS1_35adjacent_difference_config_selectorILb1EaEEZNS1_24adjacent_difference_implIS3_Lb1ELb0EPaS7_N6thrust23THRUST_200600_302600_NS5minusIaEEEE10hipError_tPvRmT2_T3_mT4_P12ihipStream_tbEUlT_E_NS1_11comp_targetILNS1_3genE8ELNS1_11target_archE1030ELNS1_3gpuE2ELNS1_3repE0EEENS1_30default_config_static_selectorELNS0_4arch9wavefront6targetE1EEEvT1_: ; @_ZN7rocprim17ROCPRIM_400000_NS6detail17trampoline_kernelINS0_14default_configENS1_35adjacent_difference_config_selectorILb1EaEEZNS1_24adjacent_difference_implIS3_Lb1ELb0EPaS7_N6thrust23THRUST_200600_302600_NS5minusIaEEEE10hipError_tPvRmT2_T3_mT4_P12ihipStream_tbEUlT_E_NS1_11comp_targetILNS1_3genE8ELNS1_11target_archE1030ELNS1_3gpuE2ELNS1_3repE0EEENS1_30default_config_static_selectorELNS0_4arch9wavefront6targetE1EEEvT1_
; %bb.0:
	.section	.rodata,"a",@progbits
	.p2align	6, 0x0
	.amdhsa_kernel _ZN7rocprim17ROCPRIM_400000_NS6detail17trampoline_kernelINS0_14default_configENS1_35adjacent_difference_config_selectorILb1EaEEZNS1_24adjacent_difference_implIS3_Lb1ELb0EPaS7_N6thrust23THRUST_200600_302600_NS5minusIaEEEE10hipError_tPvRmT2_T3_mT4_P12ihipStream_tbEUlT_E_NS1_11comp_targetILNS1_3genE8ELNS1_11target_archE1030ELNS1_3gpuE2ELNS1_3repE0EEENS1_30default_config_static_selectorELNS0_4arch9wavefront6targetE1EEEvT1_
		.amdhsa_group_segment_fixed_size 0
		.amdhsa_private_segment_fixed_size 0
		.amdhsa_kernarg_size 56
		.amdhsa_user_sgpr_count 6
		.amdhsa_user_sgpr_private_segment_buffer 1
		.amdhsa_user_sgpr_dispatch_ptr 0
		.amdhsa_user_sgpr_queue_ptr 0
		.amdhsa_user_sgpr_kernarg_segment_ptr 1
		.amdhsa_user_sgpr_dispatch_id 0
		.amdhsa_user_sgpr_flat_scratch_init 0
		.amdhsa_user_sgpr_kernarg_preload_length 0
		.amdhsa_user_sgpr_kernarg_preload_offset 0
		.amdhsa_user_sgpr_private_segment_size 0
		.amdhsa_uses_dynamic_stack 0
		.amdhsa_system_sgpr_private_segment_wavefront_offset 0
		.amdhsa_system_sgpr_workgroup_id_x 1
		.amdhsa_system_sgpr_workgroup_id_y 0
		.amdhsa_system_sgpr_workgroup_id_z 0
		.amdhsa_system_sgpr_workgroup_info 0
		.amdhsa_system_vgpr_workitem_id 0
		.amdhsa_next_free_vgpr 1
		.amdhsa_next_free_sgpr 0
		.amdhsa_accum_offset 4
		.amdhsa_reserve_vcc 0
		.amdhsa_reserve_flat_scratch 0
		.amdhsa_float_round_mode_32 0
		.amdhsa_float_round_mode_16_64 0
		.amdhsa_float_denorm_mode_32 3
		.amdhsa_float_denorm_mode_16_64 3
		.amdhsa_dx10_clamp 1
		.amdhsa_ieee_mode 1
		.amdhsa_fp16_overflow 0
		.amdhsa_tg_split 0
		.amdhsa_exception_fp_ieee_invalid_op 0
		.amdhsa_exception_fp_denorm_src 0
		.amdhsa_exception_fp_ieee_div_zero 0
		.amdhsa_exception_fp_ieee_overflow 0
		.amdhsa_exception_fp_ieee_underflow 0
		.amdhsa_exception_fp_ieee_inexact 0
		.amdhsa_exception_int_div_zero 0
	.end_amdhsa_kernel
	.section	.text._ZN7rocprim17ROCPRIM_400000_NS6detail17trampoline_kernelINS0_14default_configENS1_35adjacent_difference_config_selectorILb1EaEEZNS1_24adjacent_difference_implIS3_Lb1ELb0EPaS7_N6thrust23THRUST_200600_302600_NS5minusIaEEEE10hipError_tPvRmT2_T3_mT4_P12ihipStream_tbEUlT_E_NS1_11comp_targetILNS1_3genE8ELNS1_11target_archE1030ELNS1_3gpuE2ELNS1_3repE0EEENS1_30default_config_static_selectorELNS0_4arch9wavefront6targetE1EEEvT1_,"axG",@progbits,_ZN7rocprim17ROCPRIM_400000_NS6detail17trampoline_kernelINS0_14default_configENS1_35adjacent_difference_config_selectorILb1EaEEZNS1_24adjacent_difference_implIS3_Lb1ELb0EPaS7_N6thrust23THRUST_200600_302600_NS5minusIaEEEE10hipError_tPvRmT2_T3_mT4_P12ihipStream_tbEUlT_E_NS1_11comp_targetILNS1_3genE8ELNS1_11target_archE1030ELNS1_3gpuE2ELNS1_3repE0EEENS1_30default_config_static_selectorELNS0_4arch9wavefront6targetE1EEEvT1_,comdat
.Lfunc_end25:
	.size	_ZN7rocprim17ROCPRIM_400000_NS6detail17trampoline_kernelINS0_14default_configENS1_35adjacent_difference_config_selectorILb1EaEEZNS1_24adjacent_difference_implIS3_Lb1ELb0EPaS7_N6thrust23THRUST_200600_302600_NS5minusIaEEEE10hipError_tPvRmT2_T3_mT4_P12ihipStream_tbEUlT_E_NS1_11comp_targetILNS1_3genE8ELNS1_11target_archE1030ELNS1_3gpuE2ELNS1_3repE0EEENS1_30default_config_static_selectorELNS0_4arch9wavefront6targetE1EEEvT1_, .Lfunc_end25-_ZN7rocprim17ROCPRIM_400000_NS6detail17trampoline_kernelINS0_14default_configENS1_35adjacent_difference_config_selectorILb1EaEEZNS1_24adjacent_difference_implIS3_Lb1ELb0EPaS7_N6thrust23THRUST_200600_302600_NS5minusIaEEEE10hipError_tPvRmT2_T3_mT4_P12ihipStream_tbEUlT_E_NS1_11comp_targetILNS1_3genE8ELNS1_11target_archE1030ELNS1_3gpuE2ELNS1_3repE0EEENS1_30default_config_static_selectorELNS0_4arch9wavefront6targetE1EEEvT1_
                                        ; -- End function
	.section	.AMDGPU.csdata,"",@progbits
; Kernel info:
; codeLenInByte = 0
; NumSgprs: 4
; NumVgprs: 0
; NumAgprs: 0
; TotalNumVgprs: 0
; ScratchSize: 0
; MemoryBound: 0
; FloatMode: 240
; IeeeMode: 1
; LDSByteSize: 0 bytes/workgroup (compile time only)
; SGPRBlocks: 0
; VGPRBlocks: 0
; NumSGPRsForWavesPerEU: 4
; NumVGPRsForWavesPerEU: 1
; AccumOffset: 4
; Occupancy: 8
; WaveLimiterHint : 0
; COMPUTE_PGM_RSRC2:SCRATCH_EN: 0
; COMPUTE_PGM_RSRC2:USER_SGPR: 6
; COMPUTE_PGM_RSRC2:TRAP_HANDLER: 0
; COMPUTE_PGM_RSRC2:TGID_X_EN: 1
; COMPUTE_PGM_RSRC2:TGID_Y_EN: 0
; COMPUTE_PGM_RSRC2:TGID_Z_EN: 0
; COMPUTE_PGM_RSRC2:TIDIG_COMP_CNT: 0
; COMPUTE_PGM_RSRC3_GFX90A:ACCUM_OFFSET: 0
; COMPUTE_PGM_RSRC3_GFX90A:TG_SPLIT: 0
	.section	.text._ZN7rocprim17ROCPRIM_400000_NS6detail17trampoline_kernelINS0_14default_configENS1_35adjacent_difference_config_selectorILb0EaEEZNS1_24adjacent_difference_implIS3_Lb0ELb0EPaS7_N6thrust23THRUST_200600_302600_NS4plusIaEEEE10hipError_tPvRmT2_T3_mT4_P12ihipStream_tbEUlT_E_NS1_11comp_targetILNS1_3genE0ELNS1_11target_archE4294967295ELNS1_3gpuE0ELNS1_3repE0EEENS1_30default_config_static_selectorELNS0_4arch9wavefront6targetE1EEEvT1_,"axG",@progbits,_ZN7rocprim17ROCPRIM_400000_NS6detail17trampoline_kernelINS0_14default_configENS1_35adjacent_difference_config_selectorILb0EaEEZNS1_24adjacent_difference_implIS3_Lb0ELb0EPaS7_N6thrust23THRUST_200600_302600_NS4plusIaEEEE10hipError_tPvRmT2_T3_mT4_P12ihipStream_tbEUlT_E_NS1_11comp_targetILNS1_3genE0ELNS1_11target_archE4294967295ELNS1_3gpuE0ELNS1_3repE0EEENS1_30default_config_static_selectorELNS0_4arch9wavefront6targetE1EEEvT1_,comdat
	.protected	_ZN7rocprim17ROCPRIM_400000_NS6detail17trampoline_kernelINS0_14default_configENS1_35adjacent_difference_config_selectorILb0EaEEZNS1_24adjacent_difference_implIS3_Lb0ELb0EPaS7_N6thrust23THRUST_200600_302600_NS4plusIaEEEE10hipError_tPvRmT2_T3_mT4_P12ihipStream_tbEUlT_E_NS1_11comp_targetILNS1_3genE0ELNS1_11target_archE4294967295ELNS1_3gpuE0ELNS1_3repE0EEENS1_30default_config_static_selectorELNS0_4arch9wavefront6targetE1EEEvT1_ ; -- Begin function _ZN7rocprim17ROCPRIM_400000_NS6detail17trampoline_kernelINS0_14default_configENS1_35adjacent_difference_config_selectorILb0EaEEZNS1_24adjacent_difference_implIS3_Lb0ELb0EPaS7_N6thrust23THRUST_200600_302600_NS4plusIaEEEE10hipError_tPvRmT2_T3_mT4_P12ihipStream_tbEUlT_E_NS1_11comp_targetILNS1_3genE0ELNS1_11target_archE4294967295ELNS1_3gpuE0ELNS1_3repE0EEENS1_30default_config_static_selectorELNS0_4arch9wavefront6targetE1EEEvT1_
	.globl	_ZN7rocprim17ROCPRIM_400000_NS6detail17trampoline_kernelINS0_14default_configENS1_35adjacent_difference_config_selectorILb0EaEEZNS1_24adjacent_difference_implIS3_Lb0ELb0EPaS7_N6thrust23THRUST_200600_302600_NS4plusIaEEEE10hipError_tPvRmT2_T3_mT4_P12ihipStream_tbEUlT_E_NS1_11comp_targetILNS1_3genE0ELNS1_11target_archE4294967295ELNS1_3gpuE0ELNS1_3repE0EEENS1_30default_config_static_selectorELNS0_4arch9wavefront6targetE1EEEvT1_
	.p2align	8
	.type	_ZN7rocprim17ROCPRIM_400000_NS6detail17trampoline_kernelINS0_14default_configENS1_35adjacent_difference_config_selectorILb0EaEEZNS1_24adjacent_difference_implIS3_Lb0ELb0EPaS7_N6thrust23THRUST_200600_302600_NS4plusIaEEEE10hipError_tPvRmT2_T3_mT4_P12ihipStream_tbEUlT_E_NS1_11comp_targetILNS1_3genE0ELNS1_11target_archE4294967295ELNS1_3gpuE0ELNS1_3repE0EEENS1_30default_config_static_selectorELNS0_4arch9wavefront6targetE1EEEvT1_,@function
_ZN7rocprim17ROCPRIM_400000_NS6detail17trampoline_kernelINS0_14default_configENS1_35adjacent_difference_config_selectorILb0EaEEZNS1_24adjacent_difference_implIS3_Lb0ELb0EPaS7_N6thrust23THRUST_200600_302600_NS4plusIaEEEE10hipError_tPvRmT2_T3_mT4_P12ihipStream_tbEUlT_E_NS1_11comp_targetILNS1_3genE0ELNS1_11target_archE4294967295ELNS1_3gpuE0ELNS1_3repE0EEENS1_30default_config_static_selectorELNS0_4arch9wavefront6targetE1EEEvT1_: ; @_ZN7rocprim17ROCPRIM_400000_NS6detail17trampoline_kernelINS0_14default_configENS1_35adjacent_difference_config_selectorILb0EaEEZNS1_24adjacent_difference_implIS3_Lb0ELb0EPaS7_N6thrust23THRUST_200600_302600_NS4plusIaEEEE10hipError_tPvRmT2_T3_mT4_P12ihipStream_tbEUlT_E_NS1_11comp_targetILNS1_3genE0ELNS1_11target_archE4294967295ELNS1_3gpuE0ELNS1_3repE0EEENS1_30default_config_static_selectorELNS0_4arch9wavefront6targetE1EEEvT1_
; %bb.0:
	.section	.rodata,"a",@progbits
	.p2align	6, 0x0
	.amdhsa_kernel _ZN7rocprim17ROCPRIM_400000_NS6detail17trampoline_kernelINS0_14default_configENS1_35adjacent_difference_config_selectorILb0EaEEZNS1_24adjacent_difference_implIS3_Lb0ELb0EPaS7_N6thrust23THRUST_200600_302600_NS4plusIaEEEE10hipError_tPvRmT2_T3_mT4_P12ihipStream_tbEUlT_E_NS1_11comp_targetILNS1_3genE0ELNS1_11target_archE4294967295ELNS1_3gpuE0ELNS1_3repE0EEENS1_30default_config_static_selectorELNS0_4arch9wavefront6targetE1EEEvT1_
		.amdhsa_group_segment_fixed_size 0
		.amdhsa_private_segment_fixed_size 0
		.amdhsa_kernarg_size 56
		.amdhsa_user_sgpr_count 6
		.amdhsa_user_sgpr_private_segment_buffer 1
		.amdhsa_user_sgpr_dispatch_ptr 0
		.amdhsa_user_sgpr_queue_ptr 0
		.amdhsa_user_sgpr_kernarg_segment_ptr 1
		.amdhsa_user_sgpr_dispatch_id 0
		.amdhsa_user_sgpr_flat_scratch_init 0
		.amdhsa_user_sgpr_kernarg_preload_length 0
		.amdhsa_user_sgpr_kernarg_preload_offset 0
		.amdhsa_user_sgpr_private_segment_size 0
		.amdhsa_uses_dynamic_stack 0
		.amdhsa_system_sgpr_private_segment_wavefront_offset 0
		.amdhsa_system_sgpr_workgroup_id_x 1
		.amdhsa_system_sgpr_workgroup_id_y 0
		.amdhsa_system_sgpr_workgroup_id_z 0
		.amdhsa_system_sgpr_workgroup_info 0
		.amdhsa_system_vgpr_workitem_id 0
		.amdhsa_next_free_vgpr 1
		.amdhsa_next_free_sgpr 0
		.amdhsa_accum_offset 4
		.amdhsa_reserve_vcc 0
		.amdhsa_reserve_flat_scratch 0
		.amdhsa_float_round_mode_32 0
		.amdhsa_float_round_mode_16_64 0
		.amdhsa_float_denorm_mode_32 3
		.amdhsa_float_denorm_mode_16_64 3
		.amdhsa_dx10_clamp 1
		.amdhsa_ieee_mode 1
		.amdhsa_fp16_overflow 0
		.amdhsa_tg_split 0
		.amdhsa_exception_fp_ieee_invalid_op 0
		.amdhsa_exception_fp_denorm_src 0
		.amdhsa_exception_fp_ieee_div_zero 0
		.amdhsa_exception_fp_ieee_overflow 0
		.amdhsa_exception_fp_ieee_underflow 0
		.amdhsa_exception_fp_ieee_inexact 0
		.amdhsa_exception_int_div_zero 0
	.end_amdhsa_kernel
	.section	.text._ZN7rocprim17ROCPRIM_400000_NS6detail17trampoline_kernelINS0_14default_configENS1_35adjacent_difference_config_selectorILb0EaEEZNS1_24adjacent_difference_implIS3_Lb0ELb0EPaS7_N6thrust23THRUST_200600_302600_NS4plusIaEEEE10hipError_tPvRmT2_T3_mT4_P12ihipStream_tbEUlT_E_NS1_11comp_targetILNS1_3genE0ELNS1_11target_archE4294967295ELNS1_3gpuE0ELNS1_3repE0EEENS1_30default_config_static_selectorELNS0_4arch9wavefront6targetE1EEEvT1_,"axG",@progbits,_ZN7rocprim17ROCPRIM_400000_NS6detail17trampoline_kernelINS0_14default_configENS1_35adjacent_difference_config_selectorILb0EaEEZNS1_24adjacent_difference_implIS3_Lb0ELb0EPaS7_N6thrust23THRUST_200600_302600_NS4plusIaEEEE10hipError_tPvRmT2_T3_mT4_P12ihipStream_tbEUlT_E_NS1_11comp_targetILNS1_3genE0ELNS1_11target_archE4294967295ELNS1_3gpuE0ELNS1_3repE0EEENS1_30default_config_static_selectorELNS0_4arch9wavefront6targetE1EEEvT1_,comdat
.Lfunc_end26:
	.size	_ZN7rocprim17ROCPRIM_400000_NS6detail17trampoline_kernelINS0_14default_configENS1_35adjacent_difference_config_selectorILb0EaEEZNS1_24adjacent_difference_implIS3_Lb0ELb0EPaS7_N6thrust23THRUST_200600_302600_NS4plusIaEEEE10hipError_tPvRmT2_T3_mT4_P12ihipStream_tbEUlT_E_NS1_11comp_targetILNS1_3genE0ELNS1_11target_archE4294967295ELNS1_3gpuE0ELNS1_3repE0EEENS1_30default_config_static_selectorELNS0_4arch9wavefront6targetE1EEEvT1_, .Lfunc_end26-_ZN7rocprim17ROCPRIM_400000_NS6detail17trampoline_kernelINS0_14default_configENS1_35adjacent_difference_config_selectorILb0EaEEZNS1_24adjacent_difference_implIS3_Lb0ELb0EPaS7_N6thrust23THRUST_200600_302600_NS4plusIaEEEE10hipError_tPvRmT2_T3_mT4_P12ihipStream_tbEUlT_E_NS1_11comp_targetILNS1_3genE0ELNS1_11target_archE4294967295ELNS1_3gpuE0ELNS1_3repE0EEENS1_30default_config_static_selectorELNS0_4arch9wavefront6targetE1EEEvT1_
                                        ; -- End function
	.section	.AMDGPU.csdata,"",@progbits
; Kernel info:
; codeLenInByte = 0
; NumSgprs: 4
; NumVgprs: 0
; NumAgprs: 0
; TotalNumVgprs: 0
; ScratchSize: 0
; MemoryBound: 0
; FloatMode: 240
; IeeeMode: 1
; LDSByteSize: 0 bytes/workgroup (compile time only)
; SGPRBlocks: 0
; VGPRBlocks: 0
; NumSGPRsForWavesPerEU: 4
; NumVGPRsForWavesPerEU: 1
; AccumOffset: 4
; Occupancy: 8
; WaveLimiterHint : 0
; COMPUTE_PGM_RSRC2:SCRATCH_EN: 0
; COMPUTE_PGM_RSRC2:USER_SGPR: 6
; COMPUTE_PGM_RSRC2:TRAP_HANDLER: 0
; COMPUTE_PGM_RSRC2:TGID_X_EN: 1
; COMPUTE_PGM_RSRC2:TGID_Y_EN: 0
; COMPUTE_PGM_RSRC2:TGID_Z_EN: 0
; COMPUTE_PGM_RSRC2:TIDIG_COMP_CNT: 0
; COMPUTE_PGM_RSRC3_GFX90A:ACCUM_OFFSET: 0
; COMPUTE_PGM_RSRC3_GFX90A:TG_SPLIT: 0
	.section	.text._ZN7rocprim17ROCPRIM_400000_NS6detail17trampoline_kernelINS0_14default_configENS1_35adjacent_difference_config_selectorILb0EaEEZNS1_24adjacent_difference_implIS3_Lb0ELb0EPaS7_N6thrust23THRUST_200600_302600_NS4plusIaEEEE10hipError_tPvRmT2_T3_mT4_P12ihipStream_tbEUlT_E_NS1_11comp_targetILNS1_3genE10ELNS1_11target_archE1201ELNS1_3gpuE5ELNS1_3repE0EEENS1_30default_config_static_selectorELNS0_4arch9wavefront6targetE1EEEvT1_,"axG",@progbits,_ZN7rocprim17ROCPRIM_400000_NS6detail17trampoline_kernelINS0_14default_configENS1_35adjacent_difference_config_selectorILb0EaEEZNS1_24adjacent_difference_implIS3_Lb0ELb0EPaS7_N6thrust23THRUST_200600_302600_NS4plusIaEEEE10hipError_tPvRmT2_T3_mT4_P12ihipStream_tbEUlT_E_NS1_11comp_targetILNS1_3genE10ELNS1_11target_archE1201ELNS1_3gpuE5ELNS1_3repE0EEENS1_30default_config_static_selectorELNS0_4arch9wavefront6targetE1EEEvT1_,comdat
	.protected	_ZN7rocprim17ROCPRIM_400000_NS6detail17trampoline_kernelINS0_14default_configENS1_35adjacent_difference_config_selectorILb0EaEEZNS1_24adjacent_difference_implIS3_Lb0ELb0EPaS7_N6thrust23THRUST_200600_302600_NS4plusIaEEEE10hipError_tPvRmT2_T3_mT4_P12ihipStream_tbEUlT_E_NS1_11comp_targetILNS1_3genE10ELNS1_11target_archE1201ELNS1_3gpuE5ELNS1_3repE0EEENS1_30default_config_static_selectorELNS0_4arch9wavefront6targetE1EEEvT1_ ; -- Begin function _ZN7rocprim17ROCPRIM_400000_NS6detail17trampoline_kernelINS0_14default_configENS1_35adjacent_difference_config_selectorILb0EaEEZNS1_24adjacent_difference_implIS3_Lb0ELb0EPaS7_N6thrust23THRUST_200600_302600_NS4plusIaEEEE10hipError_tPvRmT2_T3_mT4_P12ihipStream_tbEUlT_E_NS1_11comp_targetILNS1_3genE10ELNS1_11target_archE1201ELNS1_3gpuE5ELNS1_3repE0EEENS1_30default_config_static_selectorELNS0_4arch9wavefront6targetE1EEEvT1_
	.globl	_ZN7rocprim17ROCPRIM_400000_NS6detail17trampoline_kernelINS0_14default_configENS1_35adjacent_difference_config_selectorILb0EaEEZNS1_24adjacent_difference_implIS3_Lb0ELb0EPaS7_N6thrust23THRUST_200600_302600_NS4plusIaEEEE10hipError_tPvRmT2_T3_mT4_P12ihipStream_tbEUlT_E_NS1_11comp_targetILNS1_3genE10ELNS1_11target_archE1201ELNS1_3gpuE5ELNS1_3repE0EEENS1_30default_config_static_selectorELNS0_4arch9wavefront6targetE1EEEvT1_
	.p2align	8
	.type	_ZN7rocprim17ROCPRIM_400000_NS6detail17trampoline_kernelINS0_14default_configENS1_35adjacent_difference_config_selectorILb0EaEEZNS1_24adjacent_difference_implIS3_Lb0ELb0EPaS7_N6thrust23THRUST_200600_302600_NS4plusIaEEEE10hipError_tPvRmT2_T3_mT4_P12ihipStream_tbEUlT_E_NS1_11comp_targetILNS1_3genE10ELNS1_11target_archE1201ELNS1_3gpuE5ELNS1_3repE0EEENS1_30default_config_static_selectorELNS0_4arch9wavefront6targetE1EEEvT1_,@function
_ZN7rocprim17ROCPRIM_400000_NS6detail17trampoline_kernelINS0_14default_configENS1_35adjacent_difference_config_selectorILb0EaEEZNS1_24adjacent_difference_implIS3_Lb0ELb0EPaS7_N6thrust23THRUST_200600_302600_NS4plusIaEEEE10hipError_tPvRmT2_T3_mT4_P12ihipStream_tbEUlT_E_NS1_11comp_targetILNS1_3genE10ELNS1_11target_archE1201ELNS1_3gpuE5ELNS1_3repE0EEENS1_30default_config_static_selectorELNS0_4arch9wavefront6targetE1EEEvT1_: ; @_ZN7rocprim17ROCPRIM_400000_NS6detail17trampoline_kernelINS0_14default_configENS1_35adjacent_difference_config_selectorILb0EaEEZNS1_24adjacent_difference_implIS3_Lb0ELb0EPaS7_N6thrust23THRUST_200600_302600_NS4plusIaEEEE10hipError_tPvRmT2_T3_mT4_P12ihipStream_tbEUlT_E_NS1_11comp_targetILNS1_3genE10ELNS1_11target_archE1201ELNS1_3gpuE5ELNS1_3repE0EEENS1_30default_config_static_selectorELNS0_4arch9wavefront6targetE1EEEvT1_
; %bb.0:
	.section	.rodata,"a",@progbits
	.p2align	6, 0x0
	.amdhsa_kernel _ZN7rocprim17ROCPRIM_400000_NS6detail17trampoline_kernelINS0_14default_configENS1_35adjacent_difference_config_selectorILb0EaEEZNS1_24adjacent_difference_implIS3_Lb0ELb0EPaS7_N6thrust23THRUST_200600_302600_NS4plusIaEEEE10hipError_tPvRmT2_T3_mT4_P12ihipStream_tbEUlT_E_NS1_11comp_targetILNS1_3genE10ELNS1_11target_archE1201ELNS1_3gpuE5ELNS1_3repE0EEENS1_30default_config_static_selectorELNS0_4arch9wavefront6targetE1EEEvT1_
		.amdhsa_group_segment_fixed_size 0
		.amdhsa_private_segment_fixed_size 0
		.amdhsa_kernarg_size 56
		.amdhsa_user_sgpr_count 6
		.amdhsa_user_sgpr_private_segment_buffer 1
		.amdhsa_user_sgpr_dispatch_ptr 0
		.amdhsa_user_sgpr_queue_ptr 0
		.amdhsa_user_sgpr_kernarg_segment_ptr 1
		.amdhsa_user_sgpr_dispatch_id 0
		.amdhsa_user_sgpr_flat_scratch_init 0
		.amdhsa_user_sgpr_kernarg_preload_length 0
		.amdhsa_user_sgpr_kernarg_preload_offset 0
		.amdhsa_user_sgpr_private_segment_size 0
		.amdhsa_uses_dynamic_stack 0
		.amdhsa_system_sgpr_private_segment_wavefront_offset 0
		.amdhsa_system_sgpr_workgroup_id_x 1
		.amdhsa_system_sgpr_workgroup_id_y 0
		.amdhsa_system_sgpr_workgroup_id_z 0
		.amdhsa_system_sgpr_workgroup_info 0
		.amdhsa_system_vgpr_workitem_id 0
		.amdhsa_next_free_vgpr 1
		.amdhsa_next_free_sgpr 0
		.amdhsa_accum_offset 4
		.amdhsa_reserve_vcc 0
		.amdhsa_reserve_flat_scratch 0
		.amdhsa_float_round_mode_32 0
		.amdhsa_float_round_mode_16_64 0
		.amdhsa_float_denorm_mode_32 3
		.amdhsa_float_denorm_mode_16_64 3
		.amdhsa_dx10_clamp 1
		.amdhsa_ieee_mode 1
		.amdhsa_fp16_overflow 0
		.amdhsa_tg_split 0
		.amdhsa_exception_fp_ieee_invalid_op 0
		.amdhsa_exception_fp_denorm_src 0
		.amdhsa_exception_fp_ieee_div_zero 0
		.amdhsa_exception_fp_ieee_overflow 0
		.amdhsa_exception_fp_ieee_underflow 0
		.amdhsa_exception_fp_ieee_inexact 0
		.amdhsa_exception_int_div_zero 0
	.end_amdhsa_kernel
	.section	.text._ZN7rocprim17ROCPRIM_400000_NS6detail17trampoline_kernelINS0_14default_configENS1_35adjacent_difference_config_selectorILb0EaEEZNS1_24adjacent_difference_implIS3_Lb0ELb0EPaS7_N6thrust23THRUST_200600_302600_NS4plusIaEEEE10hipError_tPvRmT2_T3_mT4_P12ihipStream_tbEUlT_E_NS1_11comp_targetILNS1_3genE10ELNS1_11target_archE1201ELNS1_3gpuE5ELNS1_3repE0EEENS1_30default_config_static_selectorELNS0_4arch9wavefront6targetE1EEEvT1_,"axG",@progbits,_ZN7rocprim17ROCPRIM_400000_NS6detail17trampoline_kernelINS0_14default_configENS1_35adjacent_difference_config_selectorILb0EaEEZNS1_24adjacent_difference_implIS3_Lb0ELb0EPaS7_N6thrust23THRUST_200600_302600_NS4plusIaEEEE10hipError_tPvRmT2_T3_mT4_P12ihipStream_tbEUlT_E_NS1_11comp_targetILNS1_3genE10ELNS1_11target_archE1201ELNS1_3gpuE5ELNS1_3repE0EEENS1_30default_config_static_selectorELNS0_4arch9wavefront6targetE1EEEvT1_,comdat
.Lfunc_end27:
	.size	_ZN7rocprim17ROCPRIM_400000_NS6detail17trampoline_kernelINS0_14default_configENS1_35adjacent_difference_config_selectorILb0EaEEZNS1_24adjacent_difference_implIS3_Lb0ELb0EPaS7_N6thrust23THRUST_200600_302600_NS4plusIaEEEE10hipError_tPvRmT2_T3_mT4_P12ihipStream_tbEUlT_E_NS1_11comp_targetILNS1_3genE10ELNS1_11target_archE1201ELNS1_3gpuE5ELNS1_3repE0EEENS1_30default_config_static_selectorELNS0_4arch9wavefront6targetE1EEEvT1_, .Lfunc_end27-_ZN7rocprim17ROCPRIM_400000_NS6detail17trampoline_kernelINS0_14default_configENS1_35adjacent_difference_config_selectorILb0EaEEZNS1_24adjacent_difference_implIS3_Lb0ELb0EPaS7_N6thrust23THRUST_200600_302600_NS4plusIaEEEE10hipError_tPvRmT2_T3_mT4_P12ihipStream_tbEUlT_E_NS1_11comp_targetILNS1_3genE10ELNS1_11target_archE1201ELNS1_3gpuE5ELNS1_3repE0EEENS1_30default_config_static_selectorELNS0_4arch9wavefront6targetE1EEEvT1_
                                        ; -- End function
	.section	.AMDGPU.csdata,"",@progbits
; Kernel info:
; codeLenInByte = 0
; NumSgprs: 4
; NumVgprs: 0
; NumAgprs: 0
; TotalNumVgprs: 0
; ScratchSize: 0
; MemoryBound: 0
; FloatMode: 240
; IeeeMode: 1
; LDSByteSize: 0 bytes/workgroup (compile time only)
; SGPRBlocks: 0
; VGPRBlocks: 0
; NumSGPRsForWavesPerEU: 4
; NumVGPRsForWavesPerEU: 1
; AccumOffset: 4
; Occupancy: 8
; WaveLimiterHint : 0
; COMPUTE_PGM_RSRC2:SCRATCH_EN: 0
; COMPUTE_PGM_RSRC2:USER_SGPR: 6
; COMPUTE_PGM_RSRC2:TRAP_HANDLER: 0
; COMPUTE_PGM_RSRC2:TGID_X_EN: 1
; COMPUTE_PGM_RSRC2:TGID_Y_EN: 0
; COMPUTE_PGM_RSRC2:TGID_Z_EN: 0
; COMPUTE_PGM_RSRC2:TIDIG_COMP_CNT: 0
; COMPUTE_PGM_RSRC3_GFX90A:ACCUM_OFFSET: 0
; COMPUTE_PGM_RSRC3_GFX90A:TG_SPLIT: 0
	.section	.text._ZN7rocprim17ROCPRIM_400000_NS6detail17trampoline_kernelINS0_14default_configENS1_35adjacent_difference_config_selectorILb0EaEEZNS1_24adjacent_difference_implIS3_Lb0ELb0EPaS7_N6thrust23THRUST_200600_302600_NS4plusIaEEEE10hipError_tPvRmT2_T3_mT4_P12ihipStream_tbEUlT_E_NS1_11comp_targetILNS1_3genE5ELNS1_11target_archE942ELNS1_3gpuE9ELNS1_3repE0EEENS1_30default_config_static_selectorELNS0_4arch9wavefront6targetE1EEEvT1_,"axG",@progbits,_ZN7rocprim17ROCPRIM_400000_NS6detail17trampoline_kernelINS0_14default_configENS1_35adjacent_difference_config_selectorILb0EaEEZNS1_24adjacent_difference_implIS3_Lb0ELb0EPaS7_N6thrust23THRUST_200600_302600_NS4plusIaEEEE10hipError_tPvRmT2_T3_mT4_P12ihipStream_tbEUlT_E_NS1_11comp_targetILNS1_3genE5ELNS1_11target_archE942ELNS1_3gpuE9ELNS1_3repE0EEENS1_30default_config_static_selectorELNS0_4arch9wavefront6targetE1EEEvT1_,comdat
	.protected	_ZN7rocprim17ROCPRIM_400000_NS6detail17trampoline_kernelINS0_14default_configENS1_35adjacent_difference_config_selectorILb0EaEEZNS1_24adjacent_difference_implIS3_Lb0ELb0EPaS7_N6thrust23THRUST_200600_302600_NS4plusIaEEEE10hipError_tPvRmT2_T3_mT4_P12ihipStream_tbEUlT_E_NS1_11comp_targetILNS1_3genE5ELNS1_11target_archE942ELNS1_3gpuE9ELNS1_3repE0EEENS1_30default_config_static_selectorELNS0_4arch9wavefront6targetE1EEEvT1_ ; -- Begin function _ZN7rocprim17ROCPRIM_400000_NS6detail17trampoline_kernelINS0_14default_configENS1_35adjacent_difference_config_selectorILb0EaEEZNS1_24adjacent_difference_implIS3_Lb0ELb0EPaS7_N6thrust23THRUST_200600_302600_NS4plusIaEEEE10hipError_tPvRmT2_T3_mT4_P12ihipStream_tbEUlT_E_NS1_11comp_targetILNS1_3genE5ELNS1_11target_archE942ELNS1_3gpuE9ELNS1_3repE0EEENS1_30default_config_static_selectorELNS0_4arch9wavefront6targetE1EEEvT1_
	.globl	_ZN7rocprim17ROCPRIM_400000_NS6detail17trampoline_kernelINS0_14default_configENS1_35adjacent_difference_config_selectorILb0EaEEZNS1_24adjacent_difference_implIS3_Lb0ELb0EPaS7_N6thrust23THRUST_200600_302600_NS4plusIaEEEE10hipError_tPvRmT2_T3_mT4_P12ihipStream_tbEUlT_E_NS1_11comp_targetILNS1_3genE5ELNS1_11target_archE942ELNS1_3gpuE9ELNS1_3repE0EEENS1_30default_config_static_selectorELNS0_4arch9wavefront6targetE1EEEvT1_
	.p2align	8
	.type	_ZN7rocprim17ROCPRIM_400000_NS6detail17trampoline_kernelINS0_14default_configENS1_35adjacent_difference_config_selectorILb0EaEEZNS1_24adjacent_difference_implIS3_Lb0ELb0EPaS7_N6thrust23THRUST_200600_302600_NS4plusIaEEEE10hipError_tPvRmT2_T3_mT4_P12ihipStream_tbEUlT_E_NS1_11comp_targetILNS1_3genE5ELNS1_11target_archE942ELNS1_3gpuE9ELNS1_3repE0EEENS1_30default_config_static_selectorELNS0_4arch9wavefront6targetE1EEEvT1_,@function
_ZN7rocprim17ROCPRIM_400000_NS6detail17trampoline_kernelINS0_14default_configENS1_35adjacent_difference_config_selectorILb0EaEEZNS1_24adjacent_difference_implIS3_Lb0ELb0EPaS7_N6thrust23THRUST_200600_302600_NS4plusIaEEEE10hipError_tPvRmT2_T3_mT4_P12ihipStream_tbEUlT_E_NS1_11comp_targetILNS1_3genE5ELNS1_11target_archE942ELNS1_3gpuE9ELNS1_3repE0EEENS1_30default_config_static_selectorELNS0_4arch9wavefront6targetE1EEEvT1_: ; @_ZN7rocprim17ROCPRIM_400000_NS6detail17trampoline_kernelINS0_14default_configENS1_35adjacent_difference_config_selectorILb0EaEEZNS1_24adjacent_difference_implIS3_Lb0ELb0EPaS7_N6thrust23THRUST_200600_302600_NS4plusIaEEEE10hipError_tPvRmT2_T3_mT4_P12ihipStream_tbEUlT_E_NS1_11comp_targetILNS1_3genE5ELNS1_11target_archE942ELNS1_3gpuE9ELNS1_3repE0EEENS1_30default_config_static_selectorELNS0_4arch9wavefront6targetE1EEEvT1_
; %bb.0:
	.section	.rodata,"a",@progbits
	.p2align	6, 0x0
	.amdhsa_kernel _ZN7rocprim17ROCPRIM_400000_NS6detail17trampoline_kernelINS0_14default_configENS1_35adjacent_difference_config_selectorILb0EaEEZNS1_24adjacent_difference_implIS3_Lb0ELb0EPaS7_N6thrust23THRUST_200600_302600_NS4plusIaEEEE10hipError_tPvRmT2_T3_mT4_P12ihipStream_tbEUlT_E_NS1_11comp_targetILNS1_3genE5ELNS1_11target_archE942ELNS1_3gpuE9ELNS1_3repE0EEENS1_30default_config_static_selectorELNS0_4arch9wavefront6targetE1EEEvT1_
		.amdhsa_group_segment_fixed_size 0
		.amdhsa_private_segment_fixed_size 0
		.amdhsa_kernarg_size 56
		.amdhsa_user_sgpr_count 6
		.amdhsa_user_sgpr_private_segment_buffer 1
		.amdhsa_user_sgpr_dispatch_ptr 0
		.amdhsa_user_sgpr_queue_ptr 0
		.amdhsa_user_sgpr_kernarg_segment_ptr 1
		.amdhsa_user_sgpr_dispatch_id 0
		.amdhsa_user_sgpr_flat_scratch_init 0
		.amdhsa_user_sgpr_kernarg_preload_length 0
		.amdhsa_user_sgpr_kernarg_preload_offset 0
		.amdhsa_user_sgpr_private_segment_size 0
		.amdhsa_uses_dynamic_stack 0
		.amdhsa_system_sgpr_private_segment_wavefront_offset 0
		.amdhsa_system_sgpr_workgroup_id_x 1
		.amdhsa_system_sgpr_workgroup_id_y 0
		.amdhsa_system_sgpr_workgroup_id_z 0
		.amdhsa_system_sgpr_workgroup_info 0
		.amdhsa_system_vgpr_workitem_id 0
		.amdhsa_next_free_vgpr 1
		.amdhsa_next_free_sgpr 0
		.amdhsa_accum_offset 4
		.amdhsa_reserve_vcc 0
		.amdhsa_reserve_flat_scratch 0
		.amdhsa_float_round_mode_32 0
		.amdhsa_float_round_mode_16_64 0
		.amdhsa_float_denorm_mode_32 3
		.amdhsa_float_denorm_mode_16_64 3
		.amdhsa_dx10_clamp 1
		.amdhsa_ieee_mode 1
		.amdhsa_fp16_overflow 0
		.amdhsa_tg_split 0
		.amdhsa_exception_fp_ieee_invalid_op 0
		.amdhsa_exception_fp_denorm_src 0
		.amdhsa_exception_fp_ieee_div_zero 0
		.amdhsa_exception_fp_ieee_overflow 0
		.amdhsa_exception_fp_ieee_underflow 0
		.amdhsa_exception_fp_ieee_inexact 0
		.amdhsa_exception_int_div_zero 0
	.end_amdhsa_kernel
	.section	.text._ZN7rocprim17ROCPRIM_400000_NS6detail17trampoline_kernelINS0_14default_configENS1_35adjacent_difference_config_selectorILb0EaEEZNS1_24adjacent_difference_implIS3_Lb0ELb0EPaS7_N6thrust23THRUST_200600_302600_NS4plusIaEEEE10hipError_tPvRmT2_T3_mT4_P12ihipStream_tbEUlT_E_NS1_11comp_targetILNS1_3genE5ELNS1_11target_archE942ELNS1_3gpuE9ELNS1_3repE0EEENS1_30default_config_static_selectorELNS0_4arch9wavefront6targetE1EEEvT1_,"axG",@progbits,_ZN7rocprim17ROCPRIM_400000_NS6detail17trampoline_kernelINS0_14default_configENS1_35adjacent_difference_config_selectorILb0EaEEZNS1_24adjacent_difference_implIS3_Lb0ELb0EPaS7_N6thrust23THRUST_200600_302600_NS4plusIaEEEE10hipError_tPvRmT2_T3_mT4_P12ihipStream_tbEUlT_E_NS1_11comp_targetILNS1_3genE5ELNS1_11target_archE942ELNS1_3gpuE9ELNS1_3repE0EEENS1_30default_config_static_selectorELNS0_4arch9wavefront6targetE1EEEvT1_,comdat
.Lfunc_end28:
	.size	_ZN7rocprim17ROCPRIM_400000_NS6detail17trampoline_kernelINS0_14default_configENS1_35adjacent_difference_config_selectorILb0EaEEZNS1_24adjacent_difference_implIS3_Lb0ELb0EPaS7_N6thrust23THRUST_200600_302600_NS4plusIaEEEE10hipError_tPvRmT2_T3_mT4_P12ihipStream_tbEUlT_E_NS1_11comp_targetILNS1_3genE5ELNS1_11target_archE942ELNS1_3gpuE9ELNS1_3repE0EEENS1_30default_config_static_selectorELNS0_4arch9wavefront6targetE1EEEvT1_, .Lfunc_end28-_ZN7rocprim17ROCPRIM_400000_NS6detail17trampoline_kernelINS0_14default_configENS1_35adjacent_difference_config_selectorILb0EaEEZNS1_24adjacent_difference_implIS3_Lb0ELb0EPaS7_N6thrust23THRUST_200600_302600_NS4plusIaEEEE10hipError_tPvRmT2_T3_mT4_P12ihipStream_tbEUlT_E_NS1_11comp_targetILNS1_3genE5ELNS1_11target_archE942ELNS1_3gpuE9ELNS1_3repE0EEENS1_30default_config_static_selectorELNS0_4arch9wavefront6targetE1EEEvT1_
                                        ; -- End function
	.section	.AMDGPU.csdata,"",@progbits
; Kernel info:
; codeLenInByte = 0
; NumSgprs: 4
; NumVgprs: 0
; NumAgprs: 0
; TotalNumVgprs: 0
; ScratchSize: 0
; MemoryBound: 0
; FloatMode: 240
; IeeeMode: 1
; LDSByteSize: 0 bytes/workgroup (compile time only)
; SGPRBlocks: 0
; VGPRBlocks: 0
; NumSGPRsForWavesPerEU: 4
; NumVGPRsForWavesPerEU: 1
; AccumOffset: 4
; Occupancy: 8
; WaveLimiterHint : 0
; COMPUTE_PGM_RSRC2:SCRATCH_EN: 0
; COMPUTE_PGM_RSRC2:USER_SGPR: 6
; COMPUTE_PGM_RSRC2:TRAP_HANDLER: 0
; COMPUTE_PGM_RSRC2:TGID_X_EN: 1
; COMPUTE_PGM_RSRC2:TGID_Y_EN: 0
; COMPUTE_PGM_RSRC2:TGID_Z_EN: 0
; COMPUTE_PGM_RSRC2:TIDIG_COMP_CNT: 0
; COMPUTE_PGM_RSRC3_GFX90A:ACCUM_OFFSET: 0
; COMPUTE_PGM_RSRC3_GFX90A:TG_SPLIT: 0
	.section	.text._ZN7rocprim17ROCPRIM_400000_NS6detail17trampoline_kernelINS0_14default_configENS1_35adjacent_difference_config_selectorILb0EaEEZNS1_24adjacent_difference_implIS3_Lb0ELb0EPaS7_N6thrust23THRUST_200600_302600_NS4plusIaEEEE10hipError_tPvRmT2_T3_mT4_P12ihipStream_tbEUlT_E_NS1_11comp_targetILNS1_3genE4ELNS1_11target_archE910ELNS1_3gpuE8ELNS1_3repE0EEENS1_30default_config_static_selectorELNS0_4arch9wavefront6targetE1EEEvT1_,"axG",@progbits,_ZN7rocprim17ROCPRIM_400000_NS6detail17trampoline_kernelINS0_14default_configENS1_35adjacent_difference_config_selectorILb0EaEEZNS1_24adjacent_difference_implIS3_Lb0ELb0EPaS7_N6thrust23THRUST_200600_302600_NS4plusIaEEEE10hipError_tPvRmT2_T3_mT4_P12ihipStream_tbEUlT_E_NS1_11comp_targetILNS1_3genE4ELNS1_11target_archE910ELNS1_3gpuE8ELNS1_3repE0EEENS1_30default_config_static_selectorELNS0_4arch9wavefront6targetE1EEEvT1_,comdat
	.protected	_ZN7rocprim17ROCPRIM_400000_NS6detail17trampoline_kernelINS0_14default_configENS1_35adjacent_difference_config_selectorILb0EaEEZNS1_24adjacent_difference_implIS3_Lb0ELb0EPaS7_N6thrust23THRUST_200600_302600_NS4plusIaEEEE10hipError_tPvRmT2_T3_mT4_P12ihipStream_tbEUlT_E_NS1_11comp_targetILNS1_3genE4ELNS1_11target_archE910ELNS1_3gpuE8ELNS1_3repE0EEENS1_30default_config_static_selectorELNS0_4arch9wavefront6targetE1EEEvT1_ ; -- Begin function _ZN7rocprim17ROCPRIM_400000_NS6detail17trampoline_kernelINS0_14default_configENS1_35adjacent_difference_config_selectorILb0EaEEZNS1_24adjacent_difference_implIS3_Lb0ELb0EPaS7_N6thrust23THRUST_200600_302600_NS4plusIaEEEE10hipError_tPvRmT2_T3_mT4_P12ihipStream_tbEUlT_E_NS1_11comp_targetILNS1_3genE4ELNS1_11target_archE910ELNS1_3gpuE8ELNS1_3repE0EEENS1_30default_config_static_selectorELNS0_4arch9wavefront6targetE1EEEvT1_
	.globl	_ZN7rocprim17ROCPRIM_400000_NS6detail17trampoline_kernelINS0_14default_configENS1_35adjacent_difference_config_selectorILb0EaEEZNS1_24adjacent_difference_implIS3_Lb0ELb0EPaS7_N6thrust23THRUST_200600_302600_NS4plusIaEEEE10hipError_tPvRmT2_T3_mT4_P12ihipStream_tbEUlT_E_NS1_11comp_targetILNS1_3genE4ELNS1_11target_archE910ELNS1_3gpuE8ELNS1_3repE0EEENS1_30default_config_static_selectorELNS0_4arch9wavefront6targetE1EEEvT1_
	.p2align	8
	.type	_ZN7rocprim17ROCPRIM_400000_NS6detail17trampoline_kernelINS0_14default_configENS1_35adjacent_difference_config_selectorILb0EaEEZNS1_24adjacent_difference_implIS3_Lb0ELb0EPaS7_N6thrust23THRUST_200600_302600_NS4plusIaEEEE10hipError_tPvRmT2_T3_mT4_P12ihipStream_tbEUlT_E_NS1_11comp_targetILNS1_3genE4ELNS1_11target_archE910ELNS1_3gpuE8ELNS1_3repE0EEENS1_30default_config_static_selectorELNS0_4arch9wavefront6targetE1EEEvT1_,@function
_ZN7rocprim17ROCPRIM_400000_NS6detail17trampoline_kernelINS0_14default_configENS1_35adjacent_difference_config_selectorILb0EaEEZNS1_24adjacent_difference_implIS3_Lb0ELb0EPaS7_N6thrust23THRUST_200600_302600_NS4plusIaEEEE10hipError_tPvRmT2_T3_mT4_P12ihipStream_tbEUlT_E_NS1_11comp_targetILNS1_3genE4ELNS1_11target_archE910ELNS1_3gpuE8ELNS1_3repE0EEENS1_30default_config_static_selectorELNS0_4arch9wavefront6targetE1EEEvT1_: ; @_ZN7rocprim17ROCPRIM_400000_NS6detail17trampoline_kernelINS0_14default_configENS1_35adjacent_difference_config_selectorILb0EaEEZNS1_24adjacent_difference_implIS3_Lb0ELb0EPaS7_N6thrust23THRUST_200600_302600_NS4plusIaEEEE10hipError_tPvRmT2_T3_mT4_P12ihipStream_tbEUlT_E_NS1_11comp_targetILNS1_3genE4ELNS1_11target_archE910ELNS1_3gpuE8ELNS1_3repE0EEENS1_30default_config_static_selectorELNS0_4arch9wavefront6targetE1EEEvT1_
; %bb.0:
	s_load_dwordx8 s[40:47], s[4:5], 0x0
	s_mov_b32 s2, 0xb9435940
	s_load_dwordx2 s[0:1], s[4:5], 0x30
	s_movk_i32 s7, 0x4c0
	s_mul_i32 s33, s6, 0x4c0
	s_waitcnt lgkmcnt(0)
	s_add_u32 s8, s40, s42
	s_addc_u32 s9, s41, s43
	s_add_u32 s2, 0x294, s2
	s_addc_u32 s4, 0, 0
	v_add_co_u32_e64 v1, s[2:3], s2, -2.0
	s_cmp_lg_u64 s[2:3], 0
	s_addc_u32 s2, s4, 0x35e50c
	v_readfirstlane_b32 s4, v1
	s_mul_hi_u32 s5, s4, 0xfffffb40
	s_mul_i32 s3, s2, 0xfffffb40
	s_sub_i32 s5, s5, s4
	s_add_i32 s5, s5, s3
	s_mul_i32 s11, s4, 0xfffffb40
	s_mul_hi_u32 s3, s4, s5
	s_mul_i32 s10, s4, s5
	s_mul_hi_u32 s4, s4, s11
	s_add_u32 s4, s4, s10
	s_addc_u32 s3, 0, s3
	s_mul_hi_u32 s12, s2, s11
	s_mul_i32 s11, s2, s11
	s_add_u32 s4, s4, s11
	s_mul_hi_u32 s10, s2, s5
	s_addc_u32 s3, s3, s12
	s_addc_u32 s4, s10, 0
	s_mul_i32 s5, s2, s5
	s_add_u32 s3, s3, s5
	s_addc_u32 s4, 0, s4
	v_add_co_u32_e32 v1, vcc, s3, v1
	s_cmp_lg_u64 vcc, 0
	s_addc_u32 s2, s2, s4
	v_readfirstlane_b32 s5, v1
	s_mul_i32 s4, s46, s2
	s_mul_hi_u32 s10, s46, s5
	s_mul_hi_u32 s3, s46, s2
	s_add_u32 s4, s10, s4
	s_addc_u32 s3, 0, s3
	s_mul_hi_u32 s11, s47, s5
	s_mul_i32 s5, s47, s5
	s_add_u32 s4, s4, s5
	s_mul_hi_u32 s10, s47, s2
	s_addc_u32 s3, s3, s11
	s_addc_u32 s4, s10, 0
	s_mul_i32 s2, s47, s2
	s_add_u32 s2, s3, s2
	s_addc_u32 s3, 0, s4
	s_add_u32 s4, s2, 1
	s_addc_u32 s5, s3, 0
	s_add_u32 s10, s2, 2
	s_mul_i32 s12, s3, 0x4c0
	s_mul_hi_u32 s13, s2, 0x4c0
	s_addc_u32 s11, s3, 0
	s_add_i32 s13, s13, s12
	s_mul_i32 s12, s2, 0x4c0
	v_mov_b32_e32 v1, s12
	v_sub_co_u32_e32 v1, vcc, s46, v1
	s_cmp_lg_u64 vcc, 0
	s_subb_u32 s12, s47, s13
	v_subrev_co_u32_e32 v2, vcc, s7, v1
	s_cmp_lg_u64 vcc, 0
	s_subb_u32 s7, s12, 0
	v_readfirstlane_b32 s13, v2
	s_cmpk_gt_u32 s13, 0x4bf
	s_cselect_b32 s13, -1, 0
	s_cmp_eq_u32 s7, 0
	s_cselect_b32 s7, s13, -1
	s_cmp_lg_u32 s7, 0
	v_readfirstlane_b32 s7, v1
	s_cselect_b32 s4, s10, s4
	s_cselect_b32 s5, s11, s5
	s_cmpk_gt_u32 s7, 0x4bf
	s_cselect_b32 s7, -1, 0
	s_cmp_eq_u32 s12, 0
	s_cselect_b32 s7, s7, -1
	s_cmp_lg_u32 s7, 0
	s_cselect_b32 s5, s5, s3
	s_cselect_b32 s4, s4, s2
	s_mul_i32 s2, s5, 0x4c0
	s_mul_hi_u32 s3, s4, 0x4c0
	s_add_i32 s3, s3, s2
	s_mul_i32 s2, s4, 0x4c0
	s_sub_u32 s2, s46, s2
	s_subb_u32 s3, s47, s3
	s_cmp_lg_u64 s[2:3], 0
	s_cselect_b64 s[2:3], -1, 0
	v_cndmask_b32_e64 v1, 0, 1, s[2:3]
	v_readfirstlane_b32 s2, v1
	s_add_u32 s2, s4, s2
	s_addc_u32 s3, s5, 0
	s_add_u32 s4, s0, s6
	s_addc_u32 s5, s1, 0
	s_add_u32 s6, s2, -1
	s_addc_u32 s7, s3, -1
	v_pk_mov_b32 v[2:3], s[6:7], s[6:7] op_sel:[0,1]
	v_cmp_ge_u64_e64 s[0:1], s[4:5], v[2:3]
	s_mov_b64 s[10:11], -1
	s_and_b64 vcc, exec, s[0:1]
	s_mul_i32 s47, s6, 0xfffffb40
	s_cbranch_vccz .LBB29_40
; %bb.1:
	s_add_i32 s14, s47, s46
	s_add_u32 s10, s8, s33
	s_addc_u32 s11, s9, 0
	v_cmp_gt_u32_e32 vcc, s14, v0
                                        ; implicit-def: $vgpr1
	s_and_saveexec_b64 s[12:13], vcc
	s_cbranch_execz .LBB29_3
; %bb.2:
	global_load_ubyte v1, v0, s[10:11]
.LBB29_3:
	s_or_b64 exec, exec, s[12:13]
	v_or_b32_e32 v2, 64, v0
	v_cmp_gt_u32_e32 vcc, s14, v2
                                        ; implicit-def: $vgpr2
	s_and_saveexec_b64 s[12:13], vcc
	s_cbranch_execz .LBB29_5
; %bb.4:
	global_load_ubyte v2, v0, s[10:11] offset:64
.LBB29_5:
	s_or_b64 exec, exec, s[12:13]
	v_or_b32_e32 v3, 0x80, v0
	v_cmp_gt_u32_e32 vcc, s14, v3
                                        ; implicit-def: $vgpr3
	s_and_saveexec_b64 s[12:13], vcc
	s_cbranch_execz .LBB29_7
; %bb.6:
	global_load_ubyte v3, v0, s[10:11] offset:128
.LBB29_7:
	s_or_b64 exec, exec, s[12:13]
	v_or_b32_e32 v4, 0xc0, v0
	v_cmp_gt_u32_e32 vcc, s14, v4
                                        ; implicit-def: $vgpr4
	s_and_saveexec_b64 s[12:13], vcc
	s_cbranch_execz .LBB29_9
; %bb.8:
	global_load_ubyte v4, v0, s[10:11] offset:192
.LBB29_9:
	s_or_b64 exec, exec, s[12:13]
	v_or_b32_e32 v5, 0x100, v0
	v_cmp_gt_u32_e32 vcc, s14, v5
                                        ; implicit-def: $vgpr5
	s_and_saveexec_b64 s[12:13], vcc
	s_cbranch_execz .LBB29_11
; %bb.10:
	global_load_ubyte v5, v0, s[10:11] offset:256
.LBB29_11:
	s_or_b64 exec, exec, s[12:13]
	v_or_b32_e32 v6, 0x140, v0
	v_cmp_gt_u32_e32 vcc, s14, v6
                                        ; implicit-def: $vgpr6
	s_and_saveexec_b64 s[12:13], vcc
	s_cbranch_execz .LBB29_13
; %bb.12:
	global_load_ubyte v6, v0, s[10:11] offset:320
.LBB29_13:
	s_or_b64 exec, exec, s[12:13]
	v_or_b32_e32 v7, 0x180, v0
	v_cmp_gt_u32_e32 vcc, s14, v7
                                        ; implicit-def: $vgpr7
	s_and_saveexec_b64 s[12:13], vcc
	s_cbranch_execz .LBB29_15
; %bb.14:
	global_load_ubyte v7, v0, s[10:11] offset:384
.LBB29_15:
	s_or_b64 exec, exec, s[12:13]
	v_or_b32_e32 v8, 0x1c0, v0
	v_cmp_gt_u32_e32 vcc, s14, v8
                                        ; implicit-def: $vgpr8
	s_and_saveexec_b64 s[12:13], vcc
	s_cbranch_execz .LBB29_17
; %bb.16:
	global_load_ubyte v8, v0, s[10:11] offset:448
.LBB29_17:
	s_or_b64 exec, exec, s[12:13]
	v_or_b32_e32 v9, 0x200, v0
	v_cmp_gt_u32_e32 vcc, s14, v9
                                        ; implicit-def: $vgpr9
	s_and_saveexec_b64 s[12:13], vcc
	s_cbranch_execz .LBB29_19
; %bb.18:
	global_load_ubyte v9, v0, s[10:11] offset:512
.LBB29_19:
	s_or_b64 exec, exec, s[12:13]
	v_or_b32_e32 v10, 0x240, v0
	v_cmp_gt_u32_e32 vcc, s14, v10
                                        ; implicit-def: $vgpr10
	s_and_saveexec_b64 s[12:13], vcc
	s_cbranch_execz .LBB29_21
; %bb.20:
	global_load_ubyte v10, v0, s[10:11] offset:576
.LBB29_21:
	s_or_b64 exec, exec, s[12:13]
	v_or_b32_e32 v11, 0x280, v0
	v_cmp_gt_u32_e32 vcc, s14, v11
                                        ; implicit-def: $vgpr11
	s_and_saveexec_b64 s[12:13], vcc
	s_cbranch_execz .LBB29_23
; %bb.22:
	global_load_ubyte v11, v0, s[10:11] offset:640
.LBB29_23:
	s_or_b64 exec, exec, s[12:13]
	v_or_b32_e32 v12, 0x2c0, v0
	v_cmp_gt_u32_e32 vcc, s14, v12
                                        ; implicit-def: $vgpr12
	s_and_saveexec_b64 s[12:13], vcc
	s_cbranch_execz .LBB29_25
; %bb.24:
	global_load_ubyte v12, v0, s[10:11] offset:704
.LBB29_25:
	s_or_b64 exec, exec, s[12:13]
	v_or_b32_e32 v13, 0x300, v0
	v_cmp_gt_u32_e32 vcc, s14, v13
                                        ; implicit-def: $vgpr13
	s_and_saveexec_b64 s[12:13], vcc
	s_cbranch_execz .LBB29_27
; %bb.26:
	global_load_ubyte v13, v0, s[10:11] offset:768
.LBB29_27:
	s_or_b64 exec, exec, s[12:13]
	v_or_b32_e32 v14, 0x340, v0
	v_cmp_gt_u32_e32 vcc, s14, v14
                                        ; implicit-def: $vgpr14
	s_and_saveexec_b64 s[12:13], vcc
	s_cbranch_execz .LBB29_29
; %bb.28:
	global_load_ubyte v14, v0, s[10:11] offset:832
.LBB29_29:
	s_or_b64 exec, exec, s[12:13]
	v_or_b32_e32 v15, 0x380, v0
	v_cmp_gt_u32_e32 vcc, s14, v15
                                        ; implicit-def: $vgpr15
	s_and_saveexec_b64 s[12:13], vcc
	s_cbranch_execz .LBB29_31
; %bb.30:
	global_load_ubyte v15, v0, s[10:11] offset:896
.LBB29_31:
	s_or_b64 exec, exec, s[12:13]
	v_or_b32_e32 v16, 0x3c0, v0
	v_cmp_gt_u32_e32 vcc, s14, v16
                                        ; implicit-def: $vgpr16
	s_and_saveexec_b64 s[12:13], vcc
	s_cbranch_execz .LBB29_33
; %bb.32:
	global_load_ubyte v16, v0, s[10:11] offset:960
.LBB29_33:
	s_or_b64 exec, exec, s[12:13]
	v_or_b32_e32 v17, 0x400, v0
	v_cmp_gt_u32_e32 vcc, s14, v17
                                        ; implicit-def: $vgpr17
	s_and_saveexec_b64 s[12:13], vcc
	s_cbranch_execz .LBB29_35
; %bb.34:
	global_load_ubyte v17, v0, s[10:11] offset:1024
.LBB29_35:
	s_or_b64 exec, exec, s[12:13]
	v_or_b32_e32 v18, 0x440, v0
	v_cmp_gt_u32_e32 vcc, s14, v18
                                        ; implicit-def: $vgpr18
	s_and_saveexec_b64 s[12:13], vcc
	s_cbranch_execz .LBB29_37
; %bb.36:
	global_load_ubyte v18, v0, s[10:11] offset:1088
.LBB29_37:
	s_or_b64 exec, exec, s[12:13]
	v_or_b32_e32 v19, 0x480, v0
	v_cmp_gt_u32_e32 vcc, s14, v19
                                        ; implicit-def: $vgpr19
	s_and_saveexec_b64 s[12:13], vcc
	s_cbranch_execz .LBB29_39
; %bb.38:
	global_load_ubyte v19, v0, s[10:11] offset:1152
.LBB29_39:
	s_or_b64 exec, exec, s[12:13]
	s_mov_b64 s[10:11], 0
	s_waitcnt vmcnt(0)
	ds_write_b8 v0, v1
	ds_write_b8 v0, v2 offset:64
	ds_write_b8 v0, v3 offset:128
	;; [unrolled: 1-line block ×18, first 2 shown]
	s_waitcnt lgkmcnt(0)
	; wave barrier
.LBB29_40:
	s_and_b64 vcc, exec, s[10:11]
	s_cbranch_vccz .LBB29_42
; %bb.41:
	s_add_u32 s10, s8, s33
	s_addc_u32 s11, s9, 0
	global_load_ubyte v1, v0, s[10:11]
	global_load_ubyte v2, v0, s[10:11] offset:64
	global_load_ubyte v3, v0, s[10:11] offset:128
	;; [unrolled: 1-line block ×18, first 2 shown]
	s_waitcnt vmcnt(18)
	ds_write_b8 v0, v1
	s_waitcnt vmcnt(17)
	ds_write_b8 v0, v2 offset:64
	s_waitcnt vmcnt(16)
	ds_write_b8 v0, v3 offset:128
	s_waitcnt vmcnt(15)
	ds_write_b8 v0, v4 offset:192
	s_waitcnt vmcnt(14)
	ds_write_b8 v0, v5 offset:256
	s_waitcnt vmcnt(13)
	ds_write_b8 v0, v6 offset:320
	s_waitcnt vmcnt(12)
	ds_write_b8 v0, v7 offset:384
	s_waitcnt vmcnt(11)
	ds_write_b8 v0, v8 offset:448
	s_waitcnt vmcnt(10)
	ds_write_b8 v0, v9 offset:512
	s_waitcnt vmcnt(9)
	ds_write_b8 v0, v10 offset:576
	s_waitcnt vmcnt(8)
	ds_write_b8 v0, v11 offset:640
	s_waitcnt vmcnt(7)
	ds_write_b8 v0, v12 offset:704
	s_waitcnt vmcnt(6)
	ds_write_b8 v0, v13 offset:768
	s_waitcnt vmcnt(5)
	ds_write_b8 v0, v14 offset:832
	s_waitcnt vmcnt(4)
	ds_write_b8 v0, v15 offset:896
	s_waitcnt vmcnt(3)
	ds_write_b8 v0, v16 offset:960
	s_waitcnt vmcnt(2)
	ds_write_b8 v0, v17 offset:1024
	s_waitcnt vmcnt(1)
	ds_write_b8 v0, v18 offset:1088
	s_waitcnt vmcnt(0)
	ds_write_b8 v0, v19 offset:1152
	s_waitcnt lgkmcnt(0)
	; wave barrier
.LBB29_42:
	v_mul_u32_u24_e32 v1, 19, v0
	s_waitcnt lgkmcnt(0)
	ds_read_b128 v[2:5], v1
	ds_read_u8 v6, v1 offset:16
	ds_read_u8 v7, v1 offset:17
	;; [unrolled: 1-line block ×3, first 2 shown]
	s_cmp_eq_u64 s[4:5], 0
	s_waitcnt lgkmcnt(3)
	v_lshrrev_b32_e32 v9, 8, v2
	v_lshrrev_b32_e32 v10, 16, v2
	;; [unrolled: 1-line block ×12, first 2 shown]
	s_waitcnt lgkmcnt(0)
	; wave barrier
	s_waitcnt lgkmcnt(0)
	s_cbranch_scc1 .LBB29_47
; %bb.43:
	v_mov_b32_e32 v1, s33
	global_load_ubyte v38, v1, s[8:9] offset:-1
	s_cmp_eq_u64 s[4:5], s[6:7]
	s_cbranch_scc1 .LBB29_48
; %bb.44:
	v_cmp_ne_u32_e32 vcc, 0, v0
	s_waitcnt vmcnt(0)
	v_mov_b32_e32 v1, v38
	ds_write_b8 v0, v8
	s_waitcnt lgkmcnt(0)
	; wave barrier
	s_waitcnt lgkmcnt(0)
	s_and_saveexec_b64 s[6:7], vcc
	s_cbranch_execz .LBB29_46
; %bb.45:
	v_add_u32_e32 v1, -1, v0
	ds_read_u8 v1, v1
.LBB29_46:
	s_or_b64 exec, exec, s[6:7]
	s_waitcnt lgkmcnt(0)
	v_add_u16_e32 v1, v1, v2
	s_mov_b64 s[6:7], 0
	s_branch .LBB29_49
.LBB29_47:
                                        ; implicit-def: $vgpr1
                                        ; implicit-def: $vgpr39
                                        ; implicit-def: $vgpr37
                                        ; implicit-def: $vgpr36
                                        ; implicit-def: $vgpr35
                                        ; implicit-def: $vgpr34
                                        ; implicit-def: $vgpr33
                                        ; implicit-def: $vgpr32
                                        ; implicit-def: $vgpr31
                                        ; implicit-def: $vgpr30
                                        ; implicit-def: $vgpr28
                                        ; implicit-def: $vgpr27
                                        ; implicit-def: $vgpr26
                                        ; implicit-def: $vgpr25
                                        ; implicit-def: $vgpr24
                                        ; implicit-def: $vgpr23
                                        ; implicit-def: $vgpr22
                                        ; implicit-def: $vgpr21
                                        ; implicit-def: $vgpr29
	s_branch .LBB29_54
.LBB29_48:
	s_mov_b64 s[6:7], -1
                                        ; implicit-def: $vgpr1
.LBB29_49:
	s_and_b64 vcc, exec, s[6:7]
	v_mov_b32_e32 v39, v2
	v_mov_b32_e32 v37, v9
	;; [unrolled: 1-line block ×18, first 2 shown]
	s_cbranch_vccz .LBB29_53
; %bb.50:
	v_mul_u32_u24_e32 v1, 19, v0
	v_cmp_ne_u32_e32 vcc, 0, v0
	ds_write_b8 v0, v8
	s_waitcnt lgkmcnt(0)
	; wave barrier
	s_waitcnt lgkmcnt(0)
	s_and_saveexec_b64 s[6:7], vcc
	s_cbranch_execz .LBB29_52
; %bb.51:
	v_add_u32_e32 v21, -1, v0
	s_waitcnt vmcnt(0)
	ds_read_u8 v38, v21
.LBB29_52:
	s_or_b64 exec, exec, s[6:7]
	s_mulk_i32 s4, 0xfb40
	s_add_i32 s4, s4, s46
	v_add_u32_e32 v21, 18, v1
	v_cmp_gt_u32_e32 vcc, s4, v21
	v_add_u32_e32 v21, 17, v1
	v_cndmask_b32_e32 v29, 0, v7, vcc
	v_cmp_gt_u32_e32 vcc, s4, v21
	v_add_u32_e32 v22, 16, v1
	v_cndmask_b32_e32 v21, 0, v6, vcc
	;; [unrolled: 3-line block ×17, first 2 shown]
	v_cmp_gt_u32_e32 vcc, s4, v39
	v_cndmask_b32_e32 v39, 0, v2, vcc
	v_cmp_gt_u32_e32 vcc, s4, v1
	s_waitcnt vmcnt(0) lgkmcnt(0)
	v_cndmask_b32_e32 v1, 0, v38, vcc
	v_add_u16_e32 v1, v1, v2
.LBB29_53:
	s_cbranch_execnz .LBB29_64
.LBB29_54:
	s_cmp_eq_u64 s[2:3], 1
	v_cmp_ne_u32_e32 vcc, 0, v0
	s_cbranch_scc1 .LBB29_58
; %bb.55:
	v_mov_b32_e32 v1, v2
	ds_write_b8 v0, v8
	s_waitcnt lgkmcnt(0)
	; wave barrier
	s_waitcnt lgkmcnt(0)
	s_and_saveexec_b64 s[2:3], vcc
	s_cbranch_execz .LBB29_57
; %bb.56:
	v_add_u32_e32 v1, -1, v0
	ds_read_u8 v1, v1
	s_waitcnt lgkmcnt(0)
	v_add_u16_e32 v1, v1, v2
.LBB29_57:
	s_or_b64 exec, exec, s[2:3]
	s_mov_b64 s[2:3], 0
	s_branch .LBB29_59
.LBB29_58:
	s_mov_b64 s[2:3], -1
                                        ; implicit-def: $vgpr1
.LBB29_59:
	s_andn2_b64 vcc, exec, s[2:3]
	v_mov_b32_e32 v37, v9
	v_mov_b32_e32 v36, v10
	;; [unrolled: 1-line block ×17, first 2 shown]
	s_cbranch_vccnz .LBB29_63
; %bb.60:
	v_mad_u32_u24 v21, v0, 19, 18
	v_cmp_gt_u32_e32 vcc, s46, v21
	v_mad_u32_u24 v21, v0, 19, 17
	v_cmp_gt_u32_e64 s[2:3], s46, v21
	v_mad_u32_u24 v21, v0, 19, 16
	v_cmp_gt_u32_e64 s[4:5], s46, v21
	;; [unrolled: 2-line block ×14, first 2 shown]
	v_mad_u32_u24 v21, v0, 19, 3
	v_mul_u32_u24_e32 v1, 19, v0
	v_cmp_gt_u32_e64 s[30:31], s46, v21
	v_mad_u32_u24 v21, v0, 19, 2
	v_cmp_gt_u32_e64 s[34:35], s46, v21
	v_mad_u32_u24 v21, v0, 19, 1
	v_cmp_ne_u32_e64 s[38:39], 0, v0
	v_cmp_gt_u32_e64 s[40:41], s46, v1
	v_cmp_gt_u32_e64 s[36:37], s46, v21
	s_and_b64 s[40:41], s[38:39], s[40:41]
	v_mov_b32_e32 v1, v2
	ds_write_b8 v0, v8
	s_waitcnt lgkmcnt(0)
	; wave barrier
	s_waitcnt lgkmcnt(0)
	s_and_saveexec_b64 s[38:39], s[40:41]
	s_cbranch_execz .LBB29_62
; %bb.61:
	v_add_u32_e32 v1, -1, v0
	ds_read_u8 v1, v1
	s_waitcnt lgkmcnt(0)
	v_add_u16_e32 v1, v1, v2
.LBB29_62:
	s_or_b64 exec, exec, s[38:39]
	v_cndmask_b32_e32 v29, 0, v7, vcc
	v_cndmask_b32_e64 v21, 0, v6, s[2:3]
	v_cndmask_b32_e64 v22, 0, v20, s[4:5]
	;; [unrolled: 1-line block ×17, first 2 shown]
.LBB29_63:
	v_mov_b32_e32 v39, v2
.LBB29_64:
	s_add_u32 s4, s44, s42
	v_add_u16_e32 v8, v29, v8
	v_add_u16_e32 v2, v39, v9
	v_add_u16_e32 v9, v37, v10
	v_add_u16_e32 v29, v36, v11
	v_add_u16_e32 v10, v35, v3
	v_add_u16_e32 v3, v34, v12
	v_add_u16_e32 v11, v33, v13
	v_add_u16_e32 v32, v32, v14
	v_add_u16_e32 v30, v30, v15
	v_add_u16_e32 v13, v28, v16
	v_add_u16_e32 v16, v27, v17
	v_add_u16_e32 v17, v25, v18
	v_add_u16_e32 v18, v23, v20
	s_addc_u32 s5, s45, s43
	v_add_u16_e32 v12, v31, v4
	v_add_u16_e32 v14, v26, v5
	;; [unrolled: 1-line block ×5, first 2 shown]
	s_and_b64 vcc, exec, s[0:1]
	v_mul_u32_u24_e32 v6, 19, v0
	v_lshlrev_b16_e32 v21, 8, v17
	v_lshlrev_b16_e32 v22, 8, v18
	;; [unrolled: 1-line block ×8, first 2 shown]
	s_waitcnt lgkmcnt(0)
	; wave barrier
	s_cbranch_vccz .LBB29_102
; %bb.65:
	v_or_b32_sdwa v2, v14, v21 dst_sel:DWORD dst_unused:UNUSED_PAD src0_sel:BYTE_0 src1_sel:DWORD
	v_or_b32_sdwa v3, v15, v22 dst_sel:WORD_1 dst_unused:UNUSED_PAD src0_sel:BYTE_0 src1_sel:DWORD
	v_or_b32_sdwa v27, v2, v3 dst_sel:DWORD dst_unused:UNUSED_PAD src0_sel:WORD_0 src1_sel:DWORD
	v_or_b32_sdwa v2, v12, v19 dst_sel:DWORD dst_unused:UNUSED_PAD src0_sel:BYTE_0 src1_sel:DWORD
	v_or_b32_sdwa v3, v13, v20 dst_sel:WORD_1 dst_unused:UNUSED_PAD src0_sel:BYTE_0 src1_sel:DWORD
	v_or_b32_sdwa v26, v2, v3 dst_sel:DWORD dst_unused:UNUSED_PAD src0_sel:WORD_0 src1_sel:DWORD
	;; [unrolled: 3-line block ×4, first 2 shown]
	ds_write_b128 v6, v[24:27]
	ds_write_b8 v6, v4 offset:16
	ds_write_b8 v6, v5 offset:17
	;; [unrolled: 1-line block ×3, first 2 shown]
	s_waitcnt lgkmcnt(0)
	; wave barrier
	s_waitcnt lgkmcnt(0)
	ds_read_u8 v40, v0 offset:64
	ds_read_u8 v39, v0 offset:128
	s_waitcnt vmcnt(0)
	ds_read_u8 v38, v0 offset:192
	ds_read_u8 v37, v0 offset:256
	ds_read_u8 v36, v0 offset:320
	ds_read_u8 v35, v0 offset:384
	ds_read_u8 v34, v0 offset:448
	ds_read_u8 v33, v0 offset:512
	ds_read_u8 v32, v0 offset:576
	ds_read_u8 v31, v0 offset:640
	ds_read_u8 v30, v0 offset:704
	ds_read_u8 v29, v0 offset:768
	ds_read_u8 v28, v0 offset:832
	ds_read_u8 v27, v0 offset:896
	ds_read_u8 v26, v0 offset:960
	ds_read_u8 v25, v0 offset:1024
	ds_read_u8 v24, v0 offset:1088
	ds_read_u8 v23, v0 offset:1152
	s_add_i32 s47, s47, s46
	s_add_u32 s0, s4, s33
	s_addc_u32 s1, s5, 0
	v_mov_b32_e32 v3, s1
	v_add_co_u32_e32 v2, vcc, s0, v0
	v_addc_co_u32_e32 v3, vcc, 0, v3, vcc
	v_cmp_gt_u32_e32 vcc, s47, v0
	s_and_saveexec_b64 s[0:1], vcc
	s_cbranch_execz .LBB29_67
; %bb.66:
	ds_read_u8 v41, v0
	s_waitcnt lgkmcnt(0)
	global_store_byte v[2:3], v41, off
.LBB29_67:
	s_or_b64 exec, exec, s[0:1]
	v_or_b32_e32 v41, 64, v0
	v_cmp_gt_u32_e32 vcc, s47, v41
	s_and_saveexec_b64 s[0:1], vcc
	s_cbranch_execz .LBB29_69
; %bb.68:
	s_waitcnt lgkmcnt(14)
	global_store_byte v[2:3], v40, off offset:64
.LBB29_69:
	s_or_b64 exec, exec, s[0:1]
	s_waitcnt lgkmcnt(14)
	v_or_b32_e32 v40, 0x80, v0
	v_cmp_gt_u32_e32 vcc, s47, v40
	s_and_saveexec_b64 s[0:1], vcc
	s_cbranch_execz .LBB29_71
; %bb.70:
	global_store_byte v[2:3], v39, off offset:128
.LBB29_71:
	s_or_b64 exec, exec, s[0:1]
	v_or_b32_e32 v39, 0xc0, v0
	v_cmp_gt_u32_e32 vcc, s47, v39
	s_and_saveexec_b64 s[0:1], vcc
	s_cbranch_execz .LBB29_73
; %bb.72:
	global_store_byte v[2:3], v38, off offset:192
.LBB29_73:
	s_or_b64 exec, exec, s[0:1]
	;; [unrolled: 8-line block ×3, first 2 shown]
	v_or_b32_e32 v37, 0x140, v0
	v_cmp_gt_u32_e32 vcc, s47, v37
	s_and_saveexec_b64 s[0:1], vcc
	s_cbranch_execz .LBB29_77
; %bb.76:
	s_waitcnt lgkmcnt(13)
	global_store_byte v[2:3], v36, off offset:320
.LBB29_77:
	s_or_b64 exec, exec, s[0:1]
	s_waitcnt lgkmcnt(13)
	v_or_b32_e32 v36, 0x180, v0
	v_cmp_gt_u32_e32 vcc, s47, v36
	s_and_saveexec_b64 s[0:1], vcc
	s_cbranch_execz .LBB29_79
; %bb.78:
	s_waitcnt lgkmcnt(12)
	global_store_byte v[2:3], v35, off offset:384
.LBB29_79:
	s_or_b64 exec, exec, s[0:1]
	s_waitcnt lgkmcnt(12)
	;; [unrolled: 10-line block ×13, first 2 shown]
	v_or_b32_e32 v24, 0x480, v0
	v_cmp_gt_u32_e64 s[0:1], s47, v24
	s_branch .LBB29_104
.LBB29_102:
	s_mov_b64 s[0:1], 0
                                        ; implicit-def: $vgpr23
                                        ; implicit-def: $vgpr2_vgpr3
	s_cbranch_execz .LBB29_104
; %bb.103:
	v_or_b32_sdwa v2, v14, v21 dst_sel:DWORD dst_unused:UNUSED_PAD src0_sel:BYTE_0 src1_sel:DWORD
	v_or_b32_sdwa v3, v15, v22 dst_sel:WORD_1 dst_unused:UNUSED_PAD src0_sel:BYTE_0 src1_sel:DWORD
	v_or_b32_sdwa v15, v2, v3 dst_sel:DWORD dst_unused:UNUSED_PAD src0_sel:WORD_0 src1_sel:DWORD
	v_or_b32_sdwa v2, v12, v19 dst_sel:DWORD dst_unused:UNUSED_PAD src0_sel:BYTE_0 src1_sel:DWORD
	v_or_b32_sdwa v3, v13, v20 dst_sel:WORD_1 dst_unused:UNUSED_PAD src0_sel:BYTE_0 src1_sel:DWORD
	v_or_b32_sdwa v14, v2, v3 dst_sel:DWORD dst_unused:UNUSED_PAD src0_sel:WORD_0 src1_sel:DWORD
	;; [unrolled: 3-line block ×4, first 2 shown]
	s_add_u32 s2, s4, s33
	ds_write_b128 v6, v[12:15]
	ds_write_b8 v6, v4 offset:16
	ds_write_b8 v6, v5 offset:17
	;; [unrolled: 1-line block ×3, first 2 shown]
	s_waitcnt lgkmcnt(0)
	; wave barrier
	s_waitcnt lgkmcnt(0)
	ds_read_u8 v1, v0
	ds_read_u8 v4, v0 offset:64
	ds_read_u8 v5, v0 offset:128
	;; [unrolled: 1-line block ×18, first 2 shown]
	s_addc_u32 s3, s5, 0
	v_mov_b32_e32 v3, s3
	v_add_co_u32_e32 v2, vcc, s2, v0
	v_addc_co_u32_e32 v3, vcc, 0, v3, vcc
	s_or_b64 s[0:1], s[0:1], exec
	s_waitcnt lgkmcnt(14)
	global_store_byte v0, v1, s[2:3]
	global_store_byte v0, v4, s[2:3] offset:64
	global_store_byte v0, v5, s[2:3] offset:128
	;; [unrolled: 1-line block ×4, first 2 shown]
	s_waitcnt lgkmcnt(13)
	global_store_byte v0, v8, s[2:3] offset:320
	s_waitcnt lgkmcnt(12)
	global_store_byte v0, v9, s[2:3] offset:384
	;; [unrolled: 2-line block ×13, first 2 shown]
.LBB29_104:
	s_and_saveexec_b64 s[2:3], s[0:1]
	s_cbranch_execnz .LBB29_106
; %bb.105:
	s_endpgm
.LBB29_106:
	s_waitcnt lgkmcnt(0)
	global_store_byte v[2:3], v23, off offset:1152
	s_endpgm
	.section	.rodata,"a",@progbits
	.p2align	6, 0x0
	.amdhsa_kernel _ZN7rocprim17ROCPRIM_400000_NS6detail17trampoline_kernelINS0_14default_configENS1_35adjacent_difference_config_selectorILb0EaEEZNS1_24adjacent_difference_implIS3_Lb0ELb0EPaS7_N6thrust23THRUST_200600_302600_NS4plusIaEEEE10hipError_tPvRmT2_T3_mT4_P12ihipStream_tbEUlT_E_NS1_11comp_targetILNS1_3genE4ELNS1_11target_archE910ELNS1_3gpuE8ELNS1_3repE0EEENS1_30default_config_static_selectorELNS0_4arch9wavefront6targetE1EEEvT1_
		.amdhsa_group_segment_fixed_size 1216
		.amdhsa_private_segment_fixed_size 0
		.amdhsa_kernarg_size 56
		.amdhsa_user_sgpr_count 6
		.amdhsa_user_sgpr_private_segment_buffer 1
		.amdhsa_user_sgpr_dispatch_ptr 0
		.amdhsa_user_sgpr_queue_ptr 0
		.amdhsa_user_sgpr_kernarg_segment_ptr 1
		.amdhsa_user_sgpr_dispatch_id 0
		.amdhsa_user_sgpr_flat_scratch_init 0
		.amdhsa_user_sgpr_kernarg_preload_length 0
		.amdhsa_user_sgpr_kernarg_preload_offset 0
		.amdhsa_user_sgpr_private_segment_size 0
		.amdhsa_uses_dynamic_stack 0
		.amdhsa_system_sgpr_private_segment_wavefront_offset 0
		.amdhsa_system_sgpr_workgroup_id_x 1
		.amdhsa_system_sgpr_workgroup_id_y 0
		.amdhsa_system_sgpr_workgroup_id_z 0
		.amdhsa_system_sgpr_workgroup_info 0
		.amdhsa_system_vgpr_workitem_id 0
		.amdhsa_next_free_vgpr 42
		.amdhsa_next_free_sgpr 48
		.amdhsa_accum_offset 44
		.amdhsa_reserve_vcc 1
		.amdhsa_reserve_flat_scratch 0
		.amdhsa_float_round_mode_32 0
		.amdhsa_float_round_mode_16_64 0
		.amdhsa_float_denorm_mode_32 3
		.amdhsa_float_denorm_mode_16_64 3
		.amdhsa_dx10_clamp 1
		.amdhsa_ieee_mode 1
		.amdhsa_fp16_overflow 0
		.amdhsa_tg_split 0
		.amdhsa_exception_fp_ieee_invalid_op 0
		.amdhsa_exception_fp_denorm_src 0
		.amdhsa_exception_fp_ieee_div_zero 0
		.amdhsa_exception_fp_ieee_overflow 0
		.amdhsa_exception_fp_ieee_underflow 0
		.amdhsa_exception_fp_ieee_inexact 0
		.amdhsa_exception_int_div_zero 0
	.end_amdhsa_kernel
	.section	.text._ZN7rocprim17ROCPRIM_400000_NS6detail17trampoline_kernelINS0_14default_configENS1_35adjacent_difference_config_selectorILb0EaEEZNS1_24adjacent_difference_implIS3_Lb0ELb0EPaS7_N6thrust23THRUST_200600_302600_NS4plusIaEEEE10hipError_tPvRmT2_T3_mT4_P12ihipStream_tbEUlT_E_NS1_11comp_targetILNS1_3genE4ELNS1_11target_archE910ELNS1_3gpuE8ELNS1_3repE0EEENS1_30default_config_static_selectorELNS0_4arch9wavefront6targetE1EEEvT1_,"axG",@progbits,_ZN7rocprim17ROCPRIM_400000_NS6detail17trampoline_kernelINS0_14default_configENS1_35adjacent_difference_config_selectorILb0EaEEZNS1_24adjacent_difference_implIS3_Lb0ELb0EPaS7_N6thrust23THRUST_200600_302600_NS4plusIaEEEE10hipError_tPvRmT2_T3_mT4_P12ihipStream_tbEUlT_E_NS1_11comp_targetILNS1_3genE4ELNS1_11target_archE910ELNS1_3gpuE8ELNS1_3repE0EEENS1_30default_config_static_selectorELNS0_4arch9wavefront6targetE1EEEvT1_,comdat
.Lfunc_end29:
	.size	_ZN7rocprim17ROCPRIM_400000_NS6detail17trampoline_kernelINS0_14default_configENS1_35adjacent_difference_config_selectorILb0EaEEZNS1_24adjacent_difference_implIS3_Lb0ELb0EPaS7_N6thrust23THRUST_200600_302600_NS4plusIaEEEE10hipError_tPvRmT2_T3_mT4_P12ihipStream_tbEUlT_E_NS1_11comp_targetILNS1_3genE4ELNS1_11target_archE910ELNS1_3gpuE8ELNS1_3repE0EEENS1_30default_config_static_selectorELNS0_4arch9wavefront6targetE1EEEvT1_, .Lfunc_end29-_ZN7rocprim17ROCPRIM_400000_NS6detail17trampoline_kernelINS0_14default_configENS1_35adjacent_difference_config_selectorILb0EaEEZNS1_24adjacent_difference_implIS3_Lb0ELb0EPaS7_N6thrust23THRUST_200600_302600_NS4plusIaEEEE10hipError_tPvRmT2_T3_mT4_P12ihipStream_tbEUlT_E_NS1_11comp_targetILNS1_3genE4ELNS1_11target_archE910ELNS1_3gpuE8ELNS1_3repE0EEENS1_30default_config_static_selectorELNS0_4arch9wavefront6targetE1EEEvT1_
                                        ; -- End function
	.section	.AMDGPU.csdata,"",@progbits
; Kernel info:
; codeLenInByte = 4596
; NumSgprs: 52
; NumVgprs: 42
; NumAgprs: 0
; TotalNumVgprs: 42
; ScratchSize: 0
; MemoryBound: 0
; FloatMode: 240
; IeeeMode: 1
; LDSByteSize: 1216 bytes/workgroup (compile time only)
; SGPRBlocks: 6
; VGPRBlocks: 5
; NumSGPRsForWavesPerEU: 52
; NumVGPRsForWavesPerEU: 42
; AccumOffset: 44
; Occupancy: 8
; WaveLimiterHint : 0
; COMPUTE_PGM_RSRC2:SCRATCH_EN: 0
; COMPUTE_PGM_RSRC2:USER_SGPR: 6
; COMPUTE_PGM_RSRC2:TRAP_HANDLER: 0
; COMPUTE_PGM_RSRC2:TGID_X_EN: 1
; COMPUTE_PGM_RSRC2:TGID_Y_EN: 0
; COMPUTE_PGM_RSRC2:TGID_Z_EN: 0
; COMPUTE_PGM_RSRC2:TIDIG_COMP_CNT: 0
; COMPUTE_PGM_RSRC3_GFX90A:ACCUM_OFFSET: 10
; COMPUTE_PGM_RSRC3_GFX90A:TG_SPLIT: 0
	.section	.text._ZN7rocprim17ROCPRIM_400000_NS6detail17trampoline_kernelINS0_14default_configENS1_35adjacent_difference_config_selectorILb0EaEEZNS1_24adjacent_difference_implIS3_Lb0ELb0EPaS7_N6thrust23THRUST_200600_302600_NS4plusIaEEEE10hipError_tPvRmT2_T3_mT4_P12ihipStream_tbEUlT_E_NS1_11comp_targetILNS1_3genE3ELNS1_11target_archE908ELNS1_3gpuE7ELNS1_3repE0EEENS1_30default_config_static_selectorELNS0_4arch9wavefront6targetE1EEEvT1_,"axG",@progbits,_ZN7rocprim17ROCPRIM_400000_NS6detail17trampoline_kernelINS0_14default_configENS1_35adjacent_difference_config_selectorILb0EaEEZNS1_24adjacent_difference_implIS3_Lb0ELb0EPaS7_N6thrust23THRUST_200600_302600_NS4plusIaEEEE10hipError_tPvRmT2_T3_mT4_P12ihipStream_tbEUlT_E_NS1_11comp_targetILNS1_3genE3ELNS1_11target_archE908ELNS1_3gpuE7ELNS1_3repE0EEENS1_30default_config_static_selectorELNS0_4arch9wavefront6targetE1EEEvT1_,comdat
	.protected	_ZN7rocprim17ROCPRIM_400000_NS6detail17trampoline_kernelINS0_14default_configENS1_35adjacent_difference_config_selectorILb0EaEEZNS1_24adjacent_difference_implIS3_Lb0ELb0EPaS7_N6thrust23THRUST_200600_302600_NS4plusIaEEEE10hipError_tPvRmT2_T3_mT4_P12ihipStream_tbEUlT_E_NS1_11comp_targetILNS1_3genE3ELNS1_11target_archE908ELNS1_3gpuE7ELNS1_3repE0EEENS1_30default_config_static_selectorELNS0_4arch9wavefront6targetE1EEEvT1_ ; -- Begin function _ZN7rocprim17ROCPRIM_400000_NS6detail17trampoline_kernelINS0_14default_configENS1_35adjacent_difference_config_selectorILb0EaEEZNS1_24adjacent_difference_implIS3_Lb0ELb0EPaS7_N6thrust23THRUST_200600_302600_NS4plusIaEEEE10hipError_tPvRmT2_T3_mT4_P12ihipStream_tbEUlT_E_NS1_11comp_targetILNS1_3genE3ELNS1_11target_archE908ELNS1_3gpuE7ELNS1_3repE0EEENS1_30default_config_static_selectorELNS0_4arch9wavefront6targetE1EEEvT1_
	.globl	_ZN7rocprim17ROCPRIM_400000_NS6detail17trampoline_kernelINS0_14default_configENS1_35adjacent_difference_config_selectorILb0EaEEZNS1_24adjacent_difference_implIS3_Lb0ELb0EPaS7_N6thrust23THRUST_200600_302600_NS4plusIaEEEE10hipError_tPvRmT2_T3_mT4_P12ihipStream_tbEUlT_E_NS1_11comp_targetILNS1_3genE3ELNS1_11target_archE908ELNS1_3gpuE7ELNS1_3repE0EEENS1_30default_config_static_selectorELNS0_4arch9wavefront6targetE1EEEvT1_
	.p2align	8
	.type	_ZN7rocprim17ROCPRIM_400000_NS6detail17trampoline_kernelINS0_14default_configENS1_35adjacent_difference_config_selectorILb0EaEEZNS1_24adjacent_difference_implIS3_Lb0ELb0EPaS7_N6thrust23THRUST_200600_302600_NS4plusIaEEEE10hipError_tPvRmT2_T3_mT4_P12ihipStream_tbEUlT_E_NS1_11comp_targetILNS1_3genE3ELNS1_11target_archE908ELNS1_3gpuE7ELNS1_3repE0EEENS1_30default_config_static_selectorELNS0_4arch9wavefront6targetE1EEEvT1_,@function
_ZN7rocprim17ROCPRIM_400000_NS6detail17trampoline_kernelINS0_14default_configENS1_35adjacent_difference_config_selectorILb0EaEEZNS1_24adjacent_difference_implIS3_Lb0ELb0EPaS7_N6thrust23THRUST_200600_302600_NS4plusIaEEEE10hipError_tPvRmT2_T3_mT4_P12ihipStream_tbEUlT_E_NS1_11comp_targetILNS1_3genE3ELNS1_11target_archE908ELNS1_3gpuE7ELNS1_3repE0EEENS1_30default_config_static_selectorELNS0_4arch9wavefront6targetE1EEEvT1_: ; @_ZN7rocprim17ROCPRIM_400000_NS6detail17trampoline_kernelINS0_14default_configENS1_35adjacent_difference_config_selectorILb0EaEEZNS1_24adjacent_difference_implIS3_Lb0ELb0EPaS7_N6thrust23THRUST_200600_302600_NS4plusIaEEEE10hipError_tPvRmT2_T3_mT4_P12ihipStream_tbEUlT_E_NS1_11comp_targetILNS1_3genE3ELNS1_11target_archE908ELNS1_3gpuE7ELNS1_3repE0EEENS1_30default_config_static_selectorELNS0_4arch9wavefront6targetE1EEEvT1_
; %bb.0:
	.section	.rodata,"a",@progbits
	.p2align	6, 0x0
	.amdhsa_kernel _ZN7rocprim17ROCPRIM_400000_NS6detail17trampoline_kernelINS0_14default_configENS1_35adjacent_difference_config_selectorILb0EaEEZNS1_24adjacent_difference_implIS3_Lb0ELb0EPaS7_N6thrust23THRUST_200600_302600_NS4plusIaEEEE10hipError_tPvRmT2_T3_mT4_P12ihipStream_tbEUlT_E_NS1_11comp_targetILNS1_3genE3ELNS1_11target_archE908ELNS1_3gpuE7ELNS1_3repE0EEENS1_30default_config_static_selectorELNS0_4arch9wavefront6targetE1EEEvT1_
		.amdhsa_group_segment_fixed_size 0
		.amdhsa_private_segment_fixed_size 0
		.amdhsa_kernarg_size 56
		.amdhsa_user_sgpr_count 6
		.amdhsa_user_sgpr_private_segment_buffer 1
		.amdhsa_user_sgpr_dispatch_ptr 0
		.amdhsa_user_sgpr_queue_ptr 0
		.amdhsa_user_sgpr_kernarg_segment_ptr 1
		.amdhsa_user_sgpr_dispatch_id 0
		.amdhsa_user_sgpr_flat_scratch_init 0
		.amdhsa_user_sgpr_kernarg_preload_length 0
		.amdhsa_user_sgpr_kernarg_preload_offset 0
		.amdhsa_user_sgpr_private_segment_size 0
		.amdhsa_uses_dynamic_stack 0
		.amdhsa_system_sgpr_private_segment_wavefront_offset 0
		.amdhsa_system_sgpr_workgroup_id_x 1
		.amdhsa_system_sgpr_workgroup_id_y 0
		.amdhsa_system_sgpr_workgroup_id_z 0
		.amdhsa_system_sgpr_workgroup_info 0
		.amdhsa_system_vgpr_workitem_id 0
		.amdhsa_next_free_vgpr 1
		.amdhsa_next_free_sgpr 0
		.amdhsa_accum_offset 4
		.amdhsa_reserve_vcc 0
		.amdhsa_reserve_flat_scratch 0
		.amdhsa_float_round_mode_32 0
		.amdhsa_float_round_mode_16_64 0
		.amdhsa_float_denorm_mode_32 3
		.amdhsa_float_denorm_mode_16_64 3
		.amdhsa_dx10_clamp 1
		.amdhsa_ieee_mode 1
		.amdhsa_fp16_overflow 0
		.amdhsa_tg_split 0
		.amdhsa_exception_fp_ieee_invalid_op 0
		.amdhsa_exception_fp_denorm_src 0
		.amdhsa_exception_fp_ieee_div_zero 0
		.amdhsa_exception_fp_ieee_overflow 0
		.amdhsa_exception_fp_ieee_underflow 0
		.amdhsa_exception_fp_ieee_inexact 0
		.amdhsa_exception_int_div_zero 0
	.end_amdhsa_kernel
	.section	.text._ZN7rocprim17ROCPRIM_400000_NS6detail17trampoline_kernelINS0_14default_configENS1_35adjacent_difference_config_selectorILb0EaEEZNS1_24adjacent_difference_implIS3_Lb0ELb0EPaS7_N6thrust23THRUST_200600_302600_NS4plusIaEEEE10hipError_tPvRmT2_T3_mT4_P12ihipStream_tbEUlT_E_NS1_11comp_targetILNS1_3genE3ELNS1_11target_archE908ELNS1_3gpuE7ELNS1_3repE0EEENS1_30default_config_static_selectorELNS0_4arch9wavefront6targetE1EEEvT1_,"axG",@progbits,_ZN7rocprim17ROCPRIM_400000_NS6detail17trampoline_kernelINS0_14default_configENS1_35adjacent_difference_config_selectorILb0EaEEZNS1_24adjacent_difference_implIS3_Lb0ELb0EPaS7_N6thrust23THRUST_200600_302600_NS4plusIaEEEE10hipError_tPvRmT2_T3_mT4_P12ihipStream_tbEUlT_E_NS1_11comp_targetILNS1_3genE3ELNS1_11target_archE908ELNS1_3gpuE7ELNS1_3repE0EEENS1_30default_config_static_selectorELNS0_4arch9wavefront6targetE1EEEvT1_,comdat
.Lfunc_end30:
	.size	_ZN7rocprim17ROCPRIM_400000_NS6detail17trampoline_kernelINS0_14default_configENS1_35adjacent_difference_config_selectorILb0EaEEZNS1_24adjacent_difference_implIS3_Lb0ELb0EPaS7_N6thrust23THRUST_200600_302600_NS4plusIaEEEE10hipError_tPvRmT2_T3_mT4_P12ihipStream_tbEUlT_E_NS1_11comp_targetILNS1_3genE3ELNS1_11target_archE908ELNS1_3gpuE7ELNS1_3repE0EEENS1_30default_config_static_selectorELNS0_4arch9wavefront6targetE1EEEvT1_, .Lfunc_end30-_ZN7rocprim17ROCPRIM_400000_NS6detail17trampoline_kernelINS0_14default_configENS1_35adjacent_difference_config_selectorILb0EaEEZNS1_24adjacent_difference_implIS3_Lb0ELb0EPaS7_N6thrust23THRUST_200600_302600_NS4plusIaEEEE10hipError_tPvRmT2_T3_mT4_P12ihipStream_tbEUlT_E_NS1_11comp_targetILNS1_3genE3ELNS1_11target_archE908ELNS1_3gpuE7ELNS1_3repE0EEENS1_30default_config_static_selectorELNS0_4arch9wavefront6targetE1EEEvT1_
                                        ; -- End function
	.section	.AMDGPU.csdata,"",@progbits
; Kernel info:
; codeLenInByte = 0
; NumSgprs: 4
; NumVgprs: 0
; NumAgprs: 0
; TotalNumVgprs: 0
; ScratchSize: 0
; MemoryBound: 0
; FloatMode: 240
; IeeeMode: 1
; LDSByteSize: 0 bytes/workgroup (compile time only)
; SGPRBlocks: 0
; VGPRBlocks: 0
; NumSGPRsForWavesPerEU: 4
; NumVGPRsForWavesPerEU: 1
; AccumOffset: 4
; Occupancy: 8
; WaveLimiterHint : 0
; COMPUTE_PGM_RSRC2:SCRATCH_EN: 0
; COMPUTE_PGM_RSRC2:USER_SGPR: 6
; COMPUTE_PGM_RSRC2:TRAP_HANDLER: 0
; COMPUTE_PGM_RSRC2:TGID_X_EN: 1
; COMPUTE_PGM_RSRC2:TGID_Y_EN: 0
; COMPUTE_PGM_RSRC2:TGID_Z_EN: 0
; COMPUTE_PGM_RSRC2:TIDIG_COMP_CNT: 0
; COMPUTE_PGM_RSRC3_GFX90A:ACCUM_OFFSET: 0
; COMPUTE_PGM_RSRC3_GFX90A:TG_SPLIT: 0
	.section	.text._ZN7rocprim17ROCPRIM_400000_NS6detail17trampoline_kernelINS0_14default_configENS1_35adjacent_difference_config_selectorILb0EaEEZNS1_24adjacent_difference_implIS3_Lb0ELb0EPaS7_N6thrust23THRUST_200600_302600_NS4plusIaEEEE10hipError_tPvRmT2_T3_mT4_P12ihipStream_tbEUlT_E_NS1_11comp_targetILNS1_3genE2ELNS1_11target_archE906ELNS1_3gpuE6ELNS1_3repE0EEENS1_30default_config_static_selectorELNS0_4arch9wavefront6targetE1EEEvT1_,"axG",@progbits,_ZN7rocprim17ROCPRIM_400000_NS6detail17trampoline_kernelINS0_14default_configENS1_35adjacent_difference_config_selectorILb0EaEEZNS1_24adjacent_difference_implIS3_Lb0ELb0EPaS7_N6thrust23THRUST_200600_302600_NS4plusIaEEEE10hipError_tPvRmT2_T3_mT4_P12ihipStream_tbEUlT_E_NS1_11comp_targetILNS1_3genE2ELNS1_11target_archE906ELNS1_3gpuE6ELNS1_3repE0EEENS1_30default_config_static_selectorELNS0_4arch9wavefront6targetE1EEEvT1_,comdat
	.protected	_ZN7rocprim17ROCPRIM_400000_NS6detail17trampoline_kernelINS0_14default_configENS1_35adjacent_difference_config_selectorILb0EaEEZNS1_24adjacent_difference_implIS3_Lb0ELb0EPaS7_N6thrust23THRUST_200600_302600_NS4plusIaEEEE10hipError_tPvRmT2_T3_mT4_P12ihipStream_tbEUlT_E_NS1_11comp_targetILNS1_3genE2ELNS1_11target_archE906ELNS1_3gpuE6ELNS1_3repE0EEENS1_30default_config_static_selectorELNS0_4arch9wavefront6targetE1EEEvT1_ ; -- Begin function _ZN7rocprim17ROCPRIM_400000_NS6detail17trampoline_kernelINS0_14default_configENS1_35adjacent_difference_config_selectorILb0EaEEZNS1_24adjacent_difference_implIS3_Lb0ELb0EPaS7_N6thrust23THRUST_200600_302600_NS4plusIaEEEE10hipError_tPvRmT2_T3_mT4_P12ihipStream_tbEUlT_E_NS1_11comp_targetILNS1_3genE2ELNS1_11target_archE906ELNS1_3gpuE6ELNS1_3repE0EEENS1_30default_config_static_selectorELNS0_4arch9wavefront6targetE1EEEvT1_
	.globl	_ZN7rocprim17ROCPRIM_400000_NS6detail17trampoline_kernelINS0_14default_configENS1_35adjacent_difference_config_selectorILb0EaEEZNS1_24adjacent_difference_implIS3_Lb0ELb0EPaS7_N6thrust23THRUST_200600_302600_NS4plusIaEEEE10hipError_tPvRmT2_T3_mT4_P12ihipStream_tbEUlT_E_NS1_11comp_targetILNS1_3genE2ELNS1_11target_archE906ELNS1_3gpuE6ELNS1_3repE0EEENS1_30default_config_static_selectorELNS0_4arch9wavefront6targetE1EEEvT1_
	.p2align	8
	.type	_ZN7rocprim17ROCPRIM_400000_NS6detail17trampoline_kernelINS0_14default_configENS1_35adjacent_difference_config_selectorILb0EaEEZNS1_24adjacent_difference_implIS3_Lb0ELb0EPaS7_N6thrust23THRUST_200600_302600_NS4plusIaEEEE10hipError_tPvRmT2_T3_mT4_P12ihipStream_tbEUlT_E_NS1_11comp_targetILNS1_3genE2ELNS1_11target_archE906ELNS1_3gpuE6ELNS1_3repE0EEENS1_30default_config_static_selectorELNS0_4arch9wavefront6targetE1EEEvT1_,@function
_ZN7rocprim17ROCPRIM_400000_NS6detail17trampoline_kernelINS0_14default_configENS1_35adjacent_difference_config_selectorILb0EaEEZNS1_24adjacent_difference_implIS3_Lb0ELb0EPaS7_N6thrust23THRUST_200600_302600_NS4plusIaEEEE10hipError_tPvRmT2_T3_mT4_P12ihipStream_tbEUlT_E_NS1_11comp_targetILNS1_3genE2ELNS1_11target_archE906ELNS1_3gpuE6ELNS1_3repE0EEENS1_30default_config_static_selectorELNS0_4arch9wavefront6targetE1EEEvT1_: ; @_ZN7rocprim17ROCPRIM_400000_NS6detail17trampoline_kernelINS0_14default_configENS1_35adjacent_difference_config_selectorILb0EaEEZNS1_24adjacent_difference_implIS3_Lb0ELb0EPaS7_N6thrust23THRUST_200600_302600_NS4plusIaEEEE10hipError_tPvRmT2_T3_mT4_P12ihipStream_tbEUlT_E_NS1_11comp_targetILNS1_3genE2ELNS1_11target_archE906ELNS1_3gpuE6ELNS1_3repE0EEENS1_30default_config_static_selectorELNS0_4arch9wavefront6targetE1EEEvT1_
; %bb.0:
	.section	.rodata,"a",@progbits
	.p2align	6, 0x0
	.amdhsa_kernel _ZN7rocprim17ROCPRIM_400000_NS6detail17trampoline_kernelINS0_14default_configENS1_35adjacent_difference_config_selectorILb0EaEEZNS1_24adjacent_difference_implIS3_Lb0ELb0EPaS7_N6thrust23THRUST_200600_302600_NS4plusIaEEEE10hipError_tPvRmT2_T3_mT4_P12ihipStream_tbEUlT_E_NS1_11comp_targetILNS1_3genE2ELNS1_11target_archE906ELNS1_3gpuE6ELNS1_3repE0EEENS1_30default_config_static_selectorELNS0_4arch9wavefront6targetE1EEEvT1_
		.amdhsa_group_segment_fixed_size 0
		.amdhsa_private_segment_fixed_size 0
		.amdhsa_kernarg_size 56
		.amdhsa_user_sgpr_count 6
		.amdhsa_user_sgpr_private_segment_buffer 1
		.amdhsa_user_sgpr_dispatch_ptr 0
		.amdhsa_user_sgpr_queue_ptr 0
		.amdhsa_user_sgpr_kernarg_segment_ptr 1
		.amdhsa_user_sgpr_dispatch_id 0
		.amdhsa_user_sgpr_flat_scratch_init 0
		.amdhsa_user_sgpr_kernarg_preload_length 0
		.amdhsa_user_sgpr_kernarg_preload_offset 0
		.amdhsa_user_sgpr_private_segment_size 0
		.amdhsa_uses_dynamic_stack 0
		.amdhsa_system_sgpr_private_segment_wavefront_offset 0
		.amdhsa_system_sgpr_workgroup_id_x 1
		.amdhsa_system_sgpr_workgroup_id_y 0
		.amdhsa_system_sgpr_workgroup_id_z 0
		.amdhsa_system_sgpr_workgroup_info 0
		.amdhsa_system_vgpr_workitem_id 0
		.amdhsa_next_free_vgpr 1
		.amdhsa_next_free_sgpr 0
		.amdhsa_accum_offset 4
		.amdhsa_reserve_vcc 0
		.amdhsa_reserve_flat_scratch 0
		.amdhsa_float_round_mode_32 0
		.amdhsa_float_round_mode_16_64 0
		.amdhsa_float_denorm_mode_32 3
		.amdhsa_float_denorm_mode_16_64 3
		.amdhsa_dx10_clamp 1
		.amdhsa_ieee_mode 1
		.amdhsa_fp16_overflow 0
		.amdhsa_tg_split 0
		.amdhsa_exception_fp_ieee_invalid_op 0
		.amdhsa_exception_fp_denorm_src 0
		.amdhsa_exception_fp_ieee_div_zero 0
		.amdhsa_exception_fp_ieee_overflow 0
		.amdhsa_exception_fp_ieee_underflow 0
		.amdhsa_exception_fp_ieee_inexact 0
		.amdhsa_exception_int_div_zero 0
	.end_amdhsa_kernel
	.section	.text._ZN7rocprim17ROCPRIM_400000_NS6detail17trampoline_kernelINS0_14default_configENS1_35adjacent_difference_config_selectorILb0EaEEZNS1_24adjacent_difference_implIS3_Lb0ELb0EPaS7_N6thrust23THRUST_200600_302600_NS4plusIaEEEE10hipError_tPvRmT2_T3_mT4_P12ihipStream_tbEUlT_E_NS1_11comp_targetILNS1_3genE2ELNS1_11target_archE906ELNS1_3gpuE6ELNS1_3repE0EEENS1_30default_config_static_selectorELNS0_4arch9wavefront6targetE1EEEvT1_,"axG",@progbits,_ZN7rocprim17ROCPRIM_400000_NS6detail17trampoline_kernelINS0_14default_configENS1_35adjacent_difference_config_selectorILb0EaEEZNS1_24adjacent_difference_implIS3_Lb0ELb0EPaS7_N6thrust23THRUST_200600_302600_NS4plusIaEEEE10hipError_tPvRmT2_T3_mT4_P12ihipStream_tbEUlT_E_NS1_11comp_targetILNS1_3genE2ELNS1_11target_archE906ELNS1_3gpuE6ELNS1_3repE0EEENS1_30default_config_static_selectorELNS0_4arch9wavefront6targetE1EEEvT1_,comdat
.Lfunc_end31:
	.size	_ZN7rocprim17ROCPRIM_400000_NS6detail17trampoline_kernelINS0_14default_configENS1_35adjacent_difference_config_selectorILb0EaEEZNS1_24adjacent_difference_implIS3_Lb0ELb0EPaS7_N6thrust23THRUST_200600_302600_NS4plusIaEEEE10hipError_tPvRmT2_T3_mT4_P12ihipStream_tbEUlT_E_NS1_11comp_targetILNS1_3genE2ELNS1_11target_archE906ELNS1_3gpuE6ELNS1_3repE0EEENS1_30default_config_static_selectorELNS0_4arch9wavefront6targetE1EEEvT1_, .Lfunc_end31-_ZN7rocprim17ROCPRIM_400000_NS6detail17trampoline_kernelINS0_14default_configENS1_35adjacent_difference_config_selectorILb0EaEEZNS1_24adjacent_difference_implIS3_Lb0ELb0EPaS7_N6thrust23THRUST_200600_302600_NS4plusIaEEEE10hipError_tPvRmT2_T3_mT4_P12ihipStream_tbEUlT_E_NS1_11comp_targetILNS1_3genE2ELNS1_11target_archE906ELNS1_3gpuE6ELNS1_3repE0EEENS1_30default_config_static_selectorELNS0_4arch9wavefront6targetE1EEEvT1_
                                        ; -- End function
	.section	.AMDGPU.csdata,"",@progbits
; Kernel info:
; codeLenInByte = 0
; NumSgprs: 4
; NumVgprs: 0
; NumAgprs: 0
; TotalNumVgprs: 0
; ScratchSize: 0
; MemoryBound: 0
; FloatMode: 240
; IeeeMode: 1
; LDSByteSize: 0 bytes/workgroup (compile time only)
; SGPRBlocks: 0
; VGPRBlocks: 0
; NumSGPRsForWavesPerEU: 4
; NumVGPRsForWavesPerEU: 1
; AccumOffset: 4
; Occupancy: 8
; WaveLimiterHint : 0
; COMPUTE_PGM_RSRC2:SCRATCH_EN: 0
; COMPUTE_PGM_RSRC2:USER_SGPR: 6
; COMPUTE_PGM_RSRC2:TRAP_HANDLER: 0
; COMPUTE_PGM_RSRC2:TGID_X_EN: 1
; COMPUTE_PGM_RSRC2:TGID_Y_EN: 0
; COMPUTE_PGM_RSRC2:TGID_Z_EN: 0
; COMPUTE_PGM_RSRC2:TIDIG_COMP_CNT: 0
; COMPUTE_PGM_RSRC3_GFX90A:ACCUM_OFFSET: 0
; COMPUTE_PGM_RSRC3_GFX90A:TG_SPLIT: 0
	.section	.text._ZN7rocprim17ROCPRIM_400000_NS6detail17trampoline_kernelINS0_14default_configENS1_35adjacent_difference_config_selectorILb0EaEEZNS1_24adjacent_difference_implIS3_Lb0ELb0EPaS7_N6thrust23THRUST_200600_302600_NS4plusIaEEEE10hipError_tPvRmT2_T3_mT4_P12ihipStream_tbEUlT_E_NS1_11comp_targetILNS1_3genE9ELNS1_11target_archE1100ELNS1_3gpuE3ELNS1_3repE0EEENS1_30default_config_static_selectorELNS0_4arch9wavefront6targetE1EEEvT1_,"axG",@progbits,_ZN7rocprim17ROCPRIM_400000_NS6detail17trampoline_kernelINS0_14default_configENS1_35adjacent_difference_config_selectorILb0EaEEZNS1_24adjacent_difference_implIS3_Lb0ELb0EPaS7_N6thrust23THRUST_200600_302600_NS4plusIaEEEE10hipError_tPvRmT2_T3_mT4_P12ihipStream_tbEUlT_E_NS1_11comp_targetILNS1_3genE9ELNS1_11target_archE1100ELNS1_3gpuE3ELNS1_3repE0EEENS1_30default_config_static_selectorELNS0_4arch9wavefront6targetE1EEEvT1_,comdat
	.protected	_ZN7rocprim17ROCPRIM_400000_NS6detail17trampoline_kernelINS0_14default_configENS1_35adjacent_difference_config_selectorILb0EaEEZNS1_24adjacent_difference_implIS3_Lb0ELb0EPaS7_N6thrust23THRUST_200600_302600_NS4plusIaEEEE10hipError_tPvRmT2_T3_mT4_P12ihipStream_tbEUlT_E_NS1_11comp_targetILNS1_3genE9ELNS1_11target_archE1100ELNS1_3gpuE3ELNS1_3repE0EEENS1_30default_config_static_selectorELNS0_4arch9wavefront6targetE1EEEvT1_ ; -- Begin function _ZN7rocprim17ROCPRIM_400000_NS6detail17trampoline_kernelINS0_14default_configENS1_35adjacent_difference_config_selectorILb0EaEEZNS1_24adjacent_difference_implIS3_Lb0ELb0EPaS7_N6thrust23THRUST_200600_302600_NS4plusIaEEEE10hipError_tPvRmT2_T3_mT4_P12ihipStream_tbEUlT_E_NS1_11comp_targetILNS1_3genE9ELNS1_11target_archE1100ELNS1_3gpuE3ELNS1_3repE0EEENS1_30default_config_static_selectorELNS0_4arch9wavefront6targetE1EEEvT1_
	.globl	_ZN7rocprim17ROCPRIM_400000_NS6detail17trampoline_kernelINS0_14default_configENS1_35adjacent_difference_config_selectorILb0EaEEZNS1_24adjacent_difference_implIS3_Lb0ELb0EPaS7_N6thrust23THRUST_200600_302600_NS4plusIaEEEE10hipError_tPvRmT2_T3_mT4_P12ihipStream_tbEUlT_E_NS1_11comp_targetILNS1_3genE9ELNS1_11target_archE1100ELNS1_3gpuE3ELNS1_3repE0EEENS1_30default_config_static_selectorELNS0_4arch9wavefront6targetE1EEEvT1_
	.p2align	8
	.type	_ZN7rocprim17ROCPRIM_400000_NS6detail17trampoline_kernelINS0_14default_configENS1_35adjacent_difference_config_selectorILb0EaEEZNS1_24adjacent_difference_implIS3_Lb0ELb0EPaS7_N6thrust23THRUST_200600_302600_NS4plusIaEEEE10hipError_tPvRmT2_T3_mT4_P12ihipStream_tbEUlT_E_NS1_11comp_targetILNS1_3genE9ELNS1_11target_archE1100ELNS1_3gpuE3ELNS1_3repE0EEENS1_30default_config_static_selectorELNS0_4arch9wavefront6targetE1EEEvT1_,@function
_ZN7rocprim17ROCPRIM_400000_NS6detail17trampoline_kernelINS0_14default_configENS1_35adjacent_difference_config_selectorILb0EaEEZNS1_24adjacent_difference_implIS3_Lb0ELb0EPaS7_N6thrust23THRUST_200600_302600_NS4plusIaEEEE10hipError_tPvRmT2_T3_mT4_P12ihipStream_tbEUlT_E_NS1_11comp_targetILNS1_3genE9ELNS1_11target_archE1100ELNS1_3gpuE3ELNS1_3repE0EEENS1_30default_config_static_selectorELNS0_4arch9wavefront6targetE1EEEvT1_: ; @_ZN7rocprim17ROCPRIM_400000_NS6detail17trampoline_kernelINS0_14default_configENS1_35adjacent_difference_config_selectorILb0EaEEZNS1_24adjacent_difference_implIS3_Lb0ELb0EPaS7_N6thrust23THRUST_200600_302600_NS4plusIaEEEE10hipError_tPvRmT2_T3_mT4_P12ihipStream_tbEUlT_E_NS1_11comp_targetILNS1_3genE9ELNS1_11target_archE1100ELNS1_3gpuE3ELNS1_3repE0EEENS1_30default_config_static_selectorELNS0_4arch9wavefront6targetE1EEEvT1_
; %bb.0:
	.section	.rodata,"a",@progbits
	.p2align	6, 0x0
	.amdhsa_kernel _ZN7rocprim17ROCPRIM_400000_NS6detail17trampoline_kernelINS0_14default_configENS1_35adjacent_difference_config_selectorILb0EaEEZNS1_24adjacent_difference_implIS3_Lb0ELb0EPaS7_N6thrust23THRUST_200600_302600_NS4plusIaEEEE10hipError_tPvRmT2_T3_mT4_P12ihipStream_tbEUlT_E_NS1_11comp_targetILNS1_3genE9ELNS1_11target_archE1100ELNS1_3gpuE3ELNS1_3repE0EEENS1_30default_config_static_selectorELNS0_4arch9wavefront6targetE1EEEvT1_
		.amdhsa_group_segment_fixed_size 0
		.amdhsa_private_segment_fixed_size 0
		.amdhsa_kernarg_size 56
		.amdhsa_user_sgpr_count 6
		.amdhsa_user_sgpr_private_segment_buffer 1
		.amdhsa_user_sgpr_dispatch_ptr 0
		.amdhsa_user_sgpr_queue_ptr 0
		.amdhsa_user_sgpr_kernarg_segment_ptr 1
		.amdhsa_user_sgpr_dispatch_id 0
		.amdhsa_user_sgpr_flat_scratch_init 0
		.amdhsa_user_sgpr_kernarg_preload_length 0
		.amdhsa_user_sgpr_kernarg_preload_offset 0
		.amdhsa_user_sgpr_private_segment_size 0
		.amdhsa_uses_dynamic_stack 0
		.amdhsa_system_sgpr_private_segment_wavefront_offset 0
		.amdhsa_system_sgpr_workgroup_id_x 1
		.amdhsa_system_sgpr_workgroup_id_y 0
		.amdhsa_system_sgpr_workgroup_id_z 0
		.amdhsa_system_sgpr_workgroup_info 0
		.amdhsa_system_vgpr_workitem_id 0
		.amdhsa_next_free_vgpr 1
		.amdhsa_next_free_sgpr 0
		.amdhsa_accum_offset 4
		.amdhsa_reserve_vcc 0
		.amdhsa_reserve_flat_scratch 0
		.amdhsa_float_round_mode_32 0
		.amdhsa_float_round_mode_16_64 0
		.amdhsa_float_denorm_mode_32 3
		.amdhsa_float_denorm_mode_16_64 3
		.amdhsa_dx10_clamp 1
		.amdhsa_ieee_mode 1
		.amdhsa_fp16_overflow 0
		.amdhsa_tg_split 0
		.amdhsa_exception_fp_ieee_invalid_op 0
		.amdhsa_exception_fp_denorm_src 0
		.amdhsa_exception_fp_ieee_div_zero 0
		.amdhsa_exception_fp_ieee_overflow 0
		.amdhsa_exception_fp_ieee_underflow 0
		.amdhsa_exception_fp_ieee_inexact 0
		.amdhsa_exception_int_div_zero 0
	.end_amdhsa_kernel
	.section	.text._ZN7rocprim17ROCPRIM_400000_NS6detail17trampoline_kernelINS0_14default_configENS1_35adjacent_difference_config_selectorILb0EaEEZNS1_24adjacent_difference_implIS3_Lb0ELb0EPaS7_N6thrust23THRUST_200600_302600_NS4plusIaEEEE10hipError_tPvRmT2_T3_mT4_P12ihipStream_tbEUlT_E_NS1_11comp_targetILNS1_3genE9ELNS1_11target_archE1100ELNS1_3gpuE3ELNS1_3repE0EEENS1_30default_config_static_selectorELNS0_4arch9wavefront6targetE1EEEvT1_,"axG",@progbits,_ZN7rocprim17ROCPRIM_400000_NS6detail17trampoline_kernelINS0_14default_configENS1_35adjacent_difference_config_selectorILb0EaEEZNS1_24adjacent_difference_implIS3_Lb0ELb0EPaS7_N6thrust23THRUST_200600_302600_NS4plusIaEEEE10hipError_tPvRmT2_T3_mT4_P12ihipStream_tbEUlT_E_NS1_11comp_targetILNS1_3genE9ELNS1_11target_archE1100ELNS1_3gpuE3ELNS1_3repE0EEENS1_30default_config_static_selectorELNS0_4arch9wavefront6targetE1EEEvT1_,comdat
.Lfunc_end32:
	.size	_ZN7rocprim17ROCPRIM_400000_NS6detail17trampoline_kernelINS0_14default_configENS1_35adjacent_difference_config_selectorILb0EaEEZNS1_24adjacent_difference_implIS3_Lb0ELb0EPaS7_N6thrust23THRUST_200600_302600_NS4plusIaEEEE10hipError_tPvRmT2_T3_mT4_P12ihipStream_tbEUlT_E_NS1_11comp_targetILNS1_3genE9ELNS1_11target_archE1100ELNS1_3gpuE3ELNS1_3repE0EEENS1_30default_config_static_selectorELNS0_4arch9wavefront6targetE1EEEvT1_, .Lfunc_end32-_ZN7rocprim17ROCPRIM_400000_NS6detail17trampoline_kernelINS0_14default_configENS1_35adjacent_difference_config_selectorILb0EaEEZNS1_24adjacent_difference_implIS3_Lb0ELb0EPaS7_N6thrust23THRUST_200600_302600_NS4plusIaEEEE10hipError_tPvRmT2_T3_mT4_P12ihipStream_tbEUlT_E_NS1_11comp_targetILNS1_3genE9ELNS1_11target_archE1100ELNS1_3gpuE3ELNS1_3repE0EEENS1_30default_config_static_selectorELNS0_4arch9wavefront6targetE1EEEvT1_
                                        ; -- End function
	.section	.AMDGPU.csdata,"",@progbits
; Kernel info:
; codeLenInByte = 0
; NumSgprs: 4
; NumVgprs: 0
; NumAgprs: 0
; TotalNumVgprs: 0
; ScratchSize: 0
; MemoryBound: 0
; FloatMode: 240
; IeeeMode: 1
; LDSByteSize: 0 bytes/workgroup (compile time only)
; SGPRBlocks: 0
; VGPRBlocks: 0
; NumSGPRsForWavesPerEU: 4
; NumVGPRsForWavesPerEU: 1
; AccumOffset: 4
; Occupancy: 8
; WaveLimiterHint : 0
; COMPUTE_PGM_RSRC2:SCRATCH_EN: 0
; COMPUTE_PGM_RSRC2:USER_SGPR: 6
; COMPUTE_PGM_RSRC2:TRAP_HANDLER: 0
; COMPUTE_PGM_RSRC2:TGID_X_EN: 1
; COMPUTE_PGM_RSRC2:TGID_Y_EN: 0
; COMPUTE_PGM_RSRC2:TGID_Z_EN: 0
; COMPUTE_PGM_RSRC2:TIDIG_COMP_CNT: 0
; COMPUTE_PGM_RSRC3_GFX90A:ACCUM_OFFSET: 0
; COMPUTE_PGM_RSRC3_GFX90A:TG_SPLIT: 0
	.section	.text._ZN7rocprim17ROCPRIM_400000_NS6detail17trampoline_kernelINS0_14default_configENS1_35adjacent_difference_config_selectorILb0EaEEZNS1_24adjacent_difference_implIS3_Lb0ELb0EPaS7_N6thrust23THRUST_200600_302600_NS4plusIaEEEE10hipError_tPvRmT2_T3_mT4_P12ihipStream_tbEUlT_E_NS1_11comp_targetILNS1_3genE8ELNS1_11target_archE1030ELNS1_3gpuE2ELNS1_3repE0EEENS1_30default_config_static_selectorELNS0_4arch9wavefront6targetE1EEEvT1_,"axG",@progbits,_ZN7rocprim17ROCPRIM_400000_NS6detail17trampoline_kernelINS0_14default_configENS1_35adjacent_difference_config_selectorILb0EaEEZNS1_24adjacent_difference_implIS3_Lb0ELb0EPaS7_N6thrust23THRUST_200600_302600_NS4plusIaEEEE10hipError_tPvRmT2_T3_mT4_P12ihipStream_tbEUlT_E_NS1_11comp_targetILNS1_3genE8ELNS1_11target_archE1030ELNS1_3gpuE2ELNS1_3repE0EEENS1_30default_config_static_selectorELNS0_4arch9wavefront6targetE1EEEvT1_,comdat
	.protected	_ZN7rocprim17ROCPRIM_400000_NS6detail17trampoline_kernelINS0_14default_configENS1_35adjacent_difference_config_selectorILb0EaEEZNS1_24adjacent_difference_implIS3_Lb0ELb0EPaS7_N6thrust23THRUST_200600_302600_NS4plusIaEEEE10hipError_tPvRmT2_T3_mT4_P12ihipStream_tbEUlT_E_NS1_11comp_targetILNS1_3genE8ELNS1_11target_archE1030ELNS1_3gpuE2ELNS1_3repE0EEENS1_30default_config_static_selectorELNS0_4arch9wavefront6targetE1EEEvT1_ ; -- Begin function _ZN7rocprim17ROCPRIM_400000_NS6detail17trampoline_kernelINS0_14default_configENS1_35adjacent_difference_config_selectorILb0EaEEZNS1_24adjacent_difference_implIS3_Lb0ELb0EPaS7_N6thrust23THRUST_200600_302600_NS4plusIaEEEE10hipError_tPvRmT2_T3_mT4_P12ihipStream_tbEUlT_E_NS1_11comp_targetILNS1_3genE8ELNS1_11target_archE1030ELNS1_3gpuE2ELNS1_3repE0EEENS1_30default_config_static_selectorELNS0_4arch9wavefront6targetE1EEEvT1_
	.globl	_ZN7rocprim17ROCPRIM_400000_NS6detail17trampoline_kernelINS0_14default_configENS1_35adjacent_difference_config_selectorILb0EaEEZNS1_24adjacent_difference_implIS3_Lb0ELb0EPaS7_N6thrust23THRUST_200600_302600_NS4plusIaEEEE10hipError_tPvRmT2_T3_mT4_P12ihipStream_tbEUlT_E_NS1_11comp_targetILNS1_3genE8ELNS1_11target_archE1030ELNS1_3gpuE2ELNS1_3repE0EEENS1_30default_config_static_selectorELNS0_4arch9wavefront6targetE1EEEvT1_
	.p2align	8
	.type	_ZN7rocprim17ROCPRIM_400000_NS6detail17trampoline_kernelINS0_14default_configENS1_35adjacent_difference_config_selectorILb0EaEEZNS1_24adjacent_difference_implIS3_Lb0ELb0EPaS7_N6thrust23THRUST_200600_302600_NS4plusIaEEEE10hipError_tPvRmT2_T3_mT4_P12ihipStream_tbEUlT_E_NS1_11comp_targetILNS1_3genE8ELNS1_11target_archE1030ELNS1_3gpuE2ELNS1_3repE0EEENS1_30default_config_static_selectorELNS0_4arch9wavefront6targetE1EEEvT1_,@function
_ZN7rocprim17ROCPRIM_400000_NS6detail17trampoline_kernelINS0_14default_configENS1_35adjacent_difference_config_selectorILb0EaEEZNS1_24adjacent_difference_implIS3_Lb0ELb0EPaS7_N6thrust23THRUST_200600_302600_NS4plusIaEEEE10hipError_tPvRmT2_T3_mT4_P12ihipStream_tbEUlT_E_NS1_11comp_targetILNS1_3genE8ELNS1_11target_archE1030ELNS1_3gpuE2ELNS1_3repE0EEENS1_30default_config_static_selectorELNS0_4arch9wavefront6targetE1EEEvT1_: ; @_ZN7rocprim17ROCPRIM_400000_NS6detail17trampoline_kernelINS0_14default_configENS1_35adjacent_difference_config_selectorILb0EaEEZNS1_24adjacent_difference_implIS3_Lb0ELb0EPaS7_N6thrust23THRUST_200600_302600_NS4plusIaEEEE10hipError_tPvRmT2_T3_mT4_P12ihipStream_tbEUlT_E_NS1_11comp_targetILNS1_3genE8ELNS1_11target_archE1030ELNS1_3gpuE2ELNS1_3repE0EEENS1_30default_config_static_selectorELNS0_4arch9wavefront6targetE1EEEvT1_
; %bb.0:
	.section	.rodata,"a",@progbits
	.p2align	6, 0x0
	.amdhsa_kernel _ZN7rocprim17ROCPRIM_400000_NS6detail17trampoline_kernelINS0_14default_configENS1_35adjacent_difference_config_selectorILb0EaEEZNS1_24adjacent_difference_implIS3_Lb0ELb0EPaS7_N6thrust23THRUST_200600_302600_NS4plusIaEEEE10hipError_tPvRmT2_T3_mT4_P12ihipStream_tbEUlT_E_NS1_11comp_targetILNS1_3genE8ELNS1_11target_archE1030ELNS1_3gpuE2ELNS1_3repE0EEENS1_30default_config_static_selectorELNS0_4arch9wavefront6targetE1EEEvT1_
		.amdhsa_group_segment_fixed_size 0
		.amdhsa_private_segment_fixed_size 0
		.amdhsa_kernarg_size 56
		.amdhsa_user_sgpr_count 6
		.amdhsa_user_sgpr_private_segment_buffer 1
		.amdhsa_user_sgpr_dispatch_ptr 0
		.amdhsa_user_sgpr_queue_ptr 0
		.amdhsa_user_sgpr_kernarg_segment_ptr 1
		.amdhsa_user_sgpr_dispatch_id 0
		.amdhsa_user_sgpr_flat_scratch_init 0
		.amdhsa_user_sgpr_kernarg_preload_length 0
		.amdhsa_user_sgpr_kernarg_preload_offset 0
		.amdhsa_user_sgpr_private_segment_size 0
		.amdhsa_uses_dynamic_stack 0
		.amdhsa_system_sgpr_private_segment_wavefront_offset 0
		.amdhsa_system_sgpr_workgroup_id_x 1
		.amdhsa_system_sgpr_workgroup_id_y 0
		.amdhsa_system_sgpr_workgroup_id_z 0
		.amdhsa_system_sgpr_workgroup_info 0
		.amdhsa_system_vgpr_workitem_id 0
		.amdhsa_next_free_vgpr 1
		.amdhsa_next_free_sgpr 0
		.amdhsa_accum_offset 4
		.amdhsa_reserve_vcc 0
		.amdhsa_reserve_flat_scratch 0
		.amdhsa_float_round_mode_32 0
		.amdhsa_float_round_mode_16_64 0
		.amdhsa_float_denorm_mode_32 3
		.amdhsa_float_denorm_mode_16_64 3
		.amdhsa_dx10_clamp 1
		.amdhsa_ieee_mode 1
		.amdhsa_fp16_overflow 0
		.amdhsa_tg_split 0
		.amdhsa_exception_fp_ieee_invalid_op 0
		.amdhsa_exception_fp_denorm_src 0
		.amdhsa_exception_fp_ieee_div_zero 0
		.amdhsa_exception_fp_ieee_overflow 0
		.amdhsa_exception_fp_ieee_underflow 0
		.amdhsa_exception_fp_ieee_inexact 0
		.amdhsa_exception_int_div_zero 0
	.end_amdhsa_kernel
	.section	.text._ZN7rocprim17ROCPRIM_400000_NS6detail17trampoline_kernelINS0_14default_configENS1_35adjacent_difference_config_selectorILb0EaEEZNS1_24adjacent_difference_implIS3_Lb0ELb0EPaS7_N6thrust23THRUST_200600_302600_NS4plusIaEEEE10hipError_tPvRmT2_T3_mT4_P12ihipStream_tbEUlT_E_NS1_11comp_targetILNS1_3genE8ELNS1_11target_archE1030ELNS1_3gpuE2ELNS1_3repE0EEENS1_30default_config_static_selectorELNS0_4arch9wavefront6targetE1EEEvT1_,"axG",@progbits,_ZN7rocprim17ROCPRIM_400000_NS6detail17trampoline_kernelINS0_14default_configENS1_35adjacent_difference_config_selectorILb0EaEEZNS1_24adjacent_difference_implIS3_Lb0ELb0EPaS7_N6thrust23THRUST_200600_302600_NS4plusIaEEEE10hipError_tPvRmT2_T3_mT4_P12ihipStream_tbEUlT_E_NS1_11comp_targetILNS1_3genE8ELNS1_11target_archE1030ELNS1_3gpuE2ELNS1_3repE0EEENS1_30default_config_static_selectorELNS0_4arch9wavefront6targetE1EEEvT1_,comdat
.Lfunc_end33:
	.size	_ZN7rocprim17ROCPRIM_400000_NS6detail17trampoline_kernelINS0_14default_configENS1_35adjacent_difference_config_selectorILb0EaEEZNS1_24adjacent_difference_implIS3_Lb0ELb0EPaS7_N6thrust23THRUST_200600_302600_NS4plusIaEEEE10hipError_tPvRmT2_T3_mT4_P12ihipStream_tbEUlT_E_NS1_11comp_targetILNS1_3genE8ELNS1_11target_archE1030ELNS1_3gpuE2ELNS1_3repE0EEENS1_30default_config_static_selectorELNS0_4arch9wavefront6targetE1EEEvT1_, .Lfunc_end33-_ZN7rocprim17ROCPRIM_400000_NS6detail17trampoline_kernelINS0_14default_configENS1_35adjacent_difference_config_selectorILb0EaEEZNS1_24adjacent_difference_implIS3_Lb0ELb0EPaS7_N6thrust23THRUST_200600_302600_NS4plusIaEEEE10hipError_tPvRmT2_T3_mT4_P12ihipStream_tbEUlT_E_NS1_11comp_targetILNS1_3genE8ELNS1_11target_archE1030ELNS1_3gpuE2ELNS1_3repE0EEENS1_30default_config_static_selectorELNS0_4arch9wavefront6targetE1EEEvT1_
                                        ; -- End function
	.section	.AMDGPU.csdata,"",@progbits
; Kernel info:
; codeLenInByte = 0
; NumSgprs: 4
; NumVgprs: 0
; NumAgprs: 0
; TotalNumVgprs: 0
; ScratchSize: 0
; MemoryBound: 0
; FloatMode: 240
; IeeeMode: 1
; LDSByteSize: 0 bytes/workgroup (compile time only)
; SGPRBlocks: 0
; VGPRBlocks: 0
; NumSGPRsForWavesPerEU: 4
; NumVGPRsForWavesPerEU: 1
; AccumOffset: 4
; Occupancy: 8
; WaveLimiterHint : 0
; COMPUTE_PGM_RSRC2:SCRATCH_EN: 0
; COMPUTE_PGM_RSRC2:USER_SGPR: 6
; COMPUTE_PGM_RSRC2:TRAP_HANDLER: 0
; COMPUTE_PGM_RSRC2:TGID_X_EN: 1
; COMPUTE_PGM_RSRC2:TGID_Y_EN: 0
; COMPUTE_PGM_RSRC2:TGID_Z_EN: 0
; COMPUTE_PGM_RSRC2:TIDIG_COMP_CNT: 0
; COMPUTE_PGM_RSRC3_GFX90A:ACCUM_OFFSET: 0
; COMPUTE_PGM_RSRC3_GFX90A:TG_SPLIT: 0
	.section	.text._ZN7rocprim17ROCPRIM_400000_NS6detail17trampoline_kernelINS0_14default_configENS1_25transform_config_selectorIaLb0EEEZNS1_14transform_implILb0ES3_S5_NS0_18transform_iteratorINS0_17counting_iteratorImlEEZNS1_24adjacent_difference_implIS3_Lb1ELb0EPaSB_N6thrust23THRUST_200600_302600_NS4plusIaEEEE10hipError_tPvRmT2_T3_mT4_P12ihipStream_tbEUlmE_aEESB_NS0_8identityIvEEEESG_SJ_SK_mSL_SN_bEUlT_E_NS1_11comp_targetILNS1_3genE0ELNS1_11target_archE4294967295ELNS1_3gpuE0ELNS1_3repE0EEENS1_30default_config_static_selectorELNS0_4arch9wavefront6targetE1EEEvT1_,"axG",@progbits,_ZN7rocprim17ROCPRIM_400000_NS6detail17trampoline_kernelINS0_14default_configENS1_25transform_config_selectorIaLb0EEEZNS1_14transform_implILb0ES3_S5_NS0_18transform_iteratorINS0_17counting_iteratorImlEEZNS1_24adjacent_difference_implIS3_Lb1ELb0EPaSB_N6thrust23THRUST_200600_302600_NS4plusIaEEEE10hipError_tPvRmT2_T3_mT4_P12ihipStream_tbEUlmE_aEESB_NS0_8identityIvEEEESG_SJ_SK_mSL_SN_bEUlT_E_NS1_11comp_targetILNS1_3genE0ELNS1_11target_archE4294967295ELNS1_3gpuE0ELNS1_3repE0EEENS1_30default_config_static_selectorELNS0_4arch9wavefront6targetE1EEEvT1_,comdat
	.protected	_ZN7rocprim17ROCPRIM_400000_NS6detail17trampoline_kernelINS0_14default_configENS1_25transform_config_selectorIaLb0EEEZNS1_14transform_implILb0ES3_S5_NS0_18transform_iteratorINS0_17counting_iteratorImlEEZNS1_24adjacent_difference_implIS3_Lb1ELb0EPaSB_N6thrust23THRUST_200600_302600_NS4plusIaEEEE10hipError_tPvRmT2_T3_mT4_P12ihipStream_tbEUlmE_aEESB_NS0_8identityIvEEEESG_SJ_SK_mSL_SN_bEUlT_E_NS1_11comp_targetILNS1_3genE0ELNS1_11target_archE4294967295ELNS1_3gpuE0ELNS1_3repE0EEENS1_30default_config_static_selectorELNS0_4arch9wavefront6targetE1EEEvT1_ ; -- Begin function _ZN7rocprim17ROCPRIM_400000_NS6detail17trampoline_kernelINS0_14default_configENS1_25transform_config_selectorIaLb0EEEZNS1_14transform_implILb0ES3_S5_NS0_18transform_iteratorINS0_17counting_iteratorImlEEZNS1_24adjacent_difference_implIS3_Lb1ELb0EPaSB_N6thrust23THRUST_200600_302600_NS4plusIaEEEE10hipError_tPvRmT2_T3_mT4_P12ihipStream_tbEUlmE_aEESB_NS0_8identityIvEEEESG_SJ_SK_mSL_SN_bEUlT_E_NS1_11comp_targetILNS1_3genE0ELNS1_11target_archE4294967295ELNS1_3gpuE0ELNS1_3repE0EEENS1_30default_config_static_selectorELNS0_4arch9wavefront6targetE1EEEvT1_
	.globl	_ZN7rocprim17ROCPRIM_400000_NS6detail17trampoline_kernelINS0_14default_configENS1_25transform_config_selectorIaLb0EEEZNS1_14transform_implILb0ES3_S5_NS0_18transform_iteratorINS0_17counting_iteratorImlEEZNS1_24adjacent_difference_implIS3_Lb1ELb0EPaSB_N6thrust23THRUST_200600_302600_NS4plusIaEEEE10hipError_tPvRmT2_T3_mT4_P12ihipStream_tbEUlmE_aEESB_NS0_8identityIvEEEESG_SJ_SK_mSL_SN_bEUlT_E_NS1_11comp_targetILNS1_3genE0ELNS1_11target_archE4294967295ELNS1_3gpuE0ELNS1_3repE0EEENS1_30default_config_static_selectorELNS0_4arch9wavefront6targetE1EEEvT1_
	.p2align	8
	.type	_ZN7rocprim17ROCPRIM_400000_NS6detail17trampoline_kernelINS0_14default_configENS1_25transform_config_selectorIaLb0EEEZNS1_14transform_implILb0ES3_S5_NS0_18transform_iteratorINS0_17counting_iteratorImlEEZNS1_24adjacent_difference_implIS3_Lb1ELb0EPaSB_N6thrust23THRUST_200600_302600_NS4plusIaEEEE10hipError_tPvRmT2_T3_mT4_P12ihipStream_tbEUlmE_aEESB_NS0_8identityIvEEEESG_SJ_SK_mSL_SN_bEUlT_E_NS1_11comp_targetILNS1_3genE0ELNS1_11target_archE4294967295ELNS1_3gpuE0ELNS1_3repE0EEENS1_30default_config_static_selectorELNS0_4arch9wavefront6targetE1EEEvT1_,@function
_ZN7rocprim17ROCPRIM_400000_NS6detail17trampoline_kernelINS0_14default_configENS1_25transform_config_selectorIaLb0EEEZNS1_14transform_implILb0ES3_S5_NS0_18transform_iteratorINS0_17counting_iteratorImlEEZNS1_24adjacent_difference_implIS3_Lb1ELb0EPaSB_N6thrust23THRUST_200600_302600_NS4plusIaEEEE10hipError_tPvRmT2_T3_mT4_P12ihipStream_tbEUlmE_aEESB_NS0_8identityIvEEEESG_SJ_SK_mSL_SN_bEUlT_E_NS1_11comp_targetILNS1_3genE0ELNS1_11target_archE4294967295ELNS1_3gpuE0ELNS1_3repE0EEENS1_30default_config_static_selectorELNS0_4arch9wavefront6targetE1EEEvT1_: ; @_ZN7rocprim17ROCPRIM_400000_NS6detail17trampoline_kernelINS0_14default_configENS1_25transform_config_selectorIaLb0EEEZNS1_14transform_implILb0ES3_S5_NS0_18transform_iteratorINS0_17counting_iteratorImlEEZNS1_24adjacent_difference_implIS3_Lb1ELb0EPaSB_N6thrust23THRUST_200600_302600_NS4plusIaEEEE10hipError_tPvRmT2_T3_mT4_P12ihipStream_tbEUlmE_aEESB_NS0_8identityIvEEEESG_SJ_SK_mSL_SN_bEUlT_E_NS1_11comp_targetILNS1_3genE0ELNS1_11target_archE4294967295ELNS1_3gpuE0ELNS1_3repE0EEENS1_30default_config_static_selectorELNS0_4arch9wavefront6targetE1EEEvT1_
; %bb.0:
	.section	.rodata,"a",@progbits
	.p2align	6, 0x0
	.amdhsa_kernel _ZN7rocprim17ROCPRIM_400000_NS6detail17trampoline_kernelINS0_14default_configENS1_25transform_config_selectorIaLb0EEEZNS1_14transform_implILb0ES3_S5_NS0_18transform_iteratorINS0_17counting_iteratorImlEEZNS1_24adjacent_difference_implIS3_Lb1ELb0EPaSB_N6thrust23THRUST_200600_302600_NS4plusIaEEEE10hipError_tPvRmT2_T3_mT4_P12ihipStream_tbEUlmE_aEESB_NS0_8identityIvEEEESG_SJ_SK_mSL_SN_bEUlT_E_NS1_11comp_targetILNS1_3genE0ELNS1_11target_archE4294967295ELNS1_3gpuE0ELNS1_3repE0EEENS1_30default_config_static_selectorELNS0_4arch9wavefront6targetE1EEEvT1_
		.amdhsa_group_segment_fixed_size 0
		.amdhsa_private_segment_fixed_size 0
		.amdhsa_kernarg_size 56
		.amdhsa_user_sgpr_count 6
		.amdhsa_user_sgpr_private_segment_buffer 1
		.amdhsa_user_sgpr_dispatch_ptr 0
		.amdhsa_user_sgpr_queue_ptr 0
		.amdhsa_user_sgpr_kernarg_segment_ptr 1
		.amdhsa_user_sgpr_dispatch_id 0
		.amdhsa_user_sgpr_flat_scratch_init 0
		.amdhsa_user_sgpr_kernarg_preload_length 0
		.amdhsa_user_sgpr_kernarg_preload_offset 0
		.amdhsa_user_sgpr_private_segment_size 0
		.amdhsa_uses_dynamic_stack 0
		.amdhsa_system_sgpr_private_segment_wavefront_offset 0
		.amdhsa_system_sgpr_workgroup_id_x 1
		.amdhsa_system_sgpr_workgroup_id_y 0
		.amdhsa_system_sgpr_workgroup_id_z 0
		.amdhsa_system_sgpr_workgroup_info 0
		.amdhsa_system_vgpr_workitem_id 0
		.amdhsa_next_free_vgpr 1
		.amdhsa_next_free_sgpr 0
		.amdhsa_accum_offset 4
		.amdhsa_reserve_vcc 0
		.amdhsa_reserve_flat_scratch 0
		.amdhsa_float_round_mode_32 0
		.amdhsa_float_round_mode_16_64 0
		.amdhsa_float_denorm_mode_32 3
		.amdhsa_float_denorm_mode_16_64 3
		.amdhsa_dx10_clamp 1
		.amdhsa_ieee_mode 1
		.amdhsa_fp16_overflow 0
		.amdhsa_tg_split 0
		.amdhsa_exception_fp_ieee_invalid_op 0
		.amdhsa_exception_fp_denorm_src 0
		.amdhsa_exception_fp_ieee_div_zero 0
		.amdhsa_exception_fp_ieee_overflow 0
		.amdhsa_exception_fp_ieee_underflow 0
		.amdhsa_exception_fp_ieee_inexact 0
		.amdhsa_exception_int_div_zero 0
	.end_amdhsa_kernel
	.section	.text._ZN7rocprim17ROCPRIM_400000_NS6detail17trampoline_kernelINS0_14default_configENS1_25transform_config_selectorIaLb0EEEZNS1_14transform_implILb0ES3_S5_NS0_18transform_iteratorINS0_17counting_iteratorImlEEZNS1_24adjacent_difference_implIS3_Lb1ELb0EPaSB_N6thrust23THRUST_200600_302600_NS4plusIaEEEE10hipError_tPvRmT2_T3_mT4_P12ihipStream_tbEUlmE_aEESB_NS0_8identityIvEEEESG_SJ_SK_mSL_SN_bEUlT_E_NS1_11comp_targetILNS1_3genE0ELNS1_11target_archE4294967295ELNS1_3gpuE0ELNS1_3repE0EEENS1_30default_config_static_selectorELNS0_4arch9wavefront6targetE1EEEvT1_,"axG",@progbits,_ZN7rocprim17ROCPRIM_400000_NS6detail17trampoline_kernelINS0_14default_configENS1_25transform_config_selectorIaLb0EEEZNS1_14transform_implILb0ES3_S5_NS0_18transform_iteratorINS0_17counting_iteratorImlEEZNS1_24adjacent_difference_implIS3_Lb1ELb0EPaSB_N6thrust23THRUST_200600_302600_NS4plusIaEEEE10hipError_tPvRmT2_T3_mT4_P12ihipStream_tbEUlmE_aEESB_NS0_8identityIvEEEESG_SJ_SK_mSL_SN_bEUlT_E_NS1_11comp_targetILNS1_3genE0ELNS1_11target_archE4294967295ELNS1_3gpuE0ELNS1_3repE0EEENS1_30default_config_static_selectorELNS0_4arch9wavefront6targetE1EEEvT1_,comdat
.Lfunc_end34:
	.size	_ZN7rocprim17ROCPRIM_400000_NS6detail17trampoline_kernelINS0_14default_configENS1_25transform_config_selectorIaLb0EEEZNS1_14transform_implILb0ES3_S5_NS0_18transform_iteratorINS0_17counting_iteratorImlEEZNS1_24adjacent_difference_implIS3_Lb1ELb0EPaSB_N6thrust23THRUST_200600_302600_NS4plusIaEEEE10hipError_tPvRmT2_T3_mT4_P12ihipStream_tbEUlmE_aEESB_NS0_8identityIvEEEESG_SJ_SK_mSL_SN_bEUlT_E_NS1_11comp_targetILNS1_3genE0ELNS1_11target_archE4294967295ELNS1_3gpuE0ELNS1_3repE0EEENS1_30default_config_static_selectorELNS0_4arch9wavefront6targetE1EEEvT1_, .Lfunc_end34-_ZN7rocprim17ROCPRIM_400000_NS6detail17trampoline_kernelINS0_14default_configENS1_25transform_config_selectorIaLb0EEEZNS1_14transform_implILb0ES3_S5_NS0_18transform_iteratorINS0_17counting_iteratorImlEEZNS1_24adjacent_difference_implIS3_Lb1ELb0EPaSB_N6thrust23THRUST_200600_302600_NS4plusIaEEEE10hipError_tPvRmT2_T3_mT4_P12ihipStream_tbEUlmE_aEESB_NS0_8identityIvEEEESG_SJ_SK_mSL_SN_bEUlT_E_NS1_11comp_targetILNS1_3genE0ELNS1_11target_archE4294967295ELNS1_3gpuE0ELNS1_3repE0EEENS1_30default_config_static_selectorELNS0_4arch9wavefront6targetE1EEEvT1_
                                        ; -- End function
	.section	.AMDGPU.csdata,"",@progbits
; Kernel info:
; codeLenInByte = 0
; NumSgprs: 4
; NumVgprs: 0
; NumAgprs: 0
; TotalNumVgprs: 0
; ScratchSize: 0
; MemoryBound: 0
; FloatMode: 240
; IeeeMode: 1
; LDSByteSize: 0 bytes/workgroup (compile time only)
; SGPRBlocks: 0
; VGPRBlocks: 0
; NumSGPRsForWavesPerEU: 4
; NumVGPRsForWavesPerEU: 1
; AccumOffset: 4
; Occupancy: 8
; WaveLimiterHint : 0
; COMPUTE_PGM_RSRC2:SCRATCH_EN: 0
; COMPUTE_PGM_RSRC2:USER_SGPR: 6
; COMPUTE_PGM_RSRC2:TRAP_HANDLER: 0
; COMPUTE_PGM_RSRC2:TGID_X_EN: 1
; COMPUTE_PGM_RSRC2:TGID_Y_EN: 0
; COMPUTE_PGM_RSRC2:TGID_Z_EN: 0
; COMPUTE_PGM_RSRC2:TIDIG_COMP_CNT: 0
; COMPUTE_PGM_RSRC3_GFX90A:ACCUM_OFFSET: 0
; COMPUTE_PGM_RSRC3_GFX90A:TG_SPLIT: 0
	.section	.text._ZN7rocprim17ROCPRIM_400000_NS6detail17trampoline_kernelINS0_14default_configENS1_25transform_config_selectorIaLb0EEEZNS1_14transform_implILb0ES3_S5_NS0_18transform_iteratorINS0_17counting_iteratorImlEEZNS1_24adjacent_difference_implIS3_Lb1ELb0EPaSB_N6thrust23THRUST_200600_302600_NS4plusIaEEEE10hipError_tPvRmT2_T3_mT4_P12ihipStream_tbEUlmE_aEESB_NS0_8identityIvEEEESG_SJ_SK_mSL_SN_bEUlT_E_NS1_11comp_targetILNS1_3genE5ELNS1_11target_archE942ELNS1_3gpuE9ELNS1_3repE0EEENS1_30default_config_static_selectorELNS0_4arch9wavefront6targetE1EEEvT1_,"axG",@progbits,_ZN7rocprim17ROCPRIM_400000_NS6detail17trampoline_kernelINS0_14default_configENS1_25transform_config_selectorIaLb0EEEZNS1_14transform_implILb0ES3_S5_NS0_18transform_iteratorINS0_17counting_iteratorImlEEZNS1_24adjacent_difference_implIS3_Lb1ELb0EPaSB_N6thrust23THRUST_200600_302600_NS4plusIaEEEE10hipError_tPvRmT2_T3_mT4_P12ihipStream_tbEUlmE_aEESB_NS0_8identityIvEEEESG_SJ_SK_mSL_SN_bEUlT_E_NS1_11comp_targetILNS1_3genE5ELNS1_11target_archE942ELNS1_3gpuE9ELNS1_3repE0EEENS1_30default_config_static_selectorELNS0_4arch9wavefront6targetE1EEEvT1_,comdat
	.protected	_ZN7rocprim17ROCPRIM_400000_NS6detail17trampoline_kernelINS0_14default_configENS1_25transform_config_selectorIaLb0EEEZNS1_14transform_implILb0ES3_S5_NS0_18transform_iteratorINS0_17counting_iteratorImlEEZNS1_24adjacent_difference_implIS3_Lb1ELb0EPaSB_N6thrust23THRUST_200600_302600_NS4plusIaEEEE10hipError_tPvRmT2_T3_mT4_P12ihipStream_tbEUlmE_aEESB_NS0_8identityIvEEEESG_SJ_SK_mSL_SN_bEUlT_E_NS1_11comp_targetILNS1_3genE5ELNS1_11target_archE942ELNS1_3gpuE9ELNS1_3repE0EEENS1_30default_config_static_selectorELNS0_4arch9wavefront6targetE1EEEvT1_ ; -- Begin function _ZN7rocprim17ROCPRIM_400000_NS6detail17trampoline_kernelINS0_14default_configENS1_25transform_config_selectorIaLb0EEEZNS1_14transform_implILb0ES3_S5_NS0_18transform_iteratorINS0_17counting_iteratorImlEEZNS1_24adjacent_difference_implIS3_Lb1ELb0EPaSB_N6thrust23THRUST_200600_302600_NS4plusIaEEEE10hipError_tPvRmT2_T3_mT4_P12ihipStream_tbEUlmE_aEESB_NS0_8identityIvEEEESG_SJ_SK_mSL_SN_bEUlT_E_NS1_11comp_targetILNS1_3genE5ELNS1_11target_archE942ELNS1_3gpuE9ELNS1_3repE0EEENS1_30default_config_static_selectorELNS0_4arch9wavefront6targetE1EEEvT1_
	.globl	_ZN7rocprim17ROCPRIM_400000_NS6detail17trampoline_kernelINS0_14default_configENS1_25transform_config_selectorIaLb0EEEZNS1_14transform_implILb0ES3_S5_NS0_18transform_iteratorINS0_17counting_iteratorImlEEZNS1_24adjacent_difference_implIS3_Lb1ELb0EPaSB_N6thrust23THRUST_200600_302600_NS4plusIaEEEE10hipError_tPvRmT2_T3_mT4_P12ihipStream_tbEUlmE_aEESB_NS0_8identityIvEEEESG_SJ_SK_mSL_SN_bEUlT_E_NS1_11comp_targetILNS1_3genE5ELNS1_11target_archE942ELNS1_3gpuE9ELNS1_3repE0EEENS1_30default_config_static_selectorELNS0_4arch9wavefront6targetE1EEEvT1_
	.p2align	8
	.type	_ZN7rocprim17ROCPRIM_400000_NS6detail17trampoline_kernelINS0_14default_configENS1_25transform_config_selectorIaLb0EEEZNS1_14transform_implILb0ES3_S5_NS0_18transform_iteratorINS0_17counting_iteratorImlEEZNS1_24adjacent_difference_implIS3_Lb1ELb0EPaSB_N6thrust23THRUST_200600_302600_NS4plusIaEEEE10hipError_tPvRmT2_T3_mT4_P12ihipStream_tbEUlmE_aEESB_NS0_8identityIvEEEESG_SJ_SK_mSL_SN_bEUlT_E_NS1_11comp_targetILNS1_3genE5ELNS1_11target_archE942ELNS1_3gpuE9ELNS1_3repE0EEENS1_30default_config_static_selectorELNS0_4arch9wavefront6targetE1EEEvT1_,@function
_ZN7rocprim17ROCPRIM_400000_NS6detail17trampoline_kernelINS0_14default_configENS1_25transform_config_selectorIaLb0EEEZNS1_14transform_implILb0ES3_S5_NS0_18transform_iteratorINS0_17counting_iteratorImlEEZNS1_24adjacent_difference_implIS3_Lb1ELb0EPaSB_N6thrust23THRUST_200600_302600_NS4plusIaEEEE10hipError_tPvRmT2_T3_mT4_P12ihipStream_tbEUlmE_aEESB_NS0_8identityIvEEEESG_SJ_SK_mSL_SN_bEUlT_E_NS1_11comp_targetILNS1_3genE5ELNS1_11target_archE942ELNS1_3gpuE9ELNS1_3repE0EEENS1_30default_config_static_selectorELNS0_4arch9wavefront6targetE1EEEvT1_: ; @_ZN7rocprim17ROCPRIM_400000_NS6detail17trampoline_kernelINS0_14default_configENS1_25transform_config_selectorIaLb0EEEZNS1_14transform_implILb0ES3_S5_NS0_18transform_iteratorINS0_17counting_iteratorImlEEZNS1_24adjacent_difference_implIS3_Lb1ELb0EPaSB_N6thrust23THRUST_200600_302600_NS4plusIaEEEE10hipError_tPvRmT2_T3_mT4_P12ihipStream_tbEUlmE_aEESB_NS0_8identityIvEEEESG_SJ_SK_mSL_SN_bEUlT_E_NS1_11comp_targetILNS1_3genE5ELNS1_11target_archE942ELNS1_3gpuE9ELNS1_3repE0EEENS1_30default_config_static_selectorELNS0_4arch9wavefront6targetE1EEEvT1_
; %bb.0:
	.section	.rodata,"a",@progbits
	.p2align	6, 0x0
	.amdhsa_kernel _ZN7rocprim17ROCPRIM_400000_NS6detail17trampoline_kernelINS0_14default_configENS1_25transform_config_selectorIaLb0EEEZNS1_14transform_implILb0ES3_S5_NS0_18transform_iteratorINS0_17counting_iteratorImlEEZNS1_24adjacent_difference_implIS3_Lb1ELb0EPaSB_N6thrust23THRUST_200600_302600_NS4plusIaEEEE10hipError_tPvRmT2_T3_mT4_P12ihipStream_tbEUlmE_aEESB_NS0_8identityIvEEEESG_SJ_SK_mSL_SN_bEUlT_E_NS1_11comp_targetILNS1_3genE5ELNS1_11target_archE942ELNS1_3gpuE9ELNS1_3repE0EEENS1_30default_config_static_selectorELNS0_4arch9wavefront6targetE1EEEvT1_
		.amdhsa_group_segment_fixed_size 0
		.amdhsa_private_segment_fixed_size 0
		.amdhsa_kernarg_size 56
		.amdhsa_user_sgpr_count 6
		.amdhsa_user_sgpr_private_segment_buffer 1
		.amdhsa_user_sgpr_dispatch_ptr 0
		.amdhsa_user_sgpr_queue_ptr 0
		.amdhsa_user_sgpr_kernarg_segment_ptr 1
		.amdhsa_user_sgpr_dispatch_id 0
		.amdhsa_user_sgpr_flat_scratch_init 0
		.amdhsa_user_sgpr_kernarg_preload_length 0
		.amdhsa_user_sgpr_kernarg_preload_offset 0
		.amdhsa_user_sgpr_private_segment_size 0
		.amdhsa_uses_dynamic_stack 0
		.amdhsa_system_sgpr_private_segment_wavefront_offset 0
		.amdhsa_system_sgpr_workgroup_id_x 1
		.amdhsa_system_sgpr_workgroup_id_y 0
		.amdhsa_system_sgpr_workgroup_id_z 0
		.amdhsa_system_sgpr_workgroup_info 0
		.amdhsa_system_vgpr_workitem_id 0
		.amdhsa_next_free_vgpr 1
		.amdhsa_next_free_sgpr 0
		.amdhsa_accum_offset 4
		.amdhsa_reserve_vcc 0
		.amdhsa_reserve_flat_scratch 0
		.amdhsa_float_round_mode_32 0
		.amdhsa_float_round_mode_16_64 0
		.amdhsa_float_denorm_mode_32 3
		.amdhsa_float_denorm_mode_16_64 3
		.amdhsa_dx10_clamp 1
		.amdhsa_ieee_mode 1
		.amdhsa_fp16_overflow 0
		.amdhsa_tg_split 0
		.amdhsa_exception_fp_ieee_invalid_op 0
		.amdhsa_exception_fp_denorm_src 0
		.amdhsa_exception_fp_ieee_div_zero 0
		.amdhsa_exception_fp_ieee_overflow 0
		.amdhsa_exception_fp_ieee_underflow 0
		.amdhsa_exception_fp_ieee_inexact 0
		.amdhsa_exception_int_div_zero 0
	.end_amdhsa_kernel
	.section	.text._ZN7rocprim17ROCPRIM_400000_NS6detail17trampoline_kernelINS0_14default_configENS1_25transform_config_selectorIaLb0EEEZNS1_14transform_implILb0ES3_S5_NS0_18transform_iteratorINS0_17counting_iteratorImlEEZNS1_24adjacent_difference_implIS3_Lb1ELb0EPaSB_N6thrust23THRUST_200600_302600_NS4plusIaEEEE10hipError_tPvRmT2_T3_mT4_P12ihipStream_tbEUlmE_aEESB_NS0_8identityIvEEEESG_SJ_SK_mSL_SN_bEUlT_E_NS1_11comp_targetILNS1_3genE5ELNS1_11target_archE942ELNS1_3gpuE9ELNS1_3repE0EEENS1_30default_config_static_selectorELNS0_4arch9wavefront6targetE1EEEvT1_,"axG",@progbits,_ZN7rocprim17ROCPRIM_400000_NS6detail17trampoline_kernelINS0_14default_configENS1_25transform_config_selectorIaLb0EEEZNS1_14transform_implILb0ES3_S5_NS0_18transform_iteratorINS0_17counting_iteratorImlEEZNS1_24adjacent_difference_implIS3_Lb1ELb0EPaSB_N6thrust23THRUST_200600_302600_NS4plusIaEEEE10hipError_tPvRmT2_T3_mT4_P12ihipStream_tbEUlmE_aEESB_NS0_8identityIvEEEESG_SJ_SK_mSL_SN_bEUlT_E_NS1_11comp_targetILNS1_3genE5ELNS1_11target_archE942ELNS1_3gpuE9ELNS1_3repE0EEENS1_30default_config_static_selectorELNS0_4arch9wavefront6targetE1EEEvT1_,comdat
.Lfunc_end35:
	.size	_ZN7rocprim17ROCPRIM_400000_NS6detail17trampoline_kernelINS0_14default_configENS1_25transform_config_selectorIaLb0EEEZNS1_14transform_implILb0ES3_S5_NS0_18transform_iteratorINS0_17counting_iteratorImlEEZNS1_24adjacent_difference_implIS3_Lb1ELb0EPaSB_N6thrust23THRUST_200600_302600_NS4plusIaEEEE10hipError_tPvRmT2_T3_mT4_P12ihipStream_tbEUlmE_aEESB_NS0_8identityIvEEEESG_SJ_SK_mSL_SN_bEUlT_E_NS1_11comp_targetILNS1_3genE5ELNS1_11target_archE942ELNS1_3gpuE9ELNS1_3repE0EEENS1_30default_config_static_selectorELNS0_4arch9wavefront6targetE1EEEvT1_, .Lfunc_end35-_ZN7rocprim17ROCPRIM_400000_NS6detail17trampoline_kernelINS0_14default_configENS1_25transform_config_selectorIaLb0EEEZNS1_14transform_implILb0ES3_S5_NS0_18transform_iteratorINS0_17counting_iteratorImlEEZNS1_24adjacent_difference_implIS3_Lb1ELb0EPaSB_N6thrust23THRUST_200600_302600_NS4plusIaEEEE10hipError_tPvRmT2_T3_mT4_P12ihipStream_tbEUlmE_aEESB_NS0_8identityIvEEEESG_SJ_SK_mSL_SN_bEUlT_E_NS1_11comp_targetILNS1_3genE5ELNS1_11target_archE942ELNS1_3gpuE9ELNS1_3repE0EEENS1_30default_config_static_selectorELNS0_4arch9wavefront6targetE1EEEvT1_
                                        ; -- End function
	.section	.AMDGPU.csdata,"",@progbits
; Kernel info:
; codeLenInByte = 0
; NumSgprs: 4
; NumVgprs: 0
; NumAgprs: 0
; TotalNumVgprs: 0
; ScratchSize: 0
; MemoryBound: 0
; FloatMode: 240
; IeeeMode: 1
; LDSByteSize: 0 bytes/workgroup (compile time only)
; SGPRBlocks: 0
; VGPRBlocks: 0
; NumSGPRsForWavesPerEU: 4
; NumVGPRsForWavesPerEU: 1
; AccumOffset: 4
; Occupancy: 8
; WaveLimiterHint : 0
; COMPUTE_PGM_RSRC2:SCRATCH_EN: 0
; COMPUTE_PGM_RSRC2:USER_SGPR: 6
; COMPUTE_PGM_RSRC2:TRAP_HANDLER: 0
; COMPUTE_PGM_RSRC2:TGID_X_EN: 1
; COMPUTE_PGM_RSRC2:TGID_Y_EN: 0
; COMPUTE_PGM_RSRC2:TGID_Z_EN: 0
; COMPUTE_PGM_RSRC2:TIDIG_COMP_CNT: 0
; COMPUTE_PGM_RSRC3_GFX90A:ACCUM_OFFSET: 0
; COMPUTE_PGM_RSRC3_GFX90A:TG_SPLIT: 0
	.section	.text._ZN7rocprim17ROCPRIM_400000_NS6detail17trampoline_kernelINS0_14default_configENS1_25transform_config_selectorIaLb0EEEZNS1_14transform_implILb0ES3_S5_NS0_18transform_iteratorINS0_17counting_iteratorImlEEZNS1_24adjacent_difference_implIS3_Lb1ELb0EPaSB_N6thrust23THRUST_200600_302600_NS4plusIaEEEE10hipError_tPvRmT2_T3_mT4_P12ihipStream_tbEUlmE_aEESB_NS0_8identityIvEEEESG_SJ_SK_mSL_SN_bEUlT_E_NS1_11comp_targetILNS1_3genE4ELNS1_11target_archE910ELNS1_3gpuE8ELNS1_3repE0EEENS1_30default_config_static_selectorELNS0_4arch9wavefront6targetE1EEEvT1_,"axG",@progbits,_ZN7rocprim17ROCPRIM_400000_NS6detail17trampoline_kernelINS0_14default_configENS1_25transform_config_selectorIaLb0EEEZNS1_14transform_implILb0ES3_S5_NS0_18transform_iteratorINS0_17counting_iteratorImlEEZNS1_24adjacent_difference_implIS3_Lb1ELb0EPaSB_N6thrust23THRUST_200600_302600_NS4plusIaEEEE10hipError_tPvRmT2_T3_mT4_P12ihipStream_tbEUlmE_aEESB_NS0_8identityIvEEEESG_SJ_SK_mSL_SN_bEUlT_E_NS1_11comp_targetILNS1_3genE4ELNS1_11target_archE910ELNS1_3gpuE8ELNS1_3repE0EEENS1_30default_config_static_selectorELNS0_4arch9wavefront6targetE1EEEvT1_,comdat
	.protected	_ZN7rocprim17ROCPRIM_400000_NS6detail17trampoline_kernelINS0_14default_configENS1_25transform_config_selectorIaLb0EEEZNS1_14transform_implILb0ES3_S5_NS0_18transform_iteratorINS0_17counting_iteratorImlEEZNS1_24adjacent_difference_implIS3_Lb1ELb0EPaSB_N6thrust23THRUST_200600_302600_NS4plusIaEEEE10hipError_tPvRmT2_T3_mT4_P12ihipStream_tbEUlmE_aEESB_NS0_8identityIvEEEESG_SJ_SK_mSL_SN_bEUlT_E_NS1_11comp_targetILNS1_3genE4ELNS1_11target_archE910ELNS1_3gpuE8ELNS1_3repE0EEENS1_30default_config_static_selectorELNS0_4arch9wavefront6targetE1EEEvT1_ ; -- Begin function _ZN7rocprim17ROCPRIM_400000_NS6detail17trampoline_kernelINS0_14default_configENS1_25transform_config_selectorIaLb0EEEZNS1_14transform_implILb0ES3_S5_NS0_18transform_iteratorINS0_17counting_iteratorImlEEZNS1_24adjacent_difference_implIS3_Lb1ELb0EPaSB_N6thrust23THRUST_200600_302600_NS4plusIaEEEE10hipError_tPvRmT2_T3_mT4_P12ihipStream_tbEUlmE_aEESB_NS0_8identityIvEEEESG_SJ_SK_mSL_SN_bEUlT_E_NS1_11comp_targetILNS1_3genE4ELNS1_11target_archE910ELNS1_3gpuE8ELNS1_3repE0EEENS1_30default_config_static_selectorELNS0_4arch9wavefront6targetE1EEEvT1_
	.globl	_ZN7rocprim17ROCPRIM_400000_NS6detail17trampoline_kernelINS0_14default_configENS1_25transform_config_selectorIaLb0EEEZNS1_14transform_implILb0ES3_S5_NS0_18transform_iteratorINS0_17counting_iteratorImlEEZNS1_24adjacent_difference_implIS3_Lb1ELb0EPaSB_N6thrust23THRUST_200600_302600_NS4plusIaEEEE10hipError_tPvRmT2_T3_mT4_P12ihipStream_tbEUlmE_aEESB_NS0_8identityIvEEEESG_SJ_SK_mSL_SN_bEUlT_E_NS1_11comp_targetILNS1_3genE4ELNS1_11target_archE910ELNS1_3gpuE8ELNS1_3repE0EEENS1_30default_config_static_selectorELNS0_4arch9wavefront6targetE1EEEvT1_
	.p2align	8
	.type	_ZN7rocprim17ROCPRIM_400000_NS6detail17trampoline_kernelINS0_14default_configENS1_25transform_config_selectorIaLb0EEEZNS1_14transform_implILb0ES3_S5_NS0_18transform_iteratorINS0_17counting_iteratorImlEEZNS1_24adjacent_difference_implIS3_Lb1ELb0EPaSB_N6thrust23THRUST_200600_302600_NS4plusIaEEEE10hipError_tPvRmT2_T3_mT4_P12ihipStream_tbEUlmE_aEESB_NS0_8identityIvEEEESG_SJ_SK_mSL_SN_bEUlT_E_NS1_11comp_targetILNS1_3genE4ELNS1_11target_archE910ELNS1_3gpuE8ELNS1_3repE0EEENS1_30default_config_static_selectorELNS0_4arch9wavefront6targetE1EEEvT1_,@function
_ZN7rocprim17ROCPRIM_400000_NS6detail17trampoline_kernelINS0_14default_configENS1_25transform_config_selectorIaLb0EEEZNS1_14transform_implILb0ES3_S5_NS0_18transform_iteratorINS0_17counting_iteratorImlEEZNS1_24adjacent_difference_implIS3_Lb1ELb0EPaSB_N6thrust23THRUST_200600_302600_NS4plusIaEEEE10hipError_tPvRmT2_T3_mT4_P12ihipStream_tbEUlmE_aEESB_NS0_8identityIvEEEESG_SJ_SK_mSL_SN_bEUlT_E_NS1_11comp_targetILNS1_3genE4ELNS1_11target_archE910ELNS1_3gpuE8ELNS1_3repE0EEENS1_30default_config_static_selectorELNS0_4arch9wavefront6targetE1EEEvT1_: ; @_ZN7rocprim17ROCPRIM_400000_NS6detail17trampoline_kernelINS0_14default_configENS1_25transform_config_selectorIaLb0EEEZNS1_14transform_implILb0ES3_S5_NS0_18transform_iteratorINS0_17counting_iteratorImlEEZNS1_24adjacent_difference_implIS3_Lb1ELb0EPaSB_N6thrust23THRUST_200600_302600_NS4plusIaEEEE10hipError_tPvRmT2_T3_mT4_P12ihipStream_tbEUlmE_aEESB_NS0_8identityIvEEEESG_SJ_SK_mSL_SN_bEUlT_E_NS1_11comp_targetILNS1_3genE4ELNS1_11target_archE910ELNS1_3gpuE8ELNS1_3repE0EEENS1_30default_config_static_selectorELNS0_4arch9wavefront6targetE1EEEvT1_
; %bb.0:
	s_load_dwordx4 s[0:3], s[4:5], 0x18
	s_load_dwordx2 s[8:9], s[4:5], 0x28
	s_waitcnt lgkmcnt(0)
	s_load_dword s3, s[4:5], 0x38
	s_load_dwordx4 s[36:39], s[4:5], 0x0
	s_load_dword s40, s[4:5], 0x10
	s_mov_b32 s41, 0
	s_add_u32 s33, s8, s0
	s_addc_u32 s42, s9, s1
	s_lshl_b32 s43, s6, 10
	s_waitcnt lgkmcnt(0)
	s_add_i32 s3, s3, -1
	s_add_u32 s4, s36, s43
	s_addc_u32 s5, s37, 0
	s_add_u32 s44, s4, s0
	s_addc_u32 s45, s5, s1
	s_cmp_lg_u32 s6, s3
	s_cbranch_scc0 .LBB36_2
; %bb.1:
	v_add_co_u32_e32 v4, vcc, s44, v0
	v_pk_mov_b32 v[2:3], s[38:39], s[38:39] op_sel:[0,1]
	v_mov_b32_e32 v1, s45
	v_mad_u64_u32 v[2:3], s[0:1], v4, s40, v[2:3]
	v_addc_co_u32_e32 v1, vcc, 0, v1, vcc
	v_mov_b32_e32 v4, v3
	v_mad_u64_u32 v[4:5], s[0:1], v1, s40, v[4:5]
	v_mov_b32_e32 v3, v4
	s_lshl_b64 s[0:1], s[40:41], 6
	global_load_ubyte v1, v[2:3], off
	v_mov_b32_e32 v10, s1
	v_add_co_u32_e32 v2, vcc, s0, v2
	v_addc_co_u32_e32 v3, vcc, v3, v10, vcc
	v_add_co_u32_e32 v4, vcc, s0, v2
	v_addc_co_u32_e32 v5, vcc, v3, v10, vcc
	;; [unrolled: 2-line block ×4, first 2 shown]
	global_load_ubyte v11, v[2:3], off
	global_load_ubyte v12, v[4:5], off
	;; [unrolled: 1-line block ×4, first 2 shown]
	v_add_co_u32_e32 v2, vcc, s0, v8
	v_addc_co_u32_e32 v3, vcc, v9, v10, vcc
	global_load_ubyte v5, v[2:3], off
	v_add_co_u32_e32 v2, vcc, s0, v2
	v_addc_co_u32_e32 v3, vcc, v3, v10, vcc
	global_load_ubyte v6, v[2:3], off
	;; [unrolled: 3-line block ×11, first 2 shown]
	s_add_u32 s0, s33, s43
	s_addc_u32 s1, s42, 0
	v_mov_b32_e32 v3, s1
	v_add_co_u32_e32 v2, vcc, s0, v0
	v_addc_co_u32_e32 v3, vcc, 0, v3, vcc
	s_mov_b64 s[34:35], -1
	s_waitcnt vmcnt(15)
	global_store_byte v0, v1, s[0:1]
	s_waitcnt vmcnt(15)
	global_store_byte v0, v11, s[0:1] offset:64
	s_waitcnt vmcnt(15)
	global_store_byte v0, v12, s[0:1] offset:128
	;; [unrolled: 2-line block ×14, first 2 shown]
	s_cbranch_execz .LBB36_3
	s_branch .LBB36_68
.LBB36_2:
	s_mov_b64 s[34:35], 0
                                        ; implicit-def: $vgpr4
                                        ; implicit-def: $vgpr2_vgpr3
.LBB36_3:
	s_sub_i32 s36, s2, s43
	v_cmp_gt_u32_e32 vcc, s36, v0
                                        ; implicit-def: $vgpr1
	s_and_saveexec_b64 s[2:3], vcc
	s_cbranch_execz .LBB36_5
; %bb.4:
	v_mov_b32_e32 v1, s45
	s_waitcnt vmcnt(15)
	v_add_co_u32_e64 v4, s[0:1], s44, v0
	v_pk_mov_b32 v[2:3], s[38:39], s[38:39] op_sel:[0,1]
	v_addc_co_u32_e64 v1, s[0:1], 0, v1, s[0:1]
	v_mad_u64_u32 v[2:3], s[0:1], v4, s40, v[2:3]
	v_mov_b32_e32 v4, v3
	v_mad_u64_u32 v[4:5], s[0:1], v1, s40, v[4:5]
	v_mov_b32_e32 v3, v4
	global_load_ubyte v1, v[2:3], off
.LBB36_5:
	s_or_b64 exec, exec, s[2:3]
	v_or_b32_e32 v3, 64, v0
	v_cmp_gt_u32_e64 s[0:1], s36, v3
                                        ; implicit-def: $vgpr2
	s_and_saveexec_b64 s[4:5], s[0:1]
	s_cbranch_execz .LBB36_7
; %bb.6:
	v_mov_b32_e32 v2, s45
	s_waitcnt vmcnt(15)
	v_add_co_u32_e64 v4, s[2:3], s44, v3
	v_addc_co_u32_e64 v5, s[2:3], 0, v2, s[2:3]
	v_pk_mov_b32 v[2:3], s[38:39], s[38:39] op_sel:[0,1]
	v_mad_u64_u32 v[2:3], s[2:3], v4, s40, v[2:3]
	v_mov_b32_e32 v4, v3
	v_mad_u64_u32 v[4:5], s[2:3], v5, s40, v[4:5]
	v_mov_b32_e32 v3, v4
	global_load_ubyte v2, v[2:3], off
.LBB36_7:
	s_or_b64 exec, exec, s[4:5]
	s_waitcnt vmcnt(15)
	v_or_b32_e32 v4, 0x80, v0
	v_cmp_gt_u32_e64 s[2:3], s36, v4
                                        ; implicit-def: $vgpr3
	s_and_saveexec_b64 s[6:7], s[2:3]
	s_cbranch_execz .LBB36_9
; %bb.8:
	v_mov_b32_e32 v3, s45
	v_add_co_u32_e64 v6, s[4:5], s44, v4
	v_pk_mov_b32 v[4:5], s[38:39], s[38:39] op_sel:[0,1]
	v_addc_co_u32_e64 v3, s[4:5], 0, v3, s[4:5]
	v_mad_u64_u32 v[4:5], s[4:5], v6, s40, v[4:5]
	v_mov_b32_e32 v6, v5
	v_mad_u64_u32 v[6:7], s[4:5], v3, s40, v[6:7]
	v_mov_b32_e32 v5, v6
	global_load_ubyte v3, v[4:5], off
.LBB36_9:
	s_or_b64 exec, exec, s[6:7]
	v_or_b32_e32 v5, 0xc0, v0
	v_cmp_gt_u32_e64 s[4:5], s36, v5
                                        ; implicit-def: $vgpr4
	s_and_saveexec_b64 s[8:9], s[4:5]
	s_cbranch_execz .LBB36_11
; %bb.10:
	v_mov_b32_e32 v4, s45
	v_add_co_u32_e64 v6, s[6:7], s44, v5
	v_addc_co_u32_e64 v7, s[6:7], 0, v4, s[6:7]
	v_pk_mov_b32 v[4:5], s[38:39], s[38:39] op_sel:[0,1]
	v_mad_u64_u32 v[4:5], s[6:7], v6, s40, v[4:5]
	v_mov_b32_e32 v6, v5
	v_mad_u64_u32 v[6:7], s[6:7], v7, s40, v[6:7]
	v_mov_b32_e32 v5, v6
	global_load_ubyte v4, v[4:5], off
.LBB36_11:
	s_or_b64 exec, exec, s[8:9]
	v_or_b32_e32 v6, 0x100, v0
	v_cmp_gt_u32_e64 s[6:7], s36, v6
                                        ; implicit-def: $vgpr5
	s_and_saveexec_b64 s[10:11], s[6:7]
	s_cbranch_execz .LBB36_13
; %bb.12:
	v_mov_b32_e32 v5, s45
	v_add_co_u32_e64 v8, s[8:9], s44, v6
	v_pk_mov_b32 v[6:7], s[38:39], s[38:39] op_sel:[0,1]
	v_addc_co_u32_e64 v5, s[8:9], 0, v5, s[8:9]
	v_mad_u64_u32 v[6:7], s[8:9], v8, s40, v[6:7]
	v_mov_b32_e32 v8, v7
	v_mad_u64_u32 v[8:9], s[8:9], v5, s40, v[8:9]
	v_mov_b32_e32 v7, v8
	global_load_ubyte v5, v[6:7], off
.LBB36_13:
	s_or_b64 exec, exec, s[10:11]
	v_or_b32_e32 v7, 0x140, v0
	v_cmp_gt_u32_e64 s[8:9], s36, v7
                                        ; implicit-def: $vgpr6
	s_and_saveexec_b64 s[12:13], s[8:9]
	s_cbranch_execz .LBB36_15
; %bb.14:
	v_mov_b32_e32 v6, s45
	v_add_co_u32_e64 v8, s[10:11], s44, v7
	v_addc_co_u32_e64 v9, s[10:11], 0, v6, s[10:11]
	v_pk_mov_b32 v[6:7], s[38:39], s[38:39] op_sel:[0,1]
	v_mad_u64_u32 v[6:7], s[10:11], v8, s40, v[6:7]
	v_mov_b32_e32 v8, v7
	v_mad_u64_u32 v[8:9], s[10:11], v9, s40, v[8:9]
	v_mov_b32_e32 v7, v8
	global_load_ubyte v6, v[6:7], off
.LBB36_15:
	s_or_b64 exec, exec, s[12:13]
	v_or_b32_e32 v8, 0x180, v0
	v_cmp_gt_u32_e64 s[10:11], s36, v8
                                        ; implicit-def: $vgpr7
	s_and_saveexec_b64 s[14:15], s[10:11]
	s_cbranch_execz .LBB36_17
; %bb.16:
	v_mov_b32_e32 v7, s45
	v_add_co_u32_e64 v10, s[12:13], s44, v8
	v_pk_mov_b32 v[8:9], s[38:39], s[38:39] op_sel:[0,1]
	v_addc_co_u32_e64 v7, s[12:13], 0, v7, s[12:13]
	v_mad_u64_u32 v[8:9], s[12:13], v10, s40, v[8:9]
	v_mov_b32_e32 v10, v9
	v_mad_u64_u32 v[10:11], s[12:13], v7, s40, v[10:11]
	v_mov_b32_e32 v9, v10
	global_load_ubyte v7, v[8:9], off
.LBB36_17:
	s_or_b64 exec, exec, s[14:15]
	v_or_b32_e32 v9, 0x1c0, v0
	v_cmp_gt_u32_e64 s[12:13], s36, v9
                                        ; implicit-def: $vgpr8
	s_and_saveexec_b64 s[16:17], s[12:13]
	s_cbranch_execz .LBB36_19
; %bb.18:
	v_mov_b32_e32 v8, s45
	v_add_co_u32_e64 v10, s[14:15], s44, v9
	v_addc_co_u32_e64 v11, s[14:15], 0, v8, s[14:15]
	v_pk_mov_b32 v[8:9], s[38:39], s[38:39] op_sel:[0,1]
	v_mad_u64_u32 v[8:9], s[14:15], v10, s40, v[8:9]
	v_mov_b32_e32 v10, v9
	v_mad_u64_u32 v[10:11], s[14:15], v11, s40, v[10:11]
	v_mov_b32_e32 v9, v10
	global_load_ubyte v8, v[8:9], off
.LBB36_19:
	s_or_b64 exec, exec, s[16:17]
	v_or_b32_e32 v10, 0x200, v0
	v_cmp_gt_u32_e64 s[14:15], s36, v10
                                        ; implicit-def: $vgpr9
	s_and_saveexec_b64 s[18:19], s[14:15]
	s_cbranch_execz .LBB36_21
; %bb.20:
	v_mov_b32_e32 v9, s45
	v_add_co_u32_e64 v12, s[16:17], s44, v10
	v_pk_mov_b32 v[10:11], s[38:39], s[38:39] op_sel:[0,1]
	v_addc_co_u32_e64 v9, s[16:17], 0, v9, s[16:17]
	v_mad_u64_u32 v[10:11], s[16:17], v12, s40, v[10:11]
	v_mov_b32_e32 v12, v11
	v_mad_u64_u32 v[12:13], s[16:17], v9, s40, v[12:13]
	v_mov_b32_e32 v11, v12
	global_load_ubyte v9, v[10:11], off
.LBB36_21:
	s_or_b64 exec, exec, s[18:19]
	v_or_b32_e32 v11, 0x240, v0
	v_cmp_gt_u32_e64 s[16:17], s36, v11
                                        ; implicit-def: $vgpr10
	s_and_saveexec_b64 s[20:21], s[16:17]
	s_cbranch_execz .LBB36_23
; %bb.22:
	v_mov_b32_e32 v10, s45
	v_add_co_u32_e64 v12, s[18:19], s44, v11
	v_addc_co_u32_e64 v13, s[18:19], 0, v10, s[18:19]
	v_pk_mov_b32 v[10:11], s[38:39], s[38:39] op_sel:[0,1]
	v_mad_u64_u32 v[10:11], s[18:19], v12, s40, v[10:11]
	v_mov_b32_e32 v12, v11
	v_mad_u64_u32 v[12:13], s[18:19], v13, s40, v[12:13]
	v_mov_b32_e32 v11, v12
	global_load_ubyte v10, v[10:11], off
.LBB36_23:
	s_or_b64 exec, exec, s[20:21]
	v_or_b32_e32 v12, 0x280, v0
	v_cmp_gt_u32_e64 s[18:19], s36, v12
                                        ; implicit-def: $vgpr11
	s_and_saveexec_b64 s[22:23], s[18:19]
	s_cbranch_execz .LBB36_25
; %bb.24:
	v_mov_b32_e32 v11, s45
	v_add_co_u32_e64 v14, s[20:21], s44, v12
	v_pk_mov_b32 v[12:13], s[38:39], s[38:39] op_sel:[0,1]
	v_addc_co_u32_e64 v11, s[20:21], 0, v11, s[20:21]
	v_mad_u64_u32 v[12:13], s[20:21], v14, s40, v[12:13]
	v_mov_b32_e32 v14, v13
	v_mad_u64_u32 v[14:15], s[20:21], v11, s40, v[14:15]
	v_mov_b32_e32 v13, v14
	global_load_ubyte v11, v[12:13], off
.LBB36_25:
	s_or_b64 exec, exec, s[22:23]
	v_or_b32_e32 v13, 0x2c0, v0
	v_cmp_gt_u32_e64 s[20:21], s36, v13
                                        ; implicit-def: $vgpr12
	s_and_saveexec_b64 s[24:25], s[20:21]
	s_cbranch_execz .LBB36_27
; %bb.26:
	v_mov_b32_e32 v12, s45
	v_add_co_u32_e64 v14, s[22:23], s44, v13
	v_addc_co_u32_e64 v15, s[22:23], 0, v12, s[22:23]
	v_pk_mov_b32 v[12:13], s[38:39], s[38:39] op_sel:[0,1]
	v_mad_u64_u32 v[12:13], s[22:23], v14, s40, v[12:13]
	v_mov_b32_e32 v14, v13
	v_mad_u64_u32 v[14:15], s[22:23], v15, s40, v[14:15]
	v_mov_b32_e32 v13, v14
	global_load_ubyte v12, v[12:13], off
.LBB36_27:
	s_or_b64 exec, exec, s[24:25]
	v_or_b32_e32 v14, 0x300, v0
	v_cmp_gt_u32_e64 s[22:23], s36, v14
                                        ; implicit-def: $vgpr13
	s_and_saveexec_b64 s[26:27], s[22:23]
	s_cbranch_execz .LBB36_29
; %bb.28:
	v_mov_b32_e32 v13, s45
	v_add_co_u32_e64 v16, s[24:25], s44, v14
	v_pk_mov_b32 v[14:15], s[38:39], s[38:39] op_sel:[0,1]
	v_addc_co_u32_e64 v13, s[24:25], 0, v13, s[24:25]
	v_mad_u64_u32 v[14:15], s[24:25], v16, s40, v[14:15]
	v_mov_b32_e32 v16, v15
	v_mad_u64_u32 v[16:17], s[24:25], v13, s40, v[16:17]
	v_mov_b32_e32 v15, v16
	global_load_ubyte v13, v[14:15], off
.LBB36_29:
	s_or_b64 exec, exec, s[26:27]
	v_or_b32_e32 v15, 0x340, v0
	v_cmp_gt_u32_e64 s[24:25], s36, v15
                                        ; implicit-def: $vgpr14
	s_and_saveexec_b64 s[28:29], s[24:25]
	s_cbranch_execz .LBB36_31
; %bb.30:
	v_mov_b32_e32 v14, s45
	v_add_co_u32_e64 v16, s[26:27], s44, v15
	v_addc_co_u32_e64 v17, s[26:27], 0, v14, s[26:27]
	v_pk_mov_b32 v[14:15], s[38:39], s[38:39] op_sel:[0,1]
	v_mad_u64_u32 v[14:15], s[26:27], v16, s40, v[14:15]
	v_mov_b32_e32 v16, v15
	v_mad_u64_u32 v[16:17], s[26:27], v17, s40, v[16:17]
	v_mov_b32_e32 v15, v16
	global_load_ubyte v14, v[14:15], off
.LBB36_31:
	s_or_b64 exec, exec, s[28:29]
	v_or_b32_e32 v16, 0x380, v0
	v_cmp_gt_u32_e64 s[26:27], s36, v16
                                        ; implicit-def: $vgpr15
	s_and_saveexec_b64 s[30:31], s[26:27]
	s_cbranch_execz .LBB36_33
; %bb.32:
	v_mov_b32_e32 v15, s45
	v_add_co_u32_e64 v18, s[28:29], s44, v16
	v_pk_mov_b32 v[16:17], s[38:39], s[38:39] op_sel:[0,1]
	v_addc_co_u32_e64 v15, s[28:29], 0, v15, s[28:29]
	v_mad_u64_u32 v[16:17], s[28:29], v18, s40, v[16:17]
	v_mov_b32_e32 v18, v17
	v_mad_u64_u32 v[18:19], s[28:29], v15, s40, v[18:19]
	v_mov_b32_e32 v17, v18
	global_load_ubyte v15, v[16:17], off
.LBB36_33:
	s_or_b64 exec, exec, s[30:31]
	v_or_b32_e32 v17, 0x3c0, v0
	v_cmp_gt_u32_e64 s[28:29], s36, v17
                                        ; implicit-def: $vgpr16
	s_and_saveexec_b64 s[36:37], s[28:29]
	s_cbranch_execz .LBB36_35
; %bb.34:
	v_mov_b32_e32 v16, s45
	v_add_co_u32_e64 v18, s[30:31], s44, v17
	v_addc_co_u32_e64 v19, s[30:31], 0, v16, s[30:31]
	v_pk_mov_b32 v[16:17], s[38:39], s[38:39] op_sel:[0,1]
	v_mad_u64_u32 v[16:17], s[30:31], v18, s40, v[16:17]
	v_mov_b32_e32 v18, v17
	v_mad_u64_u32 v[18:19], s[30:31], v19, s40, v[18:19]
	v_mov_b32_e32 v17, v18
	global_load_ubyte v16, v[16:17], off
.LBB36_35:
	s_or_b64 exec, exec, s[36:37]
	s_waitcnt vmcnt(0)
	v_lshlrev_b16_e32 v2, 8, v2
	v_or_b32_sdwa v1, v1, v2 dst_sel:DWORD dst_unused:UNUSED_PAD src0_sel:BYTE_0 src1_sel:DWORD
	v_lshlrev_b16_e32 v2, 8, v4
	v_or_b32_sdwa v2, v3, v2 dst_sel:WORD_1 dst_unused:UNUSED_PAD src0_sel:BYTE_0 src1_sel:DWORD
	v_or_b32_sdwa v17, v1, v2 dst_sel:DWORD dst_unused:UNUSED_PAD src0_sel:WORD_0 src1_sel:DWORD
	v_lshlrev_b16_e32 v1, 8, v6
	v_lshlrev_b16_e32 v2, 8, v8
	v_or_b32_sdwa v1, v5, v1 dst_sel:DWORD dst_unused:UNUSED_PAD src0_sel:BYTE_0 src1_sel:DWORD
	v_or_b32_sdwa v2, v7, v2 dst_sel:WORD_1 dst_unused:UNUSED_PAD src0_sel:BYTE_0 src1_sel:DWORD
	v_or_b32_sdwa v5, v1, v2 dst_sel:DWORD dst_unused:UNUSED_PAD src0_sel:WORD_0 src1_sel:DWORD
	v_lshlrev_b16_e32 v1, 8, v10
	v_lshlrev_b16_e32 v2, 8, v12
	v_or_b32_sdwa v1, v9, v1 dst_sel:DWORD dst_unused:UNUSED_PAD src0_sel:BYTE_0 src1_sel:DWORD
	v_or_b32_sdwa v2, v11, v2 dst_sel:WORD_1 dst_unused:UNUSED_PAD src0_sel:BYTE_0 src1_sel:DWORD
	v_or_b32_sdwa v4, v1, v2 dst_sel:DWORD dst_unused:UNUSED_PAD src0_sel:WORD_0 src1_sel:DWORD
	v_lshlrev_b16_e32 v1, 8, v14
	v_lshlrev_b16_e32 v2, 8, v16
	s_add_u32 s30, s33, s43
	v_or_b32_sdwa v1, v13, v1 dst_sel:DWORD dst_unused:UNUSED_PAD src0_sel:BYTE_0 src1_sel:DWORD
	v_or_b32_sdwa v2, v15, v2 dst_sel:WORD_1 dst_unused:UNUSED_PAD src0_sel:BYTE_0 src1_sel:DWORD
	s_addc_u32 s31, s42, 0
	v_or_b32_sdwa v1, v1, v2 dst_sel:DWORD dst_unused:UNUSED_PAD src0_sel:WORD_0 src1_sel:DWORD
	v_mov_b32_e32 v3, s31
	v_add_co_u32_e64 v2, s[30:31], s30, v0
	v_addc_co_u32_e64 v3, s[30:31], 0, v3, s[30:31]
	s_and_saveexec_b64 s[30:31], vcc
	s_cbranch_execz .LBB36_37
; %bb.36:
	global_store_byte v[2:3], v17, off
.LBB36_37:
	s_or_b64 exec, exec, s[30:31]
	s_and_saveexec_b64 s[30:31], s[0:1]
	s_cbranch_execz .LBB36_39
; %bb.38:
	v_lshrrev_b32_e32 v0, 8, v17
	global_store_byte v[2:3], v0, off offset:64
.LBB36_39:
	s_or_b64 exec, exec, s[30:31]
	s_mov_b32 s0, 0x7060104
	v_perm_b32 v0, v17, v17, s0
	v_cndmask_b32_e64 v6, v0, v17, s[2:3]
	s_and_saveexec_b64 s[0:1], s[2:3]
	s_cbranch_execz .LBB36_41
; %bb.40:
	global_store_byte_d16_hi v[2:3], v6, off offset:128
.LBB36_41:
	s_or_b64 exec, exec, s[0:1]
	s_mov_b32 s0, 0x7020504
	v_perm_b32 v0, v0, v6, s0
	v_cndmask_b32_e64 v0, v0, v17, s[4:5]
	s_and_saveexec_b64 s[0:1], s[4:5]
	s_cbranch_execz .LBB36_43
; %bb.42:
	v_lshrrev_b32_e32 v0, 24, v0
	global_store_byte v[2:3], v0, off offset:192
.LBB36_43:
	s_or_b64 exec, exec, s[0:1]
	s_and_saveexec_b64 s[0:1], s[6:7]
	s_cbranch_execz .LBB36_45
; %bb.44:
	global_store_byte v[2:3], v5, off offset:256
.LBB36_45:
	s_or_b64 exec, exec, s[0:1]
	s_mov_b32 s0, 0x3020104
	v_perm_b32 v0, v5, v5, s0
	v_cndmask_b32_e64 v6, v0, v5, s[8:9]
	s_and_saveexec_b64 s[0:1], s[8:9]
	s_cbranch_execz .LBB36_47
; %bb.46:
	v_lshrrev_b32_e32 v7, 8, v6
	global_store_byte v[2:3], v7, off offset:320
.LBB36_47:
	s_or_b64 exec, exec, s[0:1]
	s_mov_b32 s0, 0x7060104
	v_perm_b32 v0, v0, v6, s0
	v_cndmask_b32_e64 v6, v0, v5, s[10:11]
	s_and_saveexec_b64 s[0:1], s[10:11]
	s_cbranch_execz .LBB36_49
; %bb.48:
	global_store_byte_d16_hi v[2:3], v6, off offset:384
.LBB36_49:
	s_or_b64 exec, exec, s[0:1]
	s_mov_b32 s0, 0x7020504
	v_perm_b32 v0, v0, v6, s0
	v_cndmask_b32_e64 v0, v0, v5, s[12:13]
	s_and_saveexec_b64 s[0:1], s[12:13]
	s_cbranch_execz .LBB36_51
; %bb.50:
	v_lshrrev_b32_e32 v0, 24, v0
	global_store_byte v[2:3], v0, off offset:448
.LBB36_51:
	s_or_b64 exec, exec, s[0:1]
	s_and_saveexec_b64 s[0:1], s[14:15]
	s_cbranch_execz .LBB36_53
; %bb.52:
	global_store_byte v[2:3], v4, off offset:512
.LBB36_53:
	s_or_b64 exec, exec, s[0:1]
	s_mov_b32 s0, 0x3020104
	v_perm_b32 v0, v4, v4, s0
	v_cndmask_b32_e64 v5, v0, v4, s[16:17]
	;; [unrolled: 35-line block ×3, first 2 shown]
	s_and_saveexec_b64 s[0:1], s[24:25]
	s_cbranch_execz .LBB36_63
; %bb.62:
	v_lshrrev_b32_e32 v5, 8, v4
	global_store_byte v[2:3], v5, off offset:832
.LBB36_63:
	s_or_b64 exec, exec, s[0:1]
	s_mov_b32 s0, 0x7060104
	v_perm_b32 v0, v0, v4, s0
	s_and_saveexec_b64 s[0:1], s[26:27]
	s_cbranch_execz .LBB36_65
; %bb.64:
	v_cndmask_b32_e64 v4, v0, v1, s[26:27]
	global_store_byte_d16_hi v[2:3], v4, off offset:896
.LBB36_65:
	s_or_b64 exec, exec, s[0:1]
                                        ; implicit-def: $vgpr4
	s_and_saveexec_b64 s[0:1], s[28:29]
; %bb.66:
	v_cndmask_b32_e64 v0, v0, v1, s[28:29]
	v_lshrrev_b32_e32 v4, 24, v0
	s_or_b64 s[34:35], s[34:35], exec
; %bb.67:
	s_or_b64 exec, exec, s[0:1]
.LBB36_68:
	s_and_saveexec_b64 s[0:1], s[34:35]
	s_cbranch_execnz .LBB36_70
; %bb.69:
	s_endpgm
.LBB36_70:
	s_waitcnt vmcnt(15)
	global_store_byte v[2:3], v4, off offset:960
	s_endpgm
	.section	.rodata,"a",@progbits
	.p2align	6, 0x0
	.amdhsa_kernel _ZN7rocprim17ROCPRIM_400000_NS6detail17trampoline_kernelINS0_14default_configENS1_25transform_config_selectorIaLb0EEEZNS1_14transform_implILb0ES3_S5_NS0_18transform_iteratorINS0_17counting_iteratorImlEEZNS1_24adjacent_difference_implIS3_Lb1ELb0EPaSB_N6thrust23THRUST_200600_302600_NS4plusIaEEEE10hipError_tPvRmT2_T3_mT4_P12ihipStream_tbEUlmE_aEESB_NS0_8identityIvEEEESG_SJ_SK_mSL_SN_bEUlT_E_NS1_11comp_targetILNS1_3genE4ELNS1_11target_archE910ELNS1_3gpuE8ELNS1_3repE0EEENS1_30default_config_static_selectorELNS0_4arch9wavefront6targetE1EEEvT1_
		.amdhsa_group_segment_fixed_size 0
		.amdhsa_private_segment_fixed_size 0
		.amdhsa_kernarg_size 312
		.amdhsa_user_sgpr_count 6
		.amdhsa_user_sgpr_private_segment_buffer 1
		.amdhsa_user_sgpr_dispatch_ptr 0
		.amdhsa_user_sgpr_queue_ptr 0
		.amdhsa_user_sgpr_kernarg_segment_ptr 1
		.amdhsa_user_sgpr_dispatch_id 0
		.amdhsa_user_sgpr_flat_scratch_init 0
		.amdhsa_user_sgpr_kernarg_preload_length 0
		.amdhsa_user_sgpr_kernarg_preload_offset 0
		.amdhsa_user_sgpr_private_segment_size 0
		.amdhsa_uses_dynamic_stack 0
		.amdhsa_system_sgpr_private_segment_wavefront_offset 0
		.amdhsa_system_sgpr_workgroup_id_x 1
		.amdhsa_system_sgpr_workgroup_id_y 0
		.amdhsa_system_sgpr_workgroup_id_z 0
		.amdhsa_system_sgpr_workgroup_info 0
		.amdhsa_system_vgpr_workitem_id 0
		.amdhsa_next_free_vgpr 20
		.amdhsa_next_free_sgpr 46
		.amdhsa_accum_offset 20
		.amdhsa_reserve_vcc 1
		.amdhsa_reserve_flat_scratch 0
		.amdhsa_float_round_mode_32 0
		.amdhsa_float_round_mode_16_64 0
		.amdhsa_float_denorm_mode_32 3
		.amdhsa_float_denorm_mode_16_64 3
		.amdhsa_dx10_clamp 1
		.amdhsa_ieee_mode 1
		.amdhsa_fp16_overflow 0
		.amdhsa_tg_split 0
		.amdhsa_exception_fp_ieee_invalid_op 0
		.amdhsa_exception_fp_denorm_src 0
		.amdhsa_exception_fp_ieee_div_zero 0
		.amdhsa_exception_fp_ieee_overflow 0
		.amdhsa_exception_fp_ieee_underflow 0
		.amdhsa_exception_fp_ieee_inexact 0
		.amdhsa_exception_int_div_zero 0
	.end_amdhsa_kernel
	.section	.text._ZN7rocprim17ROCPRIM_400000_NS6detail17trampoline_kernelINS0_14default_configENS1_25transform_config_selectorIaLb0EEEZNS1_14transform_implILb0ES3_S5_NS0_18transform_iteratorINS0_17counting_iteratorImlEEZNS1_24adjacent_difference_implIS3_Lb1ELb0EPaSB_N6thrust23THRUST_200600_302600_NS4plusIaEEEE10hipError_tPvRmT2_T3_mT4_P12ihipStream_tbEUlmE_aEESB_NS0_8identityIvEEEESG_SJ_SK_mSL_SN_bEUlT_E_NS1_11comp_targetILNS1_3genE4ELNS1_11target_archE910ELNS1_3gpuE8ELNS1_3repE0EEENS1_30default_config_static_selectorELNS0_4arch9wavefront6targetE1EEEvT1_,"axG",@progbits,_ZN7rocprim17ROCPRIM_400000_NS6detail17trampoline_kernelINS0_14default_configENS1_25transform_config_selectorIaLb0EEEZNS1_14transform_implILb0ES3_S5_NS0_18transform_iteratorINS0_17counting_iteratorImlEEZNS1_24adjacent_difference_implIS3_Lb1ELb0EPaSB_N6thrust23THRUST_200600_302600_NS4plusIaEEEE10hipError_tPvRmT2_T3_mT4_P12ihipStream_tbEUlmE_aEESB_NS0_8identityIvEEEESG_SJ_SK_mSL_SN_bEUlT_E_NS1_11comp_targetILNS1_3genE4ELNS1_11target_archE910ELNS1_3gpuE8ELNS1_3repE0EEENS1_30default_config_static_selectorELNS0_4arch9wavefront6targetE1EEEvT1_,comdat
.Lfunc_end36:
	.size	_ZN7rocprim17ROCPRIM_400000_NS6detail17trampoline_kernelINS0_14default_configENS1_25transform_config_selectorIaLb0EEEZNS1_14transform_implILb0ES3_S5_NS0_18transform_iteratorINS0_17counting_iteratorImlEEZNS1_24adjacent_difference_implIS3_Lb1ELb0EPaSB_N6thrust23THRUST_200600_302600_NS4plusIaEEEE10hipError_tPvRmT2_T3_mT4_P12ihipStream_tbEUlmE_aEESB_NS0_8identityIvEEEESG_SJ_SK_mSL_SN_bEUlT_E_NS1_11comp_targetILNS1_3genE4ELNS1_11target_archE910ELNS1_3gpuE8ELNS1_3repE0EEENS1_30default_config_static_selectorELNS0_4arch9wavefront6targetE1EEEvT1_, .Lfunc_end36-_ZN7rocprim17ROCPRIM_400000_NS6detail17trampoline_kernelINS0_14default_configENS1_25transform_config_selectorIaLb0EEEZNS1_14transform_implILb0ES3_S5_NS0_18transform_iteratorINS0_17counting_iteratorImlEEZNS1_24adjacent_difference_implIS3_Lb1ELb0EPaSB_N6thrust23THRUST_200600_302600_NS4plusIaEEEE10hipError_tPvRmT2_T3_mT4_P12ihipStream_tbEUlmE_aEESB_NS0_8identityIvEEEESG_SJ_SK_mSL_SN_bEUlT_E_NS1_11comp_targetILNS1_3genE4ELNS1_11target_archE910ELNS1_3gpuE8ELNS1_3repE0EEENS1_30default_config_static_selectorELNS0_4arch9wavefront6targetE1EEEvT1_
                                        ; -- End function
	.section	.AMDGPU.csdata,"",@progbits
; Kernel info:
; codeLenInByte = 2796
; NumSgprs: 50
; NumVgprs: 20
; NumAgprs: 0
; TotalNumVgprs: 20
; ScratchSize: 0
; MemoryBound: 0
; FloatMode: 240
; IeeeMode: 1
; LDSByteSize: 0 bytes/workgroup (compile time only)
; SGPRBlocks: 6
; VGPRBlocks: 2
; NumSGPRsForWavesPerEU: 50
; NumVGPRsForWavesPerEU: 20
; AccumOffset: 20
; Occupancy: 8
; WaveLimiterHint : 0
; COMPUTE_PGM_RSRC2:SCRATCH_EN: 0
; COMPUTE_PGM_RSRC2:USER_SGPR: 6
; COMPUTE_PGM_RSRC2:TRAP_HANDLER: 0
; COMPUTE_PGM_RSRC2:TGID_X_EN: 1
; COMPUTE_PGM_RSRC2:TGID_Y_EN: 0
; COMPUTE_PGM_RSRC2:TGID_Z_EN: 0
; COMPUTE_PGM_RSRC2:TIDIG_COMP_CNT: 0
; COMPUTE_PGM_RSRC3_GFX90A:ACCUM_OFFSET: 4
; COMPUTE_PGM_RSRC3_GFX90A:TG_SPLIT: 0
	.section	.text._ZN7rocprim17ROCPRIM_400000_NS6detail17trampoline_kernelINS0_14default_configENS1_25transform_config_selectorIaLb0EEEZNS1_14transform_implILb0ES3_S5_NS0_18transform_iteratorINS0_17counting_iteratorImlEEZNS1_24adjacent_difference_implIS3_Lb1ELb0EPaSB_N6thrust23THRUST_200600_302600_NS4plusIaEEEE10hipError_tPvRmT2_T3_mT4_P12ihipStream_tbEUlmE_aEESB_NS0_8identityIvEEEESG_SJ_SK_mSL_SN_bEUlT_E_NS1_11comp_targetILNS1_3genE3ELNS1_11target_archE908ELNS1_3gpuE7ELNS1_3repE0EEENS1_30default_config_static_selectorELNS0_4arch9wavefront6targetE1EEEvT1_,"axG",@progbits,_ZN7rocprim17ROCPRIM_400000_NS6detail17trampoline_kernelINS0_14default_configENS1_25transform_config_selectorIaLb0EEEZNS1_14transform_implILb0ES3_S5_NS0_18transform_iteratorINS0_17counting_iteratorImlEEZNS1_24adjacent_difference_implIS3_Lb1ELb0EPaSB_N6thrust23THRUST_200600_302600_NS4plusIaEEEE10hipError_tPvRmT2_T3_mT4_P12ihipStream_tbEUlmE_aEESB_NS0_8identityIvEEEESG_SJ_SK_mSL_SN_bEUlT_E_NS1_11comp_targetILNS1_3genE3ELNS1_11target_archE908ELNS1_3gpuE7ELNS1_3repE0EEENS1_30default_config_static_selectorELNS0_4arch9wavefront6targetE1EEEvT1_,comdat
	.protected	_ZN7rocprim17ROCPRIM_400000_NS6detail17trampoline_kernelINS0_14default_configENS1_25transform_config_selectorIaLb0EEEZNS1_14transform_implILb0ES3_S5_NS0_18transform_iteratorINS0_17counting_iteratorImlEEZNS1_24adjacent_difference_implIS3_Lb1ELb0EPaSB_N6thrust23THRUST_200600_302600_NS4plusIaEEEE10hipError_tPvRmT2_T3_mT4_P12ihipStream_tbEUlmE_aEESB_NS0_8identityIvEEEESG_SJ_SK_mSL_SN_bEUlT_E_NS1_11comp_targetILNS1_3genE3ELNS1_11target_archE908ELNS1_3gpuE7ELNS1_3repE0EEENS1_30default_config_static_selectorELNS0_4arch9wavefront6targetE1EEEvT1_ ; -- Begin function _ZN7rocprim17ROCPRIM_400000_NS6detail17trampoline_kernelINS0_14default_configENS1_25transform_config_selectorIaLb0EEEZNS1_14transform_implILb0ES3_S5_NS0_18transform_iteratorINS0_17counting_iteratorImlEEZNS1_24adjacent_difference_implIS3_Lb1ELb0EPaSB_N6thrust23THRUST_200600_302600_NS4plusIaEEEE10hipError_tPvRmT2_T3_mT4_P12ihipStream_tbEUlmE_aEESB_NS0_8identityIvEEEESG_SJ_SK_mSL_SN_bEUlT_E_NS1_11comp_targetILNS1_3genE3ELNS1_11target_archE908ELNS1_3gpuE7ELNS1_3repE0EEENS1_30default_config_static_selectorELNS0_4arch9wavefront6targetE1EEEvT1_
	.globl	_ZN7rocprim17ROCPRIM_400000_NS6detail17trampoline_kernelINS0_14default_configENS1_25transform_config_selectorIaLb0EEEZNS1_14transform_implILb0ES3_S5_NS0_18transform_iteratorINS0_17counting_iteratorImlEEZNS1_24adjacent_difference_implIS3_Lb1ELb0EPaSB_N6thrust23THRUST_200600_302600_NS4plusIaEEEE10hipError_tPvRmT2_T3_mT4_P12ihipStream_tbEUlmE_aEESB_NS0_8identityIvEEEESG_SJ_SK_mSL_SN_bEUlT_E_NS1_11comp_targetILNS1_3genE3ELNS1_11target_archE908ELNS1_3gpuE7ELNS1_3repE0EEENS1_30default_config_static_selectorELNS0_4arch9wavefront6targetE1EEEvT1_
	.p2align	8
	.type	_ZN7rocprim17ROCPRIM_400000_NS6detail17trampoline_kernelINS0_14default_configENS1_25transform_config_selectorIaLb0EEEZNS1_14transform_implILb0ES3_S5_NS0_18transform_iteratorINS0_17counting_iteratorImlEEZNS1_24adjacent_difference_implIS3_Lb1ELb0EPaSB_N6thrust23THRUST_200600_302600_NS4plusIaEEEE10hipError_tPvRmT2_T3_mT4_P12ihipStream_tbEUlmE_aEESB_NS0_8identityIvEEEESG_SJ_SK_mSL_SN_bEUlT_E_NS1_11comp_targetILNS1_3genE3ELNS1_11target_archE908ELNS1_3gpuE7ELNS1_3repE0EEENS1_30default_config_static_selectorELNS0_4arch9wavefront6targetE1EEEvT1_,@function
_ZN7rocprim17ROCPRIM_400000_NS6detail17trampoline_kernelINS0_14default_configENS1_25transform_config_selectorIaLb0EEEZNS1_14transform_implILb0ES3_S5_NS0_18transform_iteratorINS0_17counting_iteratorImlEEZNS1_24adjacent_difference_implIS3_Lb1ELb0EPaSB_N6thrust23THRUST_200600_302600_NS4plusIaEEEE10hipError_tPvRmT2_T3_mT4_P12ihipStream_tbEUlmE_aEESB_NS0_8identityIvEEEESG_SJ_SK_mSL_SN_bEUlT_E_NS1_11comp_targetILNS1_3genE3ELNS1_11target_archE908ELNS1_3gpuE7ELNS1_3repE0EEENS1_30default_config_static_selectorELNS0_4arch9wavefront6targetE1EEEvT1_: ; @_ZN7rocprim17ROCPRIM_400000_NS6detail17trampoline_kernelINS0_14default_configENS1_25transform_config_selectorIaLb0EEEZNS1_14transform_implILb0ES3_S5_NS0_18transform_iteratorINS0_17counting_iteratorImlEEZNS1_24adjacent_difference_implIS3_Lb1ELb0EPaSB_N6thrust23THRUST_200600_302600_NS4plusIaEEEE10hipError_tPvRmT2_T3_mT4_P12ihipStream_tbEUlmE_aEESB_NS0_8identityIvEEEESG_SJ_SK_mSL_SN_bEUlT_E_NS1_11comp_targetILNS1_3genE3ELNS1_11target_archE908ELNS1_3gpuE7ELNS1_3repE0EEENS1_30default_config_static_selectorELNS0_4arch9wavefront6targetE1EEEvT1_
; %bb.0:
	.section	.rodata,"a",@progbits
	.p2align	6, 0x0
	.amdhsa_kernel _ZN7rocprim17ROCPRIM_400000_NS6detail17trampoline_kernelINS0_14default_configENS1_25transform_config_selectorIaLb0EEEZNS1_14transform_implILb0ES3_S5_NS0_18transform_iteratorINS0_17counting_iteratorImlEEZNS1_24adjacent_difference_implIS3_Lb1ELb0EPaSB_N6thrust23THRUST_200600_302600_NS4plusIaEEEE10hipError_tPvRmT2_T3_mT4_P12ihipStream_tbEUlmE_aEESB_NS0_8identityIvEEEESG_SJ_SK_mSL_SN_bEUlT_E_NS1_11comp_targetILNS1_3genE3ELNS1_11target_archE908ELNS1_3gpuE7ELNS1_3repE0EEENS1_30default_config_static_selectorELNS0_4arch9wavefront6targetE1EEEvT1_
		.amdhsa_group_segment_fixed_size 0
		.amdhsa_private_segment_fixed_size 0
		.amdhsa_kernarg_size 56
		.amdhsa_user_sgpr_count 6
		.amdhsa_user_sgpr_private_segment_buffer 1
		.amdhsa_user_sgpr_dispatch_ptr 0
		.amdhsa_user_sgpr_queue_ptr 0
		.amdhsa_user_sgpr_kernarg_segment_ptr 1
		.amdhsa_user_sgpr_dispatch_id 0
		.amdhsa_user_sgpr_flat_scratch_init 0
		.amdhsa_user_sgpr_kernarg_preload_length 0
		.amdhsa_user_sgpr_kernarg_preload_offset 0
		.amdhsa_user_sgpr_private_segment_size 0
		.amdhsa_uses_dynamic_stack 0
		.amdhsa_system_sgpr_private_segment_wavefront_offset 0
		.amdhsa_system_sgpr_workgroup_id_x 1
		.amdhsa_system_sgpr_workgroup_id_y 0
		.amdhsa_system_sgpr_workgroup_id_z 0
		.amdhsa_system_sgpr_workgroup_info 0
		.amdhsa_system_vgpr_workitem_id 0
		.amdhsa_next_free_vgpr 1
		.amdhsa_next_free_sgpr 0
		.amdhsa_accum_offset 4
		.amdhsa_reserve_vcc 0
		.amdhsa_reserve_flat_scratch 0
		.amdhsa_float_round_mode_32 0
		.amdhsa_float_round_mode_16_64 0
		.amdhsa_float_denorm_mode_32 3
		.amdhsa_float_denorm_mode_16_64 3
		.amdhsa_dx10_clamp 1
		.amdhsa_ieee_mode 1
		.amdhsa_fp16_overflow 0
		.amdhsa_tg_split 0
		.amdhsa_exception_fp_ieee_invalid_op 0
		.amdhsa_exception_fp_denorm_src 0
		.amdhsa_exception_fp_ieee_div_zero 0
		.amdhsa_exception_fp_ieee_overflow 0
		.amdhsa_exception_fp_ieee_underflow 0
		.amdhsa_exception_fp_ieee_inexact 0
		.amdhsa_exception_int_div_zero 0
	.end_amdhsa_kernel
	.section	.text._ZN7rocprim17ROCPRIM_400000_NS6detail17trampoline_kernelINS0_14default_configENS1_25transform_config_selectorIaLb0EEEZNS1_14transform_implILb0ES3_S5_NS0_18transform_iteratorINS0_17counting_iteratorImlEEZNS1_24adjacent_difference_implIS3_Lb1ELb0EPaSB_N6thrust23THRUST_200600_302600_NS4plusIaEEEE10hipError_tPvRmT2_T3_mT4_P12ihipStream_tbEUlmE_aEESB_NS0_8identityIvEEEESG_SJ_SK_mSL_SN_bEUlT_E_NS1_11comp_targetILNS1_3genE3ELNS1_11target_archE908ELNS1_3gpuE7ELNS1_3repE0EEENS1_30default_config_static_selectorELNS0_4arch9wavefront6targetE1EEEvT1_,"axG",@progbits,_ZN7rocprim17ROCPRIM_400000_NS6detail17trampoline_kernelINS0_14default_configENS1_25transform_config_selectorIaLb0EEEZNS1_14transform_implILb0ES3_S5_NS0_18transform_iteratorINS0_17counting_iteratorImlEEZNS1_24adjacent_difference_implIS3_Lb1ELb0EPaSB_N6thrust23THRUST_200600_302600_NS4plusIaEEEE10hipError_tPvRmT2_T3_mT4_P12ihipStream_tbEUlmE_aEESB_NS0_8identityIvEEEESG_SJ_SK_mSL_SN_bEUlT_E_NS1_11comp_targetILNS1_3genE3ELNS1_11target_archE908ELNS1_3gpuE7ELNS1_3repE0EEENS1_30default_config_static_selectorELNS0_4arch9wavefront6targetE1EEEvT1_,comdat
.Lfunc_end37:
	.size	_ZN7rocprim17ROCPRIM_400000_NS6detail17trampoline_kernelINS0_14default_configENS1_25transform_config_selectorIaLb0EEEZNS1_14transform_implILb0ES3_S5_NS0_18transform_iteratorINS0_17counting_iteratorImlEEZNS1_24adjacent_difference_implIS3_Lb1ELb0EPaSB_N6thrust23THRUST_200600_302600_NS4plusIaEEEE10hipError_tPvRmT2_T3_mT4_P12ihipStream_tbEUlmE_aEESB_NS0_8identityIvEEEESG_SJ_SK_mSL_SN_bEUlT_E_NS1_11comp_targetILNS1_3genE3ELNS1_11target_archE908ELNS1_3gpuE7ELNS1_3repE0EEENS1_30default_config_static_selectorELNS0_4arch9wavefront6targetE1EEEvT1_, .Lfunc_end37-_ZN7rocprim17ROCPRIM_400000_NS6detail17trampoline_kernelINS0_14default_configENS1_25transform_config_selectorIaLb0EEEZNS1_14transform_implILb0ES3_S5_NS0_18transform_iteratorINS0_17counting_iteratorImlEEZNS1_24adjacent_difference_implIS3_Lb1ELb0EPaSB_N6thrust23THRUST_200600_302600_NS4plusIaEEEE10hipError_tPvRmT2_T3_mT4_P12ihipStream_tbEUlmE_aEESB_NS0_8identityIvEEEESG_SJ_SK_mSL_SN_bEUlT_E_NS1_11comp_targetILNS1_3genE3ELNS1_11target_archE908ELNS1_3gpuE7ELNS1_3repE0EEENS1_30default_config_static_selectorELNS0_4arch9wavefront6targetE1EEEvT1_
                                        ; -- End function
	.section	.AMDGPU.csdata,"",@progbits
; Kernel info:
; codeLenInByte = 0
; NumSgprs: 4
; NumVgprs: 0
; NumAgprs: 0
; TotalNumVgprs: 0
; ScratchSize: 0
; MemoryBound: 0
; FloatMode: 240
; IeeeMode: 1
; LDSByteSize: 0 bytes/workgroup (compile time only)
; SGPRBlocks: 0
; VGPRBlocks: 0
; NumSGPRsForWavesPerEU: 4
; NumVGPRsForWavesPerEU: 1
; AccumOffset: 4
; Occupancy: 8
; WaveLimiterHint : 0
; COMPUTE_PGM_RSRC2:SCRATCH_EN: 0
; COMPUTE_PGM_RSRC2:USER_SGPR: 6
; COMPUTE_PGM_RSRC2:TRAP_HANDLER: 0
; COMPUTE_PGM_RSRC2:TGID_X_EN: 1
; COMPUTE_PGM_RSRC2:TGID_Y_EN: 0
; COMPUTE_PGM_RSRC2:TGID_Z_EN: 0
; COMPUTE_PGM_RSRC2:TIDIG_COMP_CNT: 0
; COMPUTE_PGM_RSRC3_GFX90A:ACCUM_OFFSET: 0
; COMPUTE_PGM_RSRC3_GFX90A:TG_SPLIT: 0
	.section	.text._ZN7rocprim17ROCPRIM_400000_NS6detail17trampoline_kernelINS0_14default_configENS1_25transform_config_selectorIaLb0EEEZNS1_14transform_implILb0ES3_S5_NS0_18transform_iteratorINS0_17counting_iteratorImlEEZNS1_24adjacent_difference_implIS3_Lb1ELb0EPaSB_N6thrust23THRUST_200600_302600_NS4plusIaEEEE10hipError_tPvRmT2_T3_mT4_P12ihipStream_tbEUlmE_aEESB_NS0_8identityIvEEEESG_SJ_SK_mSL_SN_bEUlT_E_NS1_11comp_targetILNS1_3genE2ELNS1_11target_archE906ELNS1_3gpuE6ELNS1_3repE0EEENS1_30default_config_static_selectorELNS0_4arch9wavefront6targetE1EEEvT1_,"axG",@progbits,_ZN7rocprim17ROCPRIM_400000_NS6detail17trampoline_kernelINS0_14default_configENS1_25transform_config_selectorIaLb0EEEZNS1_14transform_implILb0ES3_S5_NS0_18transform_iteratorINS0_17counting_iteratorImlEEZNS1_24adjacent_difference_implIS3_Lb1ELb0EPaSB_N6thrust23THRUST_200600_302600_NS4plusIaEEEE10hipError_tPvRmT2_T3_mT4_P12ihipStream_tbEUlmE_aEESB_NS0_8identityIvEEEESG_SJ_SK_mSL_SN_bEUlT_E_NS1_11comp_targetILNS1_3genE2ELNS1_11target_archE906ELNS1_3gpuE6ELNS1_3repE0EEENS1_30default_config_static_selectorELNS0_4arch9wavefront6targetE1EEEvT1_,comdat
	.protected	_ZN7rocprim17ROCPRIM_400000_NS6detail17trampoline_kernelINS0_14default_configENS1_25transform_config_selectorIaLb0EEEZNS1_14transform_implILb0ES3_S5_NS0_18transform_iteratorINS0_17counting_iteratorImlEEZNS1_24adjacent_difference_implIS3_Lb1ELb0EPaSB_N6thrust23THRUST_200600_302600_NS4plusIaEEEE10hipError_tPvRmT2_T3_mT4_P12ihipStream_tbEUlmE_aEESB_NS0_8identityIvEEEESG_SJ_SK_mSL_SN_bEUlT_E_NS1_11comp_targetILNS1_3genE2ELNS1_11target_archE906ELNS1_3gpuE6ELNS1_3repE0EEENS1_30default_config_static_selectorELNS0_4arch9wavefront6targetE1EEEvT1_ ; -- Begin function _ZN7rocprim17ROCPRIM_400000_NS6detail17trampoline_kernelINS0_14default_configENS1_25transform_config_selectorIaLb0EEEZNS1_14transform_implILb0ES3_S5_NS0_18transform_iteratorINS0_17counting_iteratorImlEEZNS1_24adjacent_difference_implIS3_Lb1ELb0EPaSB_N6thrust23THRUST_200600_302600_NS4plusIaEEEE10hipError_tPvRmT2_T3_mT4_P12ihipStream_tbEUlmE_aEESB_NS0_8identityIvEEEESG_SJ_SK_mSL_SN_bEUlT_E_NS1_11comp_targetILNS1_3genE2ELNS1_11target_archE906ELNS1_3gpuE6ELNS1_3repE0EEENS1_30default_config_static_selectorELNS0_4arch9wavefront6targetE1EEEvT1_
	.globl	_ZN7rocprim17ROCPRIM_400000_NS6detail17trampoline_kernelINS0_14default_configENS1_25transform_config_selectorIaLb0EEEZNS1_14transform_implILb0ES3_S5_NS0_18transform_iteratorINS0_17counting_iteratorImlEEZNS1_24adjacent_difference_implIS3_Lb1ELb0EPaSB_N6thrust23THRUST_200600_302600_NS4plusIaEEEE10hipError_tPvRmT2_T3_mT4_P12ihipStream_tbEUlmE_aEESB_NS0_8identityIvEEEESG_SJ_SK_mSL_SN_bEUlT_E_NS1_11comp_targetILNS1_3genE2ELNS1_11target_archE906ELNS1_3gpuE6ELNS1_3repE0EEENS1_30default_config_static_selectorELNS0_4arch9wavefront6targetE1EEEvT1_
	.p2align	8
	.type	_ZN7rocprim17ROCPRIM_400000_NS6detail17trampoline_kernelINS0_14default_configENS1_25transform_config_selectorIaLb0EEEZNS1_14transform_implILb0ES3_S5_NS0_18transform_iteratorINS0_17counting_iteratorImlEEZNS1_24adjacent_difference_implIS3_Lb1ELb0EPaSB_N6thrust23THRUST_200600_302600_NS4plusIaEEEE10hipError_tPvRmT2_T3_mT4_P12ihipStream_tbEUlmE_aEESB_NS0_8identityIvEEEESG_SJ_SK_mSL_SN_bEUlT_E_NS1_11comp_targetILNS1_3genE2ELNS1_11target_archE906ELNS1_3gpuE6ELNS1_3repE0EEENS1_30default_config_static_selectorELNS0_4arch9wavefront6targetE1EEEvT1_,@function
_ZN7rocprim17ROCPRIM_400000_NS6detail17trampoline_kernelINS0_14default_configENS1_25transform_config_selectorIaLb0EEEZNS1_14transform_implILb0ES3_S5_NS0_18transform_iteratorINS0_17counting_iteratorImlEEZNS1_24adjacent_difference_implIS3_Lb1ELb0EPaSB_N6thrust23THRUST_200600_302600_NS4plusIaEEEE10hipError_tPvRmT2_T3_mT4_P12ihipStream_tbEUlmE_aEESB_NS0_8identityIvEEEESG_SJ_SK_mSL_SN_bEUlT_E_NS1_11comp_targetILNS1_3genE2ELNS1_11target_archE906ELNS1_3gpuE6ELNS1_3repE0EEENS1_30default_config_static_selectorELNS0_4arch9wavefront6targetE1EEEvT1_: ; @_ZN7rocprim17ROCPRIM_400000_NS6detail17trampoline_kernelINS0_14default_configENS1_25transform_config_selectorIaLb0EEEZNS1_14transform_implILb0ES3_S5_NS0_18transform_iteratorINS0_17counting_iteratorImlEEZNS1_24adjacent_difference_implIS3_Lb1ELb0EPaSB_N6thrust23THRUST_200600_302600_NS4plusIaEEEE10hipError_tPvRmT2_T3_mT4_P12ihipStream_tbEUlmE_aEESB_NS0_8identityIvEEEESG_SJ_SK_mSL_SN_bEUlT_E_NS1_11comp_targetILNS1_3genE2ELNS1_11target_archE906ELNS1_3gpuE6ELNS1_3repE0EEENS1_30default_config_static_selectorELNS0_4arch9wavefront6targetE1EEEvT1_
; %bb.0:
	.section	.rodata,"a",@progbits
	.p2align	6, 0x0
	.amdhsa_kernel _ZN7rocprim17ROCPRIM_400000_NS6detail17trampoline_kernelINS0_14default_configENS1_25transform_config_selectorIaLb0EEEZNS1_14transform_implILb0ES3_S5_NS0_18transform_iteratorINS0_17counting_iteratorImlEEZNS1_24adjacent_difference_implIS3_Lb1ELb0EPaSB_N6thrust23THRUST_200600_302600_NS4plusIaEEEE10hipError_tPvRmT2_T3_mT4_P12ihipStream_tbEUlmE_aEESB_NS0_8identityIvEEEESG_SJ_SK_mSL_SN_bEUlT_E_NS1_11comp_targetILNS1_3genE2ELNS1_11target_archE906ELNS1_3gpuE6ELNS1_3repE0EEENS1_30default_config_static_selectorELNS0_4arch9wavefront6targetE1EEEvT1_
		.amdhsa_group_segment_fixed_size 0
		.amdhsa_private_segment_fixed_size 0
		.amdhsa_kernarg_size 56
		.amdhsa_user_sgpr_count 6
		.amdhsa_user_sgpr_private_segment_buffer 1
		.amdhsa_user_sgpr_dispatch_ptr 0
		.amdhsa_user_sgpr_queue_ptr 0
		.amdhsa_user_sgpr_kernarg_segment_ptr 1
		.amdhsa_user_sgpr_dispatch_id 0
		.amdhsa_user_sgpr_flat_scratch_init 0
		.amdhsa_user_sgpr_kernarg_preload_length 0
		.amdhsa_user_sgpr_kernarg_preload_offset 0
		.amdhsa_user_sgpr_private_segment_size 0
		.amdhsa_uses_dynamic_stack 0
		.amdhsa_system_sgpr_private_segment_wavefront_offset 0
		.amdhsa_system_sgpr_workgroup_id_x 1
		.amdhsa_system_sgpr_workgroup_id_y 0
		.amdhsa_system_sgpr_workgroup_id_z 0
		.amdhsa_system_sgpr_workgroup_info 0
		.amdhsa_system_vgpr_workitem_id 0
		.amdhsa_next_free_vgpr 1
		.amdhsa_next_free_sgpr 0
		.amdhsa_accum_offset 4
		.amdhsa_reserve_vcc 0
		.amdhsa_reserve_flat_scratch 0
		.amdhsa_float_round_mode_32 0
		.amdhsa_float_round_mode_16_64 0
		.amdhsa_float_denorm_mode_32 3
		.amdhsa_float_denorm_mode_16_64 3
		.amdhsa_dx10_clamp 1
		.amdhsa_ieee_mode 1
		.amdhsa_fp16_overflow 0
		.amdhsa_tg_split 0
		.amdhsa_exception_fp_ieee_invalid_op 0
		.amdhsa_exception_fp_denorm_src 0
		.amdhsa_exception_fp_ieee_div_zero 0
		.amdhsa_exception_fp_ieee_overflow 0
		.amdhsa_exception_fp_ieee_underflow 0
		.amdhsa_exception_fp_ieee_inexact 0
		.amdhsa_exception_int_div_zero 0
	.end_amdhsa_kernel
	.section	.text._ZN7rocprim17ROCPRIM_400000_NS6detail17trampoline_kernelINS0_14default_configENS1_25transform_config_selectorIaLb0EEEZNS1_14transform_implILb0ES3_S5_NS0_18transform_iteratorINS0_17counting_iteratorImlEEZNS1_24adjacent_difference_implIS3_Lb1ELb0EPaSB_N6thrust23THRUST_200600_302600_NS4plusIaEEEE10hipError_tPvRmT2_T3_mT4_P12ihipStream_tbEUlmE_aEESB_NS0_8identityIvEEEESG_SJ_SK_mSL_SN_bEUlT_E_NS1_11comp_targetILNS1_3genE2ELNS1_11target_archE906ELNS1_3gpuE6ELNS1_3repE0EEENS1_30default_config_static_selectorELNS0_4arch9wavefront6targetE1EEEvT1_,"axG",@progbits,_ZN7rocprim17ROCPRIM_400000_NS6detail17trampoline_kernelINS0_14default_configENS1_25transform_config_selectorIaLb0EEEZNS1_14transform_implILb0ES3_S5_NS0_18transform_iteratorINS0_17counting_iteratorImlEEZNS1_24adjacent_difference_implIS3_Lb1ELb0EPaSB_N6thrust23THRUST_200600_302600_NS4plusIaEEEE10hipError_tPvRmT2_T3_mT4_P12ihipStream_tbEUlmE_aEESB_NS0_8identityIvEEEESG_SJ_SK_mSL_SN_bEUlT_E_NS1_11comp_targetILNS1_3genE2ELNS1_11target_archE906ELNS1_3gpuE6ELNS1_3repE0EEENS1_30default_config_static_selectorELNS0_4arch9wavefront6targetE1EEEvT1_,comdat
.Lfunc_end38:
	.size	_ZN7rocprim17ROCPRIM_400000_NS6detail17trampoline_kernelINS0_14default_configENS1_25transform_config_selectorIaLb0EEEZNS1_14transform_implILb0ES3_S5_NS0_18transform_iteratorINS0_17counting_iteratorImlEEZNS1_24adjacent_difference_implIS3_Lb1ELb0EPaSB_N6thrust23THRUST_200600_302600_NS4plusIaEEEE10hipError_tPvRmT2_T3_mT4_P12ihipStream_tbEUlmE_aEESB_NS0_8identityIvEEEESG_SJ_SK_mSL_SN_bEUlT_E_NS1_11comp_targetILNS1_3genE2ELNS1_11target_archE906ELNS1_3gpuE6ELNS1_3repE0EEENS1_30default_config_static_selectorELNS0_4arch9wavefront6targetE1EEEvT1_, .Lfunc_end38-_ZN7rocprim17ROCPRIM_400000_NS6detail17trampoline_kernelINS0_14default_configENS1_25transform_config_selectorIaLb0EEEZNS1_14transform_implILb0ES3_S5_NS0_18transform_iteratorINS0_17counting_iteratorImlEEZNS1_24adjacent_difference_implIS3_Lb1ELb0EPaSB_N6thrust23THRUST_200600_302600_NS4plusIaEEEE10hipError_tPvRmT2_T3_mT4_P12ihipStream_tbEUlmE_aEESB_NS0_8identityIvEEEESG_SJ_SK_mSL_SN_bEUlT_E_NS1_11comp_targetILNS1_3genE2ELNS1_11target_archE906ELNS1_3gpuE6ELNS1_3repE0EEENS1_30default_config_static_selectorELNS0_4arch9wavefront6targetE1EEEvT1_
                                        ; -- End function
	.section	.AMDGPU.csdata,"",@progbits
; Kernel info:
; codeLenInByte = 0
; NumSgprs: 4
; NumVgprs: 0
; NumAgprs: 0
; TotalNumVgprs: 0
; ScratchSize: 0
; MemoryBound: 0
; FloatMode: 240
; IeeeMode: 1
; LDSByteSize: 0 bytes/workgroup (compile time only)
; SGPRBlocks: 0
; VGPRBlocks: 0
; NumSGPRsForWavesPerEU: 4
; NumVGPRsForWavesPerEU: 1
; AccumOffset: 4
; Occupancy: 8
; WaveLimiterHint : 0
; COMPUTE_PGM_RSRC2:SCRATCH_EN: 0
; COMPUTE_PGM_RSRC2:USER_SGPR: 6
; COMPUTE_PGM_RSRC2:TRAP_HANDLER: 0
; COMPUTE_PGM_RSRC2:TGID_X_EN: 1
; COMPUTE_PGM_RSRC2:TGID_Y_EN: 0
; COMPUTE_PGM_RSRC2:TGID_Z_EN: 0
; COMPUTE_PGM_RSRC2:TIDIG_COMP_CNT: 0
; COMPUTE_PGM_RSRC3_GFX90A:ACCUM_OFFSET: 0
; COMPUTE_PGM_RSRC3_GFX90A:TG_SPLIT: 0
	.section	.text._ZN7rocprim17ROCPRIM_400000_NS6detail17trampoline_kernelINS0_14default_configENS1_25transform_config_selectorIaLb0EEEZNS1_14transform_implILb0ES3_S5_NS0_18transform_iteratorINS0_17counting_iteratorImlEEZNS1_24adjacent_difference_implIS3_Lb1ELb0EPaSB_N6thrust23THRUST_200600_302600_NS4plusIaEEEE10hipError_tPvRmT2_T3_mT4_P12ihipStream_tbEUlmE_aEESB_NS0_8identityIvEEEESG_SJ_SK_mSL_SN_bEUlT_E_NS1_11comp_targetILNS1_3genE10ELNS1_11target_archE1201ELNS1_3gpuE5ELNS1_3repE0EEENS1_30default_config_static_selectorELNS0_4arch9wavefront6targetE1EEEvT1_,"axG",@progbits,_ZN7rocprim17ROCPRIM_400000_NS6detail17trampoline_kernelINS0_14default_configENS1_25transform_config_selectorIaLb0EEEZNS1_14transform_implILb0ES3_S5_NS0_18transform_iteratorINS0_17counting_iteratorImlEEZNS1_24adjacent_difference_implIS3_Lb1ELb0EPaSB_N6thrust23THRUST_200600_302600_NS4plusIaEEEE10hipError_tPvRmT2_T3_mT4_P12ihipStream_tbEUlmE_aEESB_NS0_8identityIvEEEESG_SJ_SK_mSL_SN_bEUlT_E_NS1_11comp_targetILNS1_3genE10ELNS1_11target_archE1201ELNS1_3gpuE5ELNS1_3repE0EEENS1_30default_config_static_selectorELNS0_4arch9wavefront6targetE1EEEvT1_,comdat
	.protected	_ZN7rocprim17ROCPRIM_400000_NS6detail17trampoline_kernelINS0_14default_configENS1_25transform_config_selectorIaLb0EEEZNS1_14transform_implILb0ES3_S5_NS0_18transform_iteratorINS0_17counting_iteratorImlEEZNS1_24adjacent_difference_implIS3_Lb1ELb0EPaSB_N6thrust23THRUST_200600_302600_NS4plusIaEEEE10hipError_tPvRmT2_T3_mT4_P12ihipStream_tbEUlmE_aEESB_NS0_8identityIvEEEESG_SJ_SK_mSL_SN_bEUlT_E_NS1_11comp_targetILNS1_3genE10ELNS1_11target_archE1201ELNS1_3gpuE5ELNS1_3repE0EEENS1_30default_config_static_selectorELNS0_4arch9wavefront6targetE1EEEvT1_ ; -- Begin function _ZN7rocprim17ROCPRIM_400000_NS6detail17trampoline_kernelINS0_14default_configENS1_25transform_config_selectorIaLb0EEEZNS1_14transform_implILb0ES3_S5_NS0_18transform_iteratorINS0_17counting_iteratorImlEEZNS1_24adjacent_difference_implIS3_Lb1ELb0EPaSB_N6thrust23THRUST_200600_302600_NS4plusIaEEEE10hipError_tPvRmT2_T3_mT4_P12ihipStream_tbEUlmE_aEESB_NS0_8identityIvEEEESG_SJ_SK_mSL_SN_bEUlT_E_NS1_11comp_targetILNS1_3genE10ELNS1_11target_archE1201ELNS1_3gpuE5ELNS1_3repE0EEENS1_30default_config_static_selectorELNS0_4arch9wavefront6targetE1EEEvT1_
	.globl	_ZN7rocprim17ROCPRIM_400000_NS6detail17trampoline_kernelINS0_14default_configENS1_25transform_config_selectorIaLb0EEEZNS1_14transform_implILb0ES3_S5_NS0_18transform_iteratorINS0_17counting_iteratorImlEEZNS1_24adjacent_difference_implIS3_Lb1ELb0EPaSB_N6thrust23THRUST_200600_302600_NS4plusIaEEEE10hipError_tPvRmT2_T3_mT4_P12ihipStream_tbEUlmE_aEESB_NS0_8identityIvEEEESG_SJ_SK_mSL_SN_bEUlT_E_NS1_11comp_targetILNS1_3genE10ELNS1_11target_archE1201ELNS1_3gpuE5ELNS1_3repE0EEENS1_30default_config_static_selectorELNS0_4arch9wavefront6targetE1EEEvT1_
	.p2align	8
	.type	_ZN7rocprim17ROCPRIM_400000_NS6detail17trampoline_kernelINS0_14default_configENS1_25transform_config_selectorIaLb0EEEZNS1_14transform_implILb0ES3_S5_NS0_18transform_iteratorINS0_17counting_iteratorImlEEZNS1_24adjacent_difference_implIS3_Lb1ELb0EPaSB_N6thrust23THRUST_200600_302600_NS4plusIaEEEE10hipError_tPvRmT2_T3_mT4_P12ihipStream_tbEUlmE_aEESB_NS0_8identityIvEEEESG_SJ_SK_mSL_SN_bEUlT_E_NS1_11comp_targetILNS1_3genE10ELNS1_11target_archE1201ELNS1_3gpuE5ELNS1_3repE0EEENS1_30default_config_static_selectorELNS0_4arch9wavefront6targetE1EEEvT1_,@function
_ZN7rocprim17ROCPRIM_400000_NS6detail17trampoline_kernelINS0_14default_configENS1_25transform_config_selectorIaLb0EEEZNS1_14transform_implILb0ES3_S5_NS0_18transform_iteratorINS0_17counting_iteratorImlEEZNS1_24adjacent_difference_implIS3_Lb1ELb0EPaSB_N6thrust23THRUST_200600_302600_NS4plusIaEEEE10hipError_tPvRmT2_T3_mT4_P12ihipStream_tbEUlmE_aEESB_NS0_8identityIvEEEESG_SJ_SK_mSL_SN_bEUlT_E_NS1_11comp_targetILNS1_3genE10ELNS1_11target_archE1201ELNS1_3gpuE5ELNS1_3repE0EEENS1_30default_config_static_selectorELNS0_4arch9wavefront6targetE1EEEvT1_: ; @_ZN7rocprim17ROCPRIM_400000_NS6detail17trampoline_kernelINS0_14default_configENS1_25transform_config_selectorIaLb0EEEZNS1_14transform_implILb0ES3_S5_NS0_18transform_iteratorINS0_17counting_iteratorImlEEZNS1_24adjacent_difference_implIS3_Lb1ELb0EPaSB_N6thrust23THRUST_200600_302600_NS4plusIaEEEE10hipError_tPvRmT2_T3_mT4_P12ihipStream_tbEUlmE_aEESB_NS0_8identityIvEEEESG_SJ_SK_mSL_SN_bEUlT_E_NS1_11comp_targetILNS1_3genE10ELNS1_11target_archE1201ELNS1_3gpuE5ELNS1_3repE0EEENS1_30default_config_static_selectorELNS0_4arch9wavefront6targetE1EEEvT1_
; %bb.0:
	.section	.rodata,"a",@progbits
	.p2align	6, 0x0
	.amdhsa_kernel _ZN7rocprim17ROCPRIM_400000_NS6detail17trampoline_kernelINS0_14default_configENS1_25transform_config_selectorIaLb0EEEZNS1_14transform_implILb0ES3_S5_NS0_18transform_iteratorINS0_17counting_iteratorImlEEZNS1_24adjacent_difference_implIS3_Lb1ELb0EPaSB_N6thrust23THRUST_200600_302600_NS4plusIaEEEE10hipError_tPvRmT2_T3_mT4_P12ihipStream_tbEUlmE_aEESB_NS0_8identityIvEEEESG_SJ_SK_mSL_SN_bEUlT_E_NS1_11comp_targetILNS1_3genE10ELNS1_11target_archE1201ELNS1_3gpuE5ELNS1_3repE0EEENS1_30default_config_static_selectorELNS0_4arch9wavefront6targetE1EEEvT1_
		.amdhsa_group_segment_fixed_size 0
		.amdhsa_private_segment_fixed_size 0
		.amdhsa_kernarg_size 56
		.amdhsa_user_sgpr_count 6
		.amdhsa_user_sgpr_private_segment_buffer 1
		.amdhsa_user_sgpr_dispatch_ptr 0
		.amdhsa_user_sgpr_queue_ptr 0
		.amdhsa_user_sgpr_kernarg_segment_ptr 1
		.amdhsa_user_sgpr_dispatch_id 0
		.amdhsa_user_sgpr_flat_scratch_init 0
		.amdhsa_user_sgpr_kernarg_preload_length 0
		.amdhsa_user_sgpr_kernarg_preload_offset 0
		.amdhsa_user_sgpr_private_segment_size 0
		.amdhsa_uses_dynamic_stack 0
		.amdhsa_system_sgpr_private_segment_wavefront_offset 0
		.amdhsa_system_sgpr_workgroup_id_x 1
		.amdhsa_system_sgpr_workgroup_id_y 0
		.amdhsa_system_sgpr_workgroup_id_z 0
		.amdhsa_system_sgpr_workgroup_info 0
		.amdhsa_system_vgpr_workitem_id 0
		.amdhsa_next_free_vgpr 1
		.amdhsa_next_free_sgpr 0
		.amdhsa_accum_offset 4
		.amdhsa_reserve_vcc 0
		.amdhsa_reserve_flat_scratch 0
		.amdhsa_float_round_mode_32 0
		.amdhsa_float_round_mode_16_64 0
		.amdhsa_float_denorm_mode_32 3
		.amdhsa_float_denorm_mode_16_64 3
		.amdhsa_dx10_clamp 1
		.amdhsa_ieee_mode 1
		.amdhsa_fp16_overflow 0
		.amdhsa_tg_split 0
		.amdhsa_exception_fp_ieee_invalid_op 0
		.amdhsa_exception_fp_denorm_src 0
		.amdhsa_exception_fp_ieee_div_zero 0
		.amdhsa_exception_fp_ieee_overflow 0
		.amdhsa_exception_fp_ieee_underflow 0
		.amdhsa_exception_fp_ieee_inexact 0
		.amdhsa_exception_int_div_zero 0
	.end_amdhsa_kernel
	.section	.text._ZN7rocprim17ROCPRIM_400000_NS6detail17trampoline_kernelINS0_14default_configENS1_25transform_config_selectorIaLb0EEEZNS1_14transform_implILb0ES3_S5_NS0_18transform_iteratorINS0_17counting_iteratorImlEEZNS1_24adjacent_difference_implIS3_Lb1ELb0EPaSB_N6thrust23THRUST_200600_302600_NS4plusIaEEEE10hipError_tPvRmT2_T3_mT4_P12ihipStream_tbEUlmE_aEESB_NS0_8identityIvEEEESG_SJ_SK_mSL_SN_bEUlT_E_NS1_11comp_targetILNS1_3genE10ELNS1_11target_archE1201ELNS1_3gpuE5ELNS1_3repE0EEENS1_30default_config_static_selectorELNS0_4arch9wavefront6targetE1EEEvT1_,"axG",@progbits,_ZN7rocprim17ROCPRIM_400000_NS6detail17trampoline_kernelINS0_14default_configENS1_25transform_config_selectorIaLb0EEEZNS1_14transform_implILb0ES3_S5_NS0_18transform_iteratorINS0_17counting_iteratorImlEEZNS1_24adjacent_difference_implIS3_Lb1ELb0EPaSB_N6thrust23THRUST_200600_302600_NS4plusIaEEEE10hipError_tPvRmT2_T3_mT4_P12ihipStream_tbEUlmE_aEESB_NS0_8identityIvEEEESG_SJ_SK_mSL_SN_bEUlT_E_NS1_11comp_targetILNS1_3genE10ELNS1_11target_archE1201ELNS1_3gpuE5ELNS1_3repE0EEENS1_30default_config_static_selectorELNS0_4arch9wavefront6targetE1EEEvT1_,comdat
.Lfunc_end39:
	.size	_ZN7rocprim17ROCPRIM_400000_NS6detail17trampoline_kernelINS0_14default_configENS1_25transform_config_selectorIaLb0EEEZNS1_14transform_implILb0ES3_S5_NS0_18transform_iteratorINS0_17counting_iteratorImlEEZNS1_24adjacent_difference_implIS3_Lb1ELb0EPaSB_N6thrust23THRUST_200600_302600_NS4plusIaEEEE10hipError_tPvRmT2_T3_mT4_P12ihipStream_tbEUlmE_aEESB_NS0_8identityIvEEEESG_SJ_SK_mSL_SN_bEUlT_E_NS1_11comp_targetILNS1_3genE10ELNS1_11target_archE1201ELNS1_3gpuE5ELNS1_3repE0EEENS1_30default_config_static_selectorELNS0_4arch9wavefront6targetE1EEEvT1_, .Lfunc_end39-_ZN7rocprim17ROCPRIM_400000_NS6detail17trampoline_kernelINS0_14default_configENS1_25transform_config_selectorIaLb0EEEZNS1_14transform_implILb0ES3_S5_NS0_18transform_iteratorINS0_17counting_iteratorImlEEZNS1_24adjacent_difference_implIS3_Lb1ELb0EPaSB_N6thrust23THRUST_200600_302600_NS4plusIaEEEE10hipError_tPvRmT2_T3_mT4_P12ihipStream_tbEUlmE_aEESB_NS0_8identityIvEEEESG_SJ_SK_mSL_SN_bEUlT_E_NS1_11comp_targetILNS1_3genE10ELNS1_11target_archE1201ELNS1_3gpuE5ELNS1_3repE0EEENS1_30default_config_static_selectorELNS0_4arch9wavefront6targetE1EEEvT1_
                                        ; -- End function
	.section	.AMDGPU.csdata,"",@progbits
; Kernel info:
; codeLenInByte = 0
; NumSgprs: 4
; NumVgprs: 0
; NumAgprs: 0
; TotalNumVgprs: 0
; ScratchSize: 0
; MemoryBound: 0
; FloatMode: 240
; IeeeMode: 1
; LDSByteSize: 0 bytes/workgroup (compile time only)
; SGPRBlocks: 0
; VGPRBlocks: 0
; NumSGPRsForWavesPerEU: 4
; NumVGPRsForWavesPerEU: 1
; AccumOffset: 4
; Occupancy: 8
; WaveLimiterHint : 0
; COMPUTE_PGM_RSRC2:SCRATCH_EN: 0
; COMPUTE_PGM_RSRC2:USER_SGPR: 6
; COMPUTE_PGM_RSRC2:TRAP_HANDLER: 0
; COMPUTE_PGM_RSRC2:TGID_X_EN: 1
; COMPUTE_PGM_RSRC2:TGID_Y_EN: 0
; COMPUTE_PGM_RSRC2:TGID_Z_EN: 0
; COMPUTE_PGM_RSRC2:TIDIG_COMP_CNT: 0
; COMPUTE_PGM_RSRC3_GFX90A:ACCUM_OFFSET: 0
; COMPUTE_PGM_RSRC3_GFX90A:TG_SPLIT: 0
	.section	.text._ZN7rocprim17ROCPRIM_400000_NS6detail17trampoline_kernelINS0_14default_configENS1_25transform_config_selectorIaLb0EEEZNS1_14transform_implILb0ES3_S5_NS0_18transform_iteratorINS0_17counting_iteratorImlEEZNS1_24adjacent_difference_implIS3_Lb1ELb0EPaSB_N6thrust23THRUST_200600_302600_NS4plusIaEEEE10hipError_tPvRmT2_T3_mT4_P12ihipStream_tbEUlmE_aEESB_NS0_8identityIvEEEESG_SJ_SK_mSL_SN_bEUlT_E_NS1_11comp_targetILNS1_3genE10ELNS1_11target_archE1200ELNS1_3gpuE4ELNS1_3repE0EEENS1_30default_config_static_selectorELNS0_4arch9wavefront6targetE1EEEvT1_,"axG",@progbits,_ZN7rocprim17ROCPRIM_400000_NS6detail17trampoline_kernelINS0_14default_configENS1_25transform_config_selectorIaLb0EEEZNS1_14transform_implILb0ES3_S5_NS0_18transform_iteratorINS0_17counting_iteratorImlEEZNS1_24adjacent_difference_implIS3_Lb1ELb0EPaSB_N6thrust23THRUST_200600_302600_NS4plusIaEEEE10hipError_tPvRmT2_T3_mT4_P12ihipStream_tbEUlmE_aEESB_NS0_8identityIvEEEESG_SJ_SK_mSL_SN_bEUlT_E_NS1_11comp_targetILNS1_3genE10ELNS1_11target_archE1200ELNS1_3gpuE4ELNS1_3repE0EEENS1_30default_config_static_selectorELNS0_4arch9wavefront6targetE1EEEvT1_,comdat
	.protected	_ZN7rocprim17ROCPRIM_400000_NS6detail17trampoline_kernelINS0_14default_configENS1_25transform_config_selectorIaLb0EEEZNS1_14transform_implILb0ES3_S5_NS0_18transform_iteratorINS0_17counting_iteratorImlEEZNS1_24adjacent_difference_implIS3_Lb1ELb0EPaSB_N6thrust23THRUST_200600_302600_NS4plusIaEEEE10hipError_tPvRmT2_T3_mT4_P12ihipStream_tbEUlmE_aEESB_NS0_8identityIvEEEESG_SJ_SK_mSL_SN_bEUlT_E_NS1_11comp_targetILNS1_3genE10ELNS1_11target_archE1200ELNS1_3gpuE4ELNS1_3repE0EEENS1_30default_config_static_selectorELNS0_4arch9wavefront6targetE1EEEvT1_ ; -- Begin function _ZN7rocprim17ROCPRIM_400000_NS6detail17trampoline_kernelINS0_14default_configENS1_25transform_config_selectorIaLb0EEEZNS1_14transform_implILb0ES3_S5_NS0_18transform_iteratorINS0_17counting_iteratorImlEEZNS1_24adjacent_difference_implIS3_Lb1ELb0EPaSB_N6thrust23THRUST_200600_302600_NS4plusIaEEEE10hipError_tPvRmT2_T3_mT4_P12ihipStream_tbEUlmE_aEESB_NS0_8identityIvEEEESG_SJ_SK_mSL_SN_bEUlT_E_NS1_11comp_targetILNS1_3genE10ELNS1_11target_archE1200ELNS1_3gpuE4ELNS1_3repE0EEENS1_30default_config_static_selectorELNS0_4arch9wavefront6targetE1EEEvT1_
	.globl	_ZN7rocprim17ROCPRIM_400000_NS6detail17trampoline_kernelINS0_14default_configENS1_25transform_config_selectorIaLb0EEEZNS1_14transform_implILb0ES3_S5_NS0_18transform_iteratorINS0_17counting_iteratorImlEEZNS1_24adjacent_difference_implIS3_Lb1ELb0EPaSB_N6thrust23THRUST_200600_302600_NS4plusIaEEEE10hipError_tPvRmT2_T3_mT4_P12ihipStream_tbEUlmE_aEESB_NS0_8identityIvEEEESG_SJ_SK_mSL_SN_bEUlT_E_NS1_11comp_targetILNS1_3genE10ELNS1_11target_archE1200ELNS1_3gpuE4ELNS1_3repE0EEENS1_30default_config_static_selectorELNS0_4arch9wavefront6targetE1EEEvT1_
	.p2align	8
	.type	_ZN7rocprim17ROCPRIM_400000_NS6detail17trampoline_kernelINS0_14default_configENS1_25transform_config_selectorIaLb0EEEZNS1_14transform_implILb0ES3_S5_NS0_18transform_iteratorINS0_17counting_iteratorImlEEZNS1_24adjacent_difference_implIS3_Lb1ELb0EPaSB_N6thrust23THRUST_200600_302600_NS4plusIaEEEE10hipError_tPvRmT2_T3_mT4_P12ihipStream_tbEUlmE_aEESB_NS0_8identityIvEEEESG_SJ_SK_mSL_SN_bEUlT_E_NS1_11comp_targetILNS1_3genE10ELNS1_11target_archE1200ELNS1_3gpuE4ELNS1_3repE0EEENS1_30default_config_static_selectorELNS0_4arch9wavefront6targetE1EEEvT1_,@function
_ZN7rocprim17ROCPRIM_400000_NS6detail17trampoline_kernelINS0_14default_configENS1_25transform_config_selectorIaLb0EEEZNS1_14transform_implILb0ES3_S5_NS0_18transform_iteratorINS0_17counting_iteratorImlEEZNS1_24adjacent_difference_implIS3_Lb1ELb0EPaSB_N6thrust23THRUST_200600_302600_NS4plusIaEEEE10hipError_tPvRmT2_T3_mT4_P12ihipStream_tbEUlmE_aEESB_NS0_8identityIvEEEESG_SJ_SK_mSL_SN_bEUlT_E_NS1_11comp_targetILNS1_3genE10ELNS1_11target_archE1200ELNS1_3gpuE4ELNS1_3repE0EEENS1_30default_config_static_selectorELNS0_4arch9wavefront6targetE1EEEvT1_: ; @_ZN7rocprim17ROCPRIM_400000_NS6detail17trampoline_kernelINS0_14default_configENS1_25transform_config_selectorIaLb0EEEZNS1_14transform_implILb0ES3_S5_NS0_18transform_iteratorINS0_17counting_iteratorImlEEZNS1_24adjacent_difference_implIS3_Lb1ELb0EPaSB_N6thrust23THRUST_200600_302600_NS4plusIaEEEE10hipError_tPvRmT2_T3_mT4_P12ihipStream_tbEUlmE_aEESB_NS0_8identityIvEEEESG_SJ_SK_mSL_SN_bEUlT_E_NS1_11comp_targetILNS1_3genE10ELNS1_11target_archE1200ELNS1_3gpuE4ELNS1_3repE0EEENS1_30default_config_static_selectorELNS0_4arch9wavefront6targetE1EEEvT1_
; %bb.0:
	.section	.rodata,"a",@progbits
	.p2align	6, 0x0
	.amdhsa_kernel _ZN7rocprim17ROCPRIM_400000_NS6detail17trampoline_kernelINS0_14default_configENS1_25transform_config_selectorIaLb0EEEZNS1_14transform_implILb0ES3_S5_NS0_18transform_iteratorINS0_17counting_iteratorImlEEZNS1_24adjacent_difference_implIS3_Lb1ELb0EPaSB_N6thrust23THRUST_200600_302600_NS4plusIaEEEE10hipError_tPvRmT2_T3_mT4_P12ihipStream_tbEUlmE_aEESB_NS0_8identityIvEEEESG_SJ_SK_mSL_SN_bEUlT_E_NS1_11comp_targetILNS1_3genE10ELNS1_11target_archE1200ELNS1_3gpuE4ELNS1_3repE0EEENS1_30default_config_static_selectorELNS0_4arch9wavefront6targetE1EEEvT1_
		.amdhsa_group_segment_fixed_size 0
		.amdhsa_private_segment_fixed_size 0
		.amdhsa_kernarg_size 56
		.amdhsa_user_sgpr_count 6
		.amdhsa_user_sgpr_private_segment_buffer 1
		.amdhsa_user_sgpr_dispatch_ptr 0
		.amdhsa_user_sgpr_queue_ptr 0
		.amdhsa_user_sgpr_kernarg_segment_ptr 1
		.amdhsa_user_sgpr_dispatch_id 0
		.amdhsa_user_sgpr_flat_scratch_init 0
		.amdhsa_user_sgpr_kernarg_preload_length 0
		.amdhsa_user_sgpr_kernarg_preload_offset 0
		.amdhsa_user_sgpr_private_segment_size 0
		.amdhsa_uses_dynamic_stack 0
		.amdhsa_system_sgpr_private_segment_wavefront_offset 0
		.amdhsa_system_sgpr_workgroup_id_x 1
		.amdhsa_system_sgpr_workgroup_id_y 0
		.amdhsa_system_sgpr_workgroup_id_z 0
		.amdhsa_system_sgpr_workgroup_info 0
		.amdhsa_system_vgpr_workitem_id 0
		.amdhsa_next_free_vgpr 1
		.amdhsa_next_free_sgpr 0
		.amdhsa_accum_offset 4
		.amdhsa_reserve_vcc 0
		.amdhsa_reserve_flat_scratch 0
		.amdhsa_float_round_mode_32 0
		.amdhsa_float_round_mode_16_64 0
		.amdhsa_float_denorm_mode_32 3
		.amdhsa_float_denorm_mode_16_64 3
		.amdhsa_dx10_clamp 1
		.amdhsa_ieee_mode 1
		.amdhsa_fp16_overflow 0
		.amdhsa_tg_split 0
		.amdhsa_exception_fp_ieee_invalid_op 0
		.amdhsa_exception_fp_denorm_src 0
		.amdhsa_exception_fp_ieee_div_zero 0
		.amdhsa_exception_fp_ieee_overflow 0
		.amdhsa_exception_fp_ieee_underflow 0
		.amdhsa_exception_fp_ieee_inexact 0
		.amdhsa_exception_int_div_zero 0
	.end_amdhsa_kernel
	.section	.text._ZN7rocprim17ROCPRIM_400000_NS6detail17trampoline_kernelINS0_14default_configENS1_25transform_config_selectorIaLb0EEEZNS1_14transform_implILb0ES3_S5_NS0_18transform_iteratorINS0_17counting_iteratorImlEEZNS1_24adjacent_difference_implIS3_Lb1ELb0EPaSB_N6thrust23THRUST_200600_302600_NS4plusIaEEEE10hipError_tPvRmT2_T3_mT4_P12ihipStream_tbEUlmE_aEESB_NS0_8identityIvEEEESG_SJ_SK_mSL_SN_bEUlT_E_NS1_11comp_targetILNS1_3genE10ELNS1_11target_archE1200ELNS1_3gpuE4ELNS1_3repE0EEENS1_30default_config_static_selectorELNS0_4arch9wavefront6targetE1EEEvT1_,"axG",@progbits,_ZN7rocprim17ROCPRIM_400000_NS6detail17trampoline_kernelINS0_14default_configENS1_25transform_config_selectorIaLb0EEEZNS1_14transform_implILb0ES3_S5_NS0_18transform_iteratorINS0_17counting_iteratorImlEEZNS1_24adjacent_difference_implIS3_Lb1ELb0EPaSB_N6thrust23THRUST_200600_302600_NS4plusIaEEEE10hipError_tPvRmT2_T3_mT4_P12ihipStream_tbEUlmE_aEESB_NS0_8identityIvEEEESG_SJ_SK_mSL_SN_bEUlT_E_NS1_11comp_targetILNS1_3genE10ELNS1_11target_archE1200ELNS1_3gpuE4ELNS1_3repE0EEENS1_30default_config_static_selectorELNS0_4arch9wavefront6targetE1EEEvT1_,comdat
.Lfunc_end40:
	.size	_ZN7rocprim17ROCPRIM_400000_NS6detail17trampoline_kernelINS0_14default_configENS1_25transform_config_selectorIaLb0EEEZNS1_14transform_implILb0ES3_S5_NS0_18transform_iteratorINS0_17counting_iteratorImlEEZNS1_24adjacent_difference_implIS3_Lb1ELb0EPaSB_N6thrust23THRUST_200600_302600_NS4plusIaEEEE10hipError_tPvRmT2_T3_mT4_P12ihipStream_tbEUlmE_aEESB_NS0_8identityIvEEEESG_SJ_SK_mSL_SN_bEUlT_E_NS1_11comp_targetILNS1_3genE10ELNS1_11target_archE1200ELNS1_3gpuE4ELNS1_3repE0EEENS1_30default_config_static_selectorELNS0_4arch9wavefront6targetE1EEEvT1_, .Lfunc_end40-_ZN7rocprim17ROCPRIM_400000_NS6detail17trampoline_kernelINS0_14default_configENS1_25transform_config_selectorIaLb0EEEZNS1_14transform_implILb0ES3_S5_NS0_18transform_iteratorINS0_17counting_iteratorImlEEZNS1_24adjacent_difference_implIS3_Lb1ELb0EPaSB_N6thrust23THRUST_200600_302600_NS4plusIaEEEE10hipError_tPvRmT2_T3_mT4_P12ihipStream_tbEUlmE_aEESB_NS0_8identityIvEEEESG_SJ_SK_mSL_SN_bEUlT_E_NS1_11comp_targetILNS1_3genE10ELNS1_11target_archE1200ELNS1_3gpuE4ELNS1_3repE0EEENS1_30default_config_static_selectorELNS0_4arch9wavefront6targetE1EEEvT1_
                                        ; -- End function
	.section	.AMDGPU.csdata,"",@progbits
; Kernel info:
; codeLenInByte = 0
; NumSgprs: 4
; NumVgprs: 0
; NumAgprs: 0
; TotalNumVgprs: 0
; ScratchSize: 0
; MemoryBound: 0
; FloatMode: 240
; IeeeMode: 1
; LDSByteSize: 0 bytes/workgroup (compile time only)
; SGPRBlocks: 0
; VGPRBlocks: 0
; NumSGPRsForWavesPerEU: 4
; NumVGPRsForWavesPerEU: 1
; AccumOffset: 4
; Occupancy: 8
; WaveLimiterHint : 0
; COMPUTE_PGM_RSRC2:SCRATCH_EN: 0
; COMPUTE_PGM_RSRC2:USER_SGPR: 6
; COMPUTE_PGM_RSRC2:TRAP_HANDLER: 0
; COMPUTE_PGM_RSRC2:TGID_X_EN: 1
; COMPUTE_PGM_RSRC2:TGID_Y_EN: 0
; COMPUTE_PGM_RSRC2:TGID_Z_EN: 0
; COMPUTE_PGM_RSRC2:TIDIG_COMP_CNT: 0
; COMPUTE_PGM_RSRC3_GFX90A:ACCUM_OFFSET: 0
; COMPUTE_PGM_RSRC3_GFX90A:TG_SPLIT: 0
	.section	.text._ZN7rocprim17ROCPRIM_400000_NS6detail17trampoline_kernelINS0_14default_configENS1_25transform_config_selectorIaLb0EEEZNS1_14transform_implILb0ES3_S5_NS0_18transform_iteratorINS0_17counting_iteratorImlEEZNS1_24adjacent_difference_implIS3_Lb1ELb0EPaSB_N6thrust23THRUST_200600_302600_NS4plusIaEEEE10hipError_tPvRmT2_T3_mT4_P12ihipStream_tbEUlmE_aEESB_NS0_8identityIvEEEESG_SJ_SK_mSL_SN_bEUlT_E_NS1_11comp_targetILNS1_3genE9ELNS1_11target_archE1100ELNS1_3gpuE3ELNS1_3repE0EEENS1_30default_config_static_selectorELNS0_4arch9wavefront6targetE1EEEvT1_,"axG",@progbits,_ZN7rocprim17ROCPRIM_400000_NS6detail17trampoline_kernelINS0_14default_configENS1_25transform_config_selectorIaLb0EEEZNS1_14transform_implILb0ES3_S5_NS0_18transform_iteratorINS0_17counting_iteratorImlEEZNS1_24adjacent_difference_implIS3_Lb1ELb0EPaSB_N6thrust23THRUST_200600_302600_NS4plusIaEEEE10hipError_tPvRmT2_T3_mT4_P12ihipStream_tbEUlmE_aEESB_NS0_8identityIvEEEESG_SJ_SK_mSL_SN_bEUlT_E_NS1_11comp_targetILNS1_3genE9ELNS1_11target_archE1100ELNS1_3gpuE3ELNS1_3repE0EEENS1_30default_config_static_selectorELNS0_4arch9wavefront6targetE1EEEvT1_,comdat
	.protected	_ZN7rocprim17ROCPRIM_400000_NS6detail17trampoline_kernelINS0_14default_configENS1_25transform_config_selectorIaLb0EEEZNS1_14transform_implILb0ES3_S5_NS0_18transform_iteratorINS0_17counting_iteratorImlEEZNS1_24adjacent_difference_implIS3_Lb1ELb0EPaSB_N6thrust23THRUST_200600_302600_NS4plusIaEEEE10hipError_tPvRmT2_T3_mT4_P12ihipStream_tbEUlmE_aEESB_NS0_8identityIvEEEESG_SJ_SK_mSL_SN_bEUlT_E_NS1_11comp_targetILNS1_3genE9ELNS1_11target_archE1100ELNS1_3gpuE3ELNS1_3repE0EEENS1_30default_config_static_selectorELNS0_4arch9wavefront6targetE1EEEvT1_ ; -- Begin function _ZN7rocprim17ROCPRIM_400000_NS6detail17trampoline_kernelINS0_14default_configENS1_25transform_config_selectorIaLb0EEEZNS1_14transform_implILb0ES3_S5_NS0_18transform_iteratorINS0_17counting_iteratorImlEEZNS1_24adjacent_difference_implIS3_Lb1ELb0EPaSB_N6thrust23THRUST_200600_302600_NS4plusIaEEEE10hipError_tPvRmT2_T3_mT4_P12ihipStream_tbEUlmE_aEESB_NS0_8identityIvEEEESG_SJ_SK_mSL_SN_bEUlT_E_NS1_11comp_targetILNS1_3genE9ELNS1_11target_archE1100ELNS1_3gpuE3ELNS1_3repE0EEENS1_30default_config_static_selectorELNS0_4arch9wavefront6targetE1EEEvT1_
	.globl	_ZN7rocprim17ROCPRIM_400000_NS6detail17trampoline_kernelINS0_14default_configENS1_25transform_config_selectorIaLb0EEEZNS1_14transform_implILb0ES3_S5_NS0_18transform_iteratorINS0_17counting_iteratorImlEEZNS1_24adjacent_difference_implIS3_Lb1ELb0EPaSB_N6thrust23THRUST_200600_302600_NS4plusIaEEEE10hipError_tPvRmT2_T3_mT4_P12ihipStream_tbEUlmE_aEESB_NS0_8identityIvEEEESG_SJ_SK_mSL_SN_bEUlT_E_NS1_11comp_targetILNS1_3genE9ELNS1_11target_archE1100ELNS1_3gpuE3ELNS1_3repE0EEENS1_30default_config_static_selectorELNS0_4arch9wavefront6targetE1EEEvT1_
	.p2align	8
	.type	_ZN7rocprim17ROCPRIM_400000_NS6detail17trampoline_kernelINS0_14default_configENS1_25transform_config_selectorIaLb0EEEZNS1_14transform_implILb0ES3_S5_NS0_18transform_iteratorINS0_17counting_iteratorImlEEZNS1_24adjacent_difference_implIS3_Lb1ELb0EPaSB_N6thrust23THRUST_200600_302600_NS4plusIaEEEE10hipError_tPvRmT2_T3_mT4_P12ihipStream_tbEUlmE_aEESB_NS0_8identityIvEEEESG_SJ_SK_mSL_SN_bEUlT_E_NS1_11comp_targetILNS1_3genE9ELNS1_11target_archE1100ELNS1_3gpuE3ELNS1_3repE0EEENS1_30default_config_static_selectorELNS0_4arch9wavefront6targetE1EEEvT1_,@function
_ZN7rocprim17ROCPRIM_400000_NS6detail17trampoline_kernelINS0_14default_configENS1_25transform_config_selectorIaLb0EEEZNS1_14transform_implILb0ES3_S5_NS0_18transform_iteratorINS0_17counting_iteratorImlEEZNS1_24adjacent_difference_implIS3_Lb1ELb0EPaSB_N6thrust23THRUST_200600_302600_NS4plusIaEEEE10hipError_tPvRmT2_T3_mT4_P12ihipStream_tbEUlmE_aEESB_NS0_8identityIvEEEESG_SJ_SK_mSL_SN_bEUlT_E_NS1_11comp_targetILNS1_3genE9ELNS1_11target_archE1100ELNS1_3gpuE3ELNS1_3repE0EEENS1_30default_config_static_selectorELNS0_4arch9wavefront6targetE1EEEvT1_: ; @_ZN7rocprim17ROCPRIM_400000_NS6detail17trampoline_kernelINS0_14default_configENS1_25transform_config_selectorIaLb0EEEZNS1_14transform_implILb0ES3_S5_NS0_18transform_iteratorINS0_17counting_iteratorImlEEZNS1_24adjacent_difference_implIS3_Lb1ELb0EPaSB_N6thrust23THRUST_200600_302600_NS4plusIaEEEE10hipError_tPvRmT2_T3_mT4_P12ihipStream_tbEUlmE_aEESB_NS0_8identityIvEEEESG_SJ_SK_mSL_SN_bEUlT_E_NS1_11comp_targetILNS1_3genE9ELNS1_11target_archE1100ELNS1_3gpuE3ELNS1_3repE0EEENS1_30default_config_static_selectorELNS0_4arch9wavefront6targetE1EEEvT1_
; %bb.0:
	.section	.rodata,"a",@progbits
	.p2align	6, 0x0
	.amdhsa_kernel _ZN7rocprim17ROCPRIM_400000_NS6detail17trampoline_kernelINS0_14default_configENS1_25transform_config_selectorIaLb0EEEZNS1_14transform_implILb0ES3_S5_NS0_18transform_iteratorINS0_17counting_iteratorImlEEZNS1_24adjacent_difference_implIS3_Lb1ELb0EPaSB_N6thrust23THRUST_200600_302600_NS4plusIaEEEE10hipError_tPvRmT2_T3_mT4_P12ihipStream_tbEUlmE_aEESB_NS0_8identityIvEEEESG_SJ_SK_mSL_SN_bEUlT_E_NS1_11comp_targetILNS1_3genE9ELNS1_11target_archE1100ELNS1_3gpuE3ELNS1_3repE0EEENS1_30default_config_static_selectorELNS0_4arch9wavefront6targetE1EEEvT1_
		.amdhsa_group_segment_fixed_size 0
		.amdhsa_private_segment_fixed_size 0
		.amdhsa_kernarg_size 56
		.amdhsa_user_sgpr_count 6
		.amdhsa_user_sgpr_private_segment_buffer 1
		.amdhsa_user_sgpr_dispatch_ptr 0
		.amdhsa_user_sgpr_queue_ptr 0
		.amdhsa_user_sgpr_kernarg_segment_ptr 1
		.amdhsa_user_sgpr_dispatch_id 0
		.amdhsa_user_sgpr_flat_scratch_init 0
		.amdhsa_user_sgpr_kernarg_preload_length 0
		.amdhsa_user_sgpr_kernarg_preload_offset 0
		.amdhsa_user_sgpr_private_segment_size 0
		.amdhsa_uses_dynamic_stack 0
		.amdhsa_system_sgpr_private_segment_wavefront_offset 0
		.amdhsa_system_sgpr_workgroup_id_x 1
		.amdhsa_system_sgpr_workgroup_id_y 0
		.amdhsa_system_sgpr_workgroup_id_z 0
		.amdhsa_system_sgpr_workgroup_info 0
		.amdhsa_system_vgpr_workitem_id 0
		.amdhsa_next_free_vgpr 1
		.amdhsa_next_free_sgpr 0
		.amdhsa_accum_offset 4
		.amdhsa_reserve_vcc 0
		.amdhsa_reserve_flat_scratch 0
		.amdhsa_float_round_mode_32 0
		.amdhsa_float_round_mode_16_64 0
		.amdhsa_float_denorm_mode_32 3
		.amdhsa_float_denorm_mode_16_64 3
		.amdhsa_dx10_clamp 1
		.amdhsa_ieee_mode 1
		.amdhsa_fp16_overflow 0
		.amdhsa_tg_split 0
		.amdhsa_exception_fp_ieee_invalid_op 0
		.amdhsa_exception_fp_denorm_src 0
		.amdhsa_exception_fp_ieee_div_zero 0
		.amdhsa_exception_fp_ieee_overflow 0
		.amdhsa_exception_fp_ieee_underflow 0
		.amdhsa_exception_fp_ieee_inexact 0
		.amdhsa_exception_int_div_zero 0
	.end_amdhsa_kernel
	.section	.text._ZN7rocprim17ROCPRIM_400000_NS6detail17trampoline_kernelINS0_14default_configENS1_25transform_config_selectorIaLb0EEEZNS1_14transform_implILb0ES3_S5_NS0_18transform_iteratorINS0_17counting_iteratorImlEEZNS1_24adjacent_difference_implIS3_Lb1ELb0EPaSB_N6thrust23THRUST_200600_302600_NS4plusIaEEEE10hipError_tPvRmT2_T3_mT4_P12ihipStream_tbEUlmE_aEESB_NS0_8identityIvEEEESG_SJ_SK_mSL_SN_bEUlT_E_NS1_11comp_targetILNS1_3genE9ELNS1_11target_archE1100ELNS1_3gpuE3ELNS1_3repE0EEENS1_30default_config_static_selectorELNS0_4arch9wavefront6targetE1EEEvT1_,"axG",@progbits,_ZN7rocprim17ROCPRIM_400000_NS6detail17trampoline_kernelINS0_14default_configENS1_25transform_config_selectorIaLb0EEEZNS1_14transform_implILb0ES3_S5_NS0_18transform_iteratorINS0_17counting_iteratorImlEEZNS1_24adjacent_difference_implIS3_Lb1ELb0EPaSB_N6thrust23THRUST_200600_302600_NS4plusIaEEEE10hipError_tPvRmT2_T3_mT4_P12ihipStream_tbEUlmE_aEESB_NS0_8identityIvEEEESG_SJ_SK_mSL_SN_bEUlT_E_NS1_11comp_targetILNS1_3genE9ELNS1_11target_archE1100ELNS1_3gpuE3ELNS1_3repE0EEENS1_30default_config_static_selectorELNS0_4arch9wavefront6targetE1EEEvT1_,comdat
.Lfunc_end41:
	.size	_ZN7rocprim17ROCPRIM_400000_NS6detail17trampoline_kernelINS0_14default_configENS1_25transform_config_selectorIaLb0EEEZNS1_14transform_implILb0ES3_S5_NS0_18transform_iteratorINS0_17counting_iteratorImlEEZNS1_24adjacent_difference_implIS3_Lb1ELb0EPaSB_N6thrust23THRUST_200600_302600_NS4plusIaEEEE10hipError_tPvRmT2_T3_mT4_P12ihipStream_tbEUlmE_aEESB_NS0_8identityIvEEEESG_SJ_SK_mSL_SN_bEUlT_E_NS1_11comp_targetILNS1_3genE9ELNS1_11target_archE1100ELNS1_3gpuE3ELNS1_3repE0EEENS1_30default_config_static_selectorELNS0_4arch9wavefront6targetE1EEEvT1_, .Lfunc_end41-_ZN7rocprim17ROCPRIM_400000_NS6detail17trampoline_kernelINS0_14default_configENS1_25transform_config_selectorIaLb0EEEZNS1_14transform_implILb0ES3_S5_NS0_18transform_iteratorINS0_17counting_iteratorImlEEZNS1_24adjacent_difference_implIS3_Lb1ELb0EPaSB_N6thrust23THRUST_200600_302600_NS4plusIaEEEE10hipError_tPvRmT2_T3_mT4_P12ihipStream_tbEUlmE_aEESB_NS0_8identityIvEEEESG_SJ_SK_mSL_SN_bEUlT_E_NS1_11comp_targetILNS1_3genE9ELNS1_11target_archE1100ELNS1_3gpuE3ELNS1_3repE0EEENS1_30default_config_static_selectorELNS0_4arch9wavefront6targetE1EEEvT1_
                                        ; -- End function
	.section	.AMDGPU.csdata,"",@progbits
; Kernel info:
; codeLenInByte = 0
; NumSgprs: 4
; NumVgprs: 0
; NumAgprs: 0
; TotalNumVgprs: 0
; ScratchSize: 0
; MemoryBound: 0
; FloatMode: 240
; IeeeMode: 1
; LDSByteSize: 0 bytes/workgroup (compile time only)
; SGPRBlocks: 0
; VGPRBlocks: 0
; NumSGPRsForWavesPerEU: 4
; NumVGPRsForWavesPerEU: 1
; AccumOffset: 4
; Occupancy: 8
; WaveLimiterHint : 0
; COMPUTE_PGM_RSRC2:SCRATCH_EN: 0
; COMPUTE_PGM_RSRC2:USER_SGPR: 6
; COMPUTE_PGM_RSRC2:TRAP_HANDLER: 0
; COMPUTE_PGM_RSRC2:TGID_X_EN: 1
; COMPUTE_PGM_RSRC2:TGID_Y_EN: 0
; COMPUTE_PGM_RSRC2:TGID_Z_EN: 0
; COMPUTE_PGM_RSRC2:TIDIG_COMP_CNT: 0
; COMPUTE_PGM_RSRC3_GFX90A:ACCUM_OFFSET: 0
; COMPUTE_PGM_RSRC3_GFX90A:TG_SPLIT: 0
	.section	.text._ZN7rocprim17ROCPRIM_400000_NS6detail17trampoline_kernelINS0_14default_configENS1_25transform_config_selectorIaLb0EEEZNS1_14transform_implILb0ES3_S5_NS0_18transform_iteratorINS0_17counting_iteratorImlEEZNS1_24adjacent_difference_implIS3_Lb1ELb0EPaSB_N6thrust23THRUST_200600_302600_NS4plusIaEEEE10hipError_tPvRmT2_T3_mT4_P12ihipStream_tbEUlmE_aEESB_NS0_8identityIvEEEESG_SJ_SK_mSL_SN_bEUlT_E_NS1_11comp_targetILNS1_3genE8ELNS1_11target_archE1030ELNS1_3gpuE2ELNS1_3repE0EEENS1_30default_config_static_selectorELNS0_4arch9wavefront6targetE1EEEvT1_,"axG",@progbits,_ZN7rocprim17ROCPRIM_400000_NS6detail17trampoline_kernelINS0_14default_configENS1_25transform_config_selectorIaLb0EEEZNS1_14transform_implILb0ES3_S5_NS0_18transform_iteratorINS0_17counting_iteratorImlEEZNS1_24adjacent_difference_implIS3_Lb1ELb0EPaSB_N6thrust23THRUST_200600_302600_NS4plusIaEEEE10hipError_tPvRmT2_T3_mT4_P12ihipStream_tbEUlmE_aEESB_NS0_8identityIvEEEESG_SJ_SK_mSL_SN_bEUlT_E_NS1_11comp_targetILNS1_3genE8ELNS1_11target_archE1030ELNS1_3gpuE2ELNS1_3repE0EEENS1_30default_config_static_selectorELNS0_4arch9wavefront6targetE1EEEvT1_,comdat
	.protected	_ZN7rocprim17ROCPRIM_400000_NS6detail17trampoline_kernelINS0_14default_configENS1_25transform_config_selectorIaLb0EEEZNS1_14transform_implILb0ES3_S5_NS0_18transform_iteratorINS0_17counting_iteratorImlEEZNS1_24adjacent_difference_implIS3_Lb1ELb0EPaSB_N6thrust23THRUST_200600_302600_NS4plusIaEEEE10hipError_tPvRmT2_T3_mT4_P12ihipStream_tbEUlmE_aEESB_NS0_8identityIvEEEESG_SJ_SK_mSL_SN_bEUlT_E_NS1_11comp_targetILNS1_3genE8ELNS1_11target_archE1030ELNS1_3gpuE2ELNS1_3repE0EEENS1_30default_config_static_selectorELNS0_4arch9wavefront6targetE1EEEvT1_ ; -- Begin function _ZN7rocprim17ROCPRIM_400000_NS6detail17trampoline_kernelINS0_14default_configENS1_25transform_config_selectorIaLb0EEEZNS1_14transform_implILb0ES3_S5_NS0_18transform_iteratorINS0_17counting_iteratorImlEEZNS1_24adjacent_difference_implIS3_Lb1ELb0EPaSB_N6thrust23THRUST_200600_302600_NS4plusIaEEEE10hipError_tPvRmT2_T3_mT4_P12ihipStream_tbEUlmE_aEESB_NS0_8identityIvEEEESG_SJ_SK_mSL_SN_bEUlT_E_NS1_11comp_targetILNS1_3genE8ELNS1_11target_archE1030ELNS1_3gpuE2ELNS1_3repE0EEENS1_30default_config_static_selectorELNS0_4arch9wavefront6targetE1EEEvT1_
	.globl	_ZN7rocprim17ROCPRIM_400000_NS6detail17trampoline_kernelINS0_14default_configENS1_25transform_config_selectorIaLb0EEEZNS1_14transform_implILb0ES3_S5_NS0_18transform_iteratorINS0_17counting_iteratorImlEEZNS1_24adjacent_difference_implIS3_Lb1ELb0EPaSB_N6thrust23THRUST_200600_302600_NS4plusIaEEEE10hipError_tPvRmT2_T3_mT4_P12ihipStream_tbEUlmE_aEESB_NS0_8identityIvEEEESG_SJ_SK_mSL_SN_bEUlT_E_NS1_11comp_targetILNS1_3genE8ELNS1_11target_archE1030ELNS1_3gpuE2ELNS1_3repE0EEENS1_30default_config_static_selectorELNS0_4arch9wavefront6targetE1EEEvT1_
	.p2align	8
	.type	_ZN7rocprim17ROCPRIM_400000_NS6detail17trampoline_kernelINS0_14default_configENS1_25transform_config_selectorIaLb0EEEZNS1_14transform_implILb0ES3_S5_NS0_18transform_iteratorINS0_17counting_iteratorImlEEZNS1_24adjacent_difference_implIS3_Lb1ELb0EPaSB_N6thrust23THRUST_200600_302600_NS4plusIaEEEE10hipError_tPvRmT2_T3_mT4_P12ihipStream_tbEUlmE_aEESB_NS0_8identityIvEEEESG_SJ_SK_mSL_SN_bEUlT_E_NS1_11comp_targetILNS1_3genE8ELNS1_11target_archE1030ELNS1_3gpuE2ELNS1_3repE0EEENS1_30default_config_static_selectorELNS0_4arch9wavefront6targetE1EEEvT1_,@function
_ZN7rocprim17ROCPRIM_400000_NS6detail17trampoline_kernelINS0_14default_configENS1_25transform_config_selectorIaLb0EEEZNS1_14transform_implILb0ES3_S5_NS0_18transform_iteratorINS0_17counting_iteratorImlEEZNS1_24adjacent_difference_implIS3_Lb1ELb0EPaSB_N6thrust23THRUST_200600_302600_NS4plusIaEEEE10hipError_tPvRmT2_T3_mT4_P12ihipStream_tbEUlmE_aEESB_NS0_8identityIvEEEESG_SJ_SK_mSL_SN_bEUlT_E_NS1_11comp_targetILNS1_3genE8ELNS1_11target_archE1030ELNS1_3gpuE2ELNS1_3repE0EEENS1_30default_config_static_selectorELNS0_4arch9wavefront6targetE1EEEvT1_: ; @_ZN7rocprim17ROCPRIM_400000_NS6detail17trampoline_kernelINS0_14default_configENS1_25transform_config_selectorIaLb0EEEZNS1_14transform_implILb0ES3_S5_NS0_18transform_iteratorINS0_17counting_iteratorImlEEZNS1_24adjacent_difference_implIS3_Lb1ELb0EPaSB_N6thrust23THRUST_200600_302600_NS4plusIaEEEE10hipError_tPvRmT2_T3_mT4_P12ihipStream_tbEUlmE_aEESB_NS0_8identityIvEEEESG_SJ_SK_mSL_SN_bEUlT_E_NS1_11comp_targetILNS1_3genE8ELNS1_11target_archE1030ELNS1_3gpuE2ELNS1_3repE0EEENS1_30default_config_static_selectorELNS0_4arch9wavefront6targetE1EEEvT1_
; %bb.0:
	.section	.rodata,"a",@progbits
	.p2align	6, 0x0
	.amdhsa_kernel _ZN7rocprim17ROCPRIM_400000_NS6detail17trampoline_kernelINS0_14default_configENS1_25transform_config_selectorIaLb0EEEZNS1_14transform_implILb0ES3_S5_NS0_18transform_iteratorINS0_17counting_iteratorImlEEZNS1_24adjacent_difference_implIS3_Lb1ELb0EPaSB_N6thrust23THRUST_200600_302600_NS4plusIaEEEE10hipError_tPvRmT2_T3_mT4_P12ihipStream_tbEUlmE_aEESB_NS0_8identityIvEEEESG_SJ_SK_mSL_SN_bEUlT_E_NS1_11comp_targetILNS1_3genE8ELNS1_11target_archE1030ELNS1_3gpuE2ELNS1_3repE0EEENS1_30default_config_static_selectorELNS0_4arch9wavefront6targetE1EEEvT1_
		.amdhsa_group_segment_fixed_size 0
		.amdhsa_private_segment_fixed_size 0
		.amdhsa_kernarg_size 56
		.amdhsa_user_sgpr_count 6
		.amdhsa_user_sgpr_private_segment_buffer 1
		.amdhsa_user_sgpr_dispatch_ptr 0
		.amdhsa_user_sgpr_queue_ptr 0
		.amdhsa_user_sgpr_kernarg_segment_ptr 1
		.amdhsa_user_sgpr_dispatch_id 0
		.amdhsa_user_sgpr_flat_scratch_init 0
		.amdhsa_user_sgpr_kernarg_preload_length 0
		.amdhsa_user_sgpr_kernarg_preload_offset 0
		.amdhsa_user_sgpr_private_segment_size 0
		.amdhsa_uses_dynamic_stack 0
		.amdhsa_system_sgpr_private_segment_wavefront_offset 0
		.amdhsa_system_sgpr_workgroup_id_x 1
		.amdhsa_system_sgpr_workgroup_id_y 0
		.amdhsa_system_sgpr_workgroup_id_z 0
		.amdhsa_system_sgpr_workgroup_info 0
		.amdhsa_system_vgpr_workitem_id 0
		.amdhsa_next_free_vgpr 1
		.amdhsa_next_free_sgpr 0
		.amdhsa_accum_offset 4
		.amdhsa_reserve_vcc 0
		.amdhsa_reserve_flat_scratch 0
		.amdhsa_float_round_mode_32 0
		.amdhsa_float_round_mode_16_64 0
		.amdhsa_float_denorm_mode_32 3
		.amdhsa_float_denorm_mode_16_64 3
		.amdhsa_dx10_clamp 1
		.amdhsa_ieee_mode 1
		.amdhsa_fp16_overflow 0
		.amdhsa_tg_split 0
		.amdhsa_exception_fp_ieee_invalid_op 0
		.amdhsa_exception_fp_denorm_src 0
		.amdhsa_exception_fp_ieee_div_zero 0
		.amdhsa_exception_fp_ieee_overflow 0
		.amdhsa_exception_fp_ieee_underflow 0
		.amdhsa_exception_fp_ieee_inexact 0
		.amdhsa_exception_int_div_zero 0
	.end_amdhsa_kernel
	.section	.text._ZN7rocprim17ROCPRIM_400000_NS6detail17trampoline_kernelINS0_14default_configENS1_25transform_config_selectorIaLb0EEEZNS1_14transform_implILb0ES3_S5_NS0_18transform_iteratorINS0_17counting_iteratorImlEEZNS1_24adjacent_difference_implIS3_Lb1ELb0EPaSB_N6thrust23THRUST_200600_302600_NS4plusIaEEEE10hipError_tPvRmT2_T3_mT4_P12ihipStream_tbEUlmE_aEESB_NS0_8identityIvEEEESG_SJ_SK_mSL_SN_bEUlT_E_NS1_11comp_targetILNS1_3genE8ELNS1_11target_archE1030ELNS1_3gpuE2ELNS1_3repE0EEENS1_30default_config_static_selectorELNS0_4arch9wavefront6targetE1EEEvT1_,"axG",@progbits,_ZN7rocprim17ROCPRIM_400000_NS6detail17trampoline_kernelINS0_14default_configENS1_25transform_config_selectorIaLb0EEEZNS1_14transform_implILb0ES3_S5_NS0_18transform_iteratorINS0_17counting_iteratorImlEEZNS1_24adjacent_difference_implIS3_Lb1ELb0EPaSB_N6thrust23THRUST_200600_302600_NS4plusIaEEEE10hipError_tPvRmT2_T3_mT4_P12ihipStream_tbEUlmE_aEESB_NS0_8identityIvEEEESG_SJ_SK_mSL_SN_bEUlT_E_NS1_11comp_targetILNS1_3genE8ELNS1_11target_archE1030ELNS1_3gpuE2ELNS1_3repE0EEENS1_30default_config_static_selectorELNS0_4arch9wavefront6targetE1EEEvT1_,comdat
.Lfunc_end42:
	.size	_ZN7rocprim17ROCPRIM_400000_NS6detail17trampoline_kernelINS0_14default_configENS1_25transform_config_selectorIaLb0EEEZNS1_14transform_implILb0ES3_S5_NS0_18transform_iteratorINS0_17counting_iteratorImlEEZNS1_24adjacent_difference_implIS3_Lb1ELb0EPaSB_N6thrust23THRUST_200600_302600_NS4plusIaEEEE10hipError_tPvRmT2_T3_mT4_P12ihipStream_tbEUlmE_aEESB_NS0_8identityIvEEEESG_SJ_SK_mSL_SN_bEUlT_E_NS1_11comp_targetILNS1_3genE8ELNS1_11target_archE1030ELNS1_3gpuE2ELNS1_3repE0EEENS1_30default_config_static_selectorELNS0_4arch9wavefront6targetE1EEEvT1_, .Lfunc_end42-_ZN7rocprim17ROCPRIM_400000_NS6detail17trampoline_kernelINS0_14default_configENS1_25transform_config_selectorIaLb0EEEZNS1_14transform_implILb0ES3_S5_NS0_18transform_iteratorINS0_17counting_iteratorImlEEZNS1_24adjacent_difference_implIS3_Lb1ELb0EPaSB_N6thrust23THRUST_200600_302600_NS4plusIaEEEE10hipError_tPvRmT2_T3_mT4_P12ihipStream_tbEUlmE_aEESB_NS0_8identityIvEEEESG_SJ_SK_mSL_SN_bEUlT_E_NS1_11comp_targetILNS1_3genE8ELNS1_11target_archE1030ELNS1_3gpuE2ELNS1_3repE0EEENS1_30default_config_static_selectorELNS0_4arch9wavefront6targetE1EEEvT1_
                                        ; -- End function
	.section	.AMDGPU.csdata,"",@progbits
; Kernel info:
; codeLenInByte = 0
; NumSgprs: 4
; NumVgprs: 0
; NumAgprs: 0
; TotalNumVgprs: 0
; ScratchSize: 0
; MemoryBound: 0
; FloatMode: 240
; IeeeMode: 1
; LDSByteSize: 0 bytes/workgroup (compile time only)
; SGPRBlocks: 0
; VGPRBlocks: 0
; NumSGPRsForWavesPerEU: 4
; NumVGPRsForWavesPerEU: 1
; AccumOffset: 4
; Occupancy: 8
; WaveLimiterHint : 0
; COMPUTE_PGM_RSRC2:SCRATCH_EN: 0
; COMPUTE_PGM_RSRC2:USER_SGPR: 6
; COMPUTE_PGM_RSRC2:TRAP_HANDLER: 0
; COMPUTE_PGM_RSRC2:TGID_X_EN: 1
; COMPUTE_PGM_RSRC2:TGID_Y_EN: 0
; COMPUTE_PGM_RSRC2:TGID_Z_EN: 0
; COMPUTE_PGM_RSRC2:TIDIG_COMP_CNT: 0
; COMPUTE_PGM_RSRC3_GFX90A:ACCUM_OFFSET: 0
; COMPUTE_PGM_RSRC3_GFX90A:TG_SPLIT: 0
	.section	.text._ZN7rocprim17ROCPRIM_400000_NS6detail17trampoline_kernelINS0_14default_configENS1_35adjacent_difference_config_selectorILb1EaEEZNS1_24adjacent_difference_implIS3_Lb1ELb0EPaS7_N6thrust23THRUST_200600_302600_NS4plusIaEEEE10hipError_tPvRmT2_T3_mT4_P12ihipStream_tbEUlT_E_NS1_11comp_targetILNS1_3genE0ELNS1_11target_archE4294967295ELNS1_3gpuE0ELNS1_3repE0EEENS1_30default_config_static_selectorELNS0_4arch9wavefront6targetE1EEEvT1_,"axG",@progbits,_ZN7rocprim17ROCPRIM_400000_NS6detail17trampoline_kernelINS0_14default_configENS1_35adjacent_difference_config_selectorILb1EaEEZNS1_24adjacent_difference_implIS3_Lb1ELb0EPaS7_N6thrust23THRUST_200600_302600_NS4plusIaEEEE10hipError_tPvRmT2_T3_mT4_P12ihipStream_tbEUlT_E_NS1_11comp_targetILNS1_3genE0ELNS1_11target_archE4294967295ELNS1_3gpuE0ELNS1_3repE0EEENS1_30default_config_static_selectorELNS0_4arch9wavefront6targetE1EEEvT1_,comdat
	.protected	_ZN7rocprim17ROCPRIM_400000_NS6detail17trampoline_kernelINS0_14default_configENS1_35adjacent_difference_config_selectorILb1EaEEZNS1_24adjacent_difference_implIS3_Lb1ELb0EPaS7_N6thrust23THRUST_200600_302600_NS4plusIaEEEE10hipError_tPvRmT2_T3_mT4_P12ihipStream_tbEUlT_E_NS1_11comp_targetILNS1_3genE0ELNS1_11target_archE4294967295ELNS1_3gpuE0ELNS1_3repE0EEENS1_30default_config_static_selectorELNS0_4arch9wavefront6targetE1EEEvT1_ ; -- Begin function _ZN7rocprim17ROCPRIM_400000_NS6detail17trampoline_kernelINS0_14default_configENS1_35adjacent_difference_config_selectorILb1EaEEZNS1_24adjacent_difference_implIS3_Lb1ELb0EPaS7_N6thrust23THRUST_200600_302600_NS4plusIaEEEE10hipError_tPvRmT2_T3_mT4_P12ihipStream_tbEUlT_E_NS1_11comp_targetILNS1_3genE0ELNS1_11target_archE4294967295ELNS1_3gpuE0ELNS1_3repE0EEENS1_30default_config_static_selectorELNS0_4arch9wavefront6targetE1EEEvT1_
	.globl	_ZN7rocprim17ROCPRIM_400000_NS6detail17trampoline_kernelINS0_14default_configENS1_35adjacent_difference_config_selectorILb1EaEEZNS1_24adjacent_difference_implIS3_Lb1ELb0EPaS7_N6thrust23THRUST_200600_302600_NS4plusIaEEEE10hipError_tPvRmT2_T3_mT4_P12ihipStream_tbEUlT_E_NS1_11comp_targetILNS1_3genE0ELNS1_11target_archE4294967295ELNS1_3gpuE0ELNS1_3repE0EEENS1_30default_config_static_selectorELNS0_4arch9wavefront6targetE1EEEvT1_
	.p2align	8
	.type	_ZN7rocprim17ROCPRIM_400000_NS6detail17trampoline_kernelINS0_14default_configENS1_35adjacent_difference_config_selectorILb1EaEEZNS1_24adjacent_difference_implIS3_Lb1ELb0EPaS7_N6thrust23THRUST_200600_302600_NS4plusIaEEEE10hipError_tPvRmT2_T3_mT4_P12ihipStream_tbEUlT_E_NS1_11comp_targetILNS1_3genE0ELNS1_11target_archE4294967295ELNS1_3gpuE0ELNS1_3repE0EEENS1_30default_config_static_selectorELNS0_4arch9wavefront6targetE1EEEvT1_,@function
_ZN7rocprim17ROCPRIM_400000_NS6detail17trampoline_kernelINS0_14default_configENS1_35adjacent_difference_config_selectorILb1EaEEZNS1_24adjacent_difference_implIS3_Lb1ELb0EPaS7_N6thrust23THRUST_200600_302600_NS4plusIaEEEE10hipError_tPvRmT2_T3_mT4_P12ihipStream_tbEUlT_E_NS1_11comp_targetILNS1_3genE0ELNS1_11target_archE4294967295ELNS1_3gpuE0ELNS1_3repE0EEENS1_30default_config_static_selectorELNS0_4arch9wavefront6targetE1EEEvT1_: ; @_ZN7rocprim17ROCPRIM_400000_NS6detail17trampoline_kernelINS0_14default_configENS1_35adjacent_difference_config_selectorILb1EaEEZNS1_24adjacent_difference_implIS3_Lb1ELb0EPaS7_N6thrust23THRUST_200600_302600_NS4plusIaEEEE10hipError_tPvRmT2_T3_mT4_P12ihipStream_tbEUlT_E_NS1_11comp_targetILNS1_3genE0ELNS1_11target_archE4294967295ELNS1_3gpuE0ELNS1_3repE0EEENS1_30default_config_static_selectorELNS0_4arch9wavefront6targetE1EEEvT1_
; %bb.0:
	.section	.rodata,"a",@progbits
	.p2align	6, 0x0
	.amdhsa_kernel _ZN7rocprim17ROCPRIM_400000_NS6detail17trampoline_kernelINS0_14default_configENS1_35adjacent_difference_config_selectorILb1EaEEZNS1_24adjacent_difference_implIS3_Lb1ELb0EPaS7_N6thrust23THRUST_200600_302600_NS4plusIaEEEE10hipError_tPvRmT2_T3_mT4_P12ihipStream_tbEUlT_E_NS1_11comp_targetILNS1_3genE0ELNS1_11target_archE4294967295ELNS1_3gpuE0ELNS1_3repE0EEENS1_30default_config_static_selectorELNS0_4arch9wavefront6targetE1EEEvT1_
		.amdhsa_group_segment_fixed_size 0
		.amdhsa_private_segment_fixed_size 0
		.amdhsa_kernarg_size 56
		.amdhsa_user_sgpr_count 6
		.amdhsa_user_sgpr_private_segment_buffer 1
		.amdhsa_user_sgpr_dispatch_ptr 0
		.amdhsa_user_sgpr_queue_ptr 0
		.amdhsa_user_sgpr_kernarg_segment_ptr 1
		.amdhsa_user_sgpr_dispatch_id 0
		.amdhsa_user_sgpr_flat_scratch_init 0
		.amdhsa_user_sgpr_kernarg_preload_length 0
		.amdhsa_user_sgpr_kernarg_preload_offset 0
		.amdhsa_user_sgpr_private_segment_size 0
		.amdhsa_uses_dynamic_stack 0
		.amdhsa_system_sgpr_private_segment_wavefront_offset 0
		.amdhsa_system_sgpr_workgroup_id_x 1
		.amdhsa_system_sgpr_workgroup_id_y 0
		.amdhsa_system_sgpr_workgroup_id_z 0
		.amdhsa_system_sgpr_workgroup_info 0
		.amdhsa_system_vgpr_workitem_id 0
		.amdhsa_next_free_vgpr 1
		.amdhsa_next_free_sgpr 0
		.amdhsa_accum_offset 4
		.amdhsa_reserve_vcc 0
		.amdhsa_reserve_flat_scratch 0
		.amdhsa_float_round_mode_32 0
		.amdhsa_float_round_mode_16_64 0
		.amdhsa_float_denorm_mode_32 3
		.amdhsa_float_denorm_mode_16_64 3
		.amdhsa_dx10_clamp 1
		.amdhsa_ieee_mode 1
		.amdhsa_fp16_overflow 0
		.amdhsa_tg_split 0
		.amdhsa_exception_fp_ieee_invalid_op 0
		.amdhsa_exception_fp_denorm_src 0
		.amdhsa_exception_fp_ieee_div_zero 0
		.amdhsa_exception_fp_ieee_overflow 0
		.amdhsa_exception_fp_ieee_underflow 0
		.amdhsa_exception_fp_ieee_inexact 0
		.amdhsa_exception_int_div_zero 0
	.end_amdhsa_kernel
	.section	.text._ZN7rocprim17ROCPRIM_400000_NS6detail17trampoline_kernelINS0_14default_configENS1_35adjacent_difference_config_selectorILb1EaEEZNS1_24adjacent_difference_implIS3_Lb1ELb0EPaS7_N6thrust23THRUST_200600_302600_NS4plusIaEEEE10hipError_tPvRmT2_T3_mT4_P12ihipStream_tbEUlT_E_NS1_11comp_targetILNS1_3genE0ELNS1_11target_archE4294967295ELNS1_3gpuE0ELNS1_3repE0EEENS1_30default_config_static_selectorELNS0_4arch9wavefront6targetE1EEEvT1_,"axG",@progbits,_ZN7rocprim17ROCPRIM_400000_NS6detail17trampoline_kernelINS0_14default_configENS1_35adjacent_difference_config_selectorILb1EaEEZNS1_24adjacent_difference_implIS3_Lb1ELb0EPaS7_N6thrust23THRUST_200600_302600_NS4plusIaEEEE10hipError_tPvRmT2_T3_mT4_P12ihipStream_tbEUlT_E_NS1_11comp_targetILNS1_3genE0ELNS1_11target_archE4294967295ELNS1_3gpuE0ELNS1_3repE0EEENS1_30default_config_static_selectorELNS0_4arch9wavefront6targetE1EEEvT1_,comdat
.Lfunc_end43:
	.size	_ZN7rocprim17ROCPRIM_400000_NS6detail17trampoline_kernelINS0_14default_configENS1_35adjacent_difference_config_selectorILb1EaEEZNS1_24adjacent_difference_implIS3_Lb1ELb0EPaS7_N6thrust23THRUST_200600_302600_NS4plusIaEEEE10hipError_tPvRmT2_T3_mT4_P12ihipStream_tbEUlT_E_NS1_11comp_targetILNS1_3genE0ELNS1_11target_archE4294967295ELNS1_3gpuE0ELNS1_3repE0EEENS1_30default_config_static_selectorELNS0_4arch9wavefront6targetE1EEEvT1_, .Lfunc_end43-_ZN7rocprim17ROCPRIM_400000_NS6detail17trampoline_kernelINS0_14default_configENS1_35adjacent_difference_config_selectorILb1EaEEZNS1_24adjacent_difference_implIS3_Lb1ELb0EPaS7_N6thrust23THRUST_200600_302600_NS4plusIaEEEE10hipError_tPvRmT2_T3_mT4_P12ihipStream_tbEUlT_E_NS1_11comp_targetILNS1_3genE0ELNS1_11target_archE4294967295ELNS1_3gpuE0ELNS1_3repE0EEENS1_30default_config_static_selectorELNS0_4arch9wavefront6targetE1EEEvT1_
                                        ; -- End function
	.section	.AMDGPU.csdata,"",@progbits
; Kernel info:
; codeLenInByte = 0
; NumSgprs: 4
; NumVgprs: 0
; NumAgprs: 0
; TotalNumVgprs: 0
; ScratchSize: 0
; MemoryBound: 0
; FloatMode: 240
; IeeeMode: 1
; LDSByteSize: 0 bytes/workgroup (compile time only)
; SGPRBlocks: 0
; VGPRBlocks: 0
; NumSGPRsForWavesPerEU: 4
; NumVGPRsForWavesPerEU: 1
; AccumOffset: 4
; Occupancy: 8
; WaveLimiterHint : 0
; COMPUTE_PGM_RSRC2:SCRATCH_EN: 0
; COMPUTE_PGM_RSRC2:USER_SGPR: 6
; COMPUTE_PGM_RSRC2:TRAP_HANDLER: 0
; COMPUTE_PGM_RSRC2:TGID_X_EN: 1
; COMPUTE_PGM_RSRC2:TGID_Y_EN: 0
; COMPUTE_PGM_RSRC2:TGID_Z_EN: 0
; COMPUTE_PGM_RSRC2:TIDIG_COMP_CNT: 0
; COMPUTE_PGM_RSRC3_GFX90A:ACCUM_OFFSET: 0
; COMPUTE_PGM_RSRC3_GFX90A:TG_SPLIT: 0
	.section	.text._ZN7rocprim17ROCPRIM_400000_NS6detail17trampoline_kernelINS0_14default_configENS1_35adjacent_difference_config_selectorILb1EaEEZNS1_24adjacent_difference_implIS3_Lb1ELb0EPaS7_N6thrust23THRUST_200600_302600_NS4plusIaEEEE10hipError_tPvRmT2_T3_mT4_P12ihipStream_tbEUlT_E_NS1_11comp_targetILNS1_3genE10ELNS1_11target_archE1201ELNS1_3gpuE5ELNS1_3repE0EEENS1_30default_config_static_selectorELNS0_4arch9wavefront6targetE1EEEvT1_,"axG",@progbits,_ZN7rocprim17ROCPRIM_400000_NS6detail17trampoline_kernelINS0_14default_configENS1_35adjacent_difference_config_selectorILb1EaEEZNS1_24adjacent_difference_implIS3_Lb1ELb0EPaS7_N6thrust23THRUST_200600_302600_NS4plusIaEEEE10hipError_tPvRmT2_T3_mT4_P12ihipStream_tbEUlT_E_NS1_11comp_targetILNS1_3genE10ELNS1_11target_archE1201ELNS1_3gpuE5ELNS1_3repE0EEENS1_30default_config_static_selectorELNS0_4arch9wavefront6targetE1EEEvT1_,comdat
	.protected	_ZN7rocprim17ROCPRIM_400000_NS6detail17trampoline_kernelINS0_14default_configENS1_35adjacent_difference_config_selectorILb1EaEEZNS1_24adjacent_difference_implIS3_Lb1ELb0EPaS7_N6thrust23THRUST_200600_302600_NS4plusIaEEEE10hipError_tPvRmT2_T3_mT4_P12ihipStream_tbEUlT_E_NS1_11comp_targetILNS1_3genE10ELNS1_11target_archE1201ELNS1_3gpuE5ELNS1_3repE0EEENS1_30default_config_static_selectorELNS0_4arch9wavefront6targetE1EEEvT1_ ; -- Begin function _ZN7rocprim17ROCPRIM_400000_NS6detail17trampoline_kernelINS0_14default_configENS1_35adjacent_difference_config_selectorILb1EaEEZNS1_24adjacent_difference_implIS3_Lb1ELb0EPaS7_N6thrust23THRUST_200600_302600_NS4plusIaEEEE10hipError_tPvRmT2_T3_mT4_P12ihipStream_tbEUlT_E_NS1_11comp_targetILNS1_3genE10ELNS1_11target_archE1201ELNS1_3gpuE5ELNS1_3repE0EEENS1_30default_config_static_selectorELNS0_4arch9wavefront6targetE1EEEvT1_
	.globl	_ZN7rocprim17ROCPRIM_400000_NS6detail17trampoline_kernelINS0_14default_configENS1_35adjacent_difference_config_selectorILb1EaEEZNS1_24adjacent_difference_implIS3_Lb1ELb0EPaS7_N6thrust23THRUST_200600_302600_NS4plusIaEEEE10hipError_tPvRmT2_T3_mT4_P12ihipStream_tbEUlT_E_NS1_11comp_targetILNS1_3genE10ELNS1_11target_archE1201ELNS1_3gpuE5ELNS1_3repE0EEENS1_30default_config_static_selectorELNS0_4arch9wavefront6targetE1EEEvT1_
	.p2align	8
	.type	_ZN7rocprim17ROCPRIM_400000_NS6detail17trampoline_kernelINS0_14default_configENS1_35adjacent_difference_config_selectorILb1EaEEZNS1_24adjacent_difference_implIS3_Lb1ELb0EPaS7_N6thrust23THRUST_200600_302600_NS4plusIaEEEE10hipError_tPvRmT2_T3_mT4_P12ihipStream_tbEUlT_E_NS1_11comp_targetILNS1_3genE10ELNS1_11target_archE1201ELNS1_3gpuE5ELNS1_3repE0EEENS1_30default_config_static_selectorELNS0_4arch9wavefront6targetE1EEEvT1_,@function
_ZN7rocprim17ROCPRIM_400000_NS6detail17trampoline_kernelINS0_14default_configENS1_35adjacent_difference_config_selectorILb1EaEEZNS1_24adjacent_difference_implIS3_Lb1ELb0EPaS7_N6thrust23THRUST_200600_302600_NS4plusIaEEEE10hipError_tPvRmT2_T3_mT4_P12ihipStream_tbEUlT_E_NS1_11comp_targetILNS1_3genE10ELNS1_11target_archE1201ELNS1_3gpuE5ELNS1_3repE0EEENS1_30default_config_static_selectorELNS0_4arch9wavefront6targetE1EEEvT1_: ; @_ZN7rocprim17ROCPRIM_400000_NS6detail17trampoline_kernelINS0_14default_configENS1_35adjacent_difference_config_selectorILb1EaEEZNS1_24adjacent_difference_implIS3_Lb1ELb0EPaS7_N6thrust23THRUST_200600_302600_NS4plusIaEEEE10hipError_tPvRmT2_T3_mT4_P12ihipStream_tbEUlT_E_NS1_11comp_targetILNS1_3genE10ELNS1_11target_archE1201ELNS1_3gpuE5ELNS1_3repE0EEENS1_30default_config_static_selectorELNS0_4arch9wavefront6targetE1EEEvT1_
; %bb.0:
	.section	.rodata,"a",@progbits
	.p2align	6, 0x0
	.amdhsa_kernel _ZN7rocprim17ROCPRIM_400000_NS6detail17trampoline_kernelINS0_14default_configENS1_35adjacent_difference_config_selectorILb1EaEEZNS1_24adjacent_difference_implIS3_Lb1ELb0EPaS7_N6thrust23THRUST_200600_302600_NS4plusIaEEEE10hipError_tPvRmT2_T3_mT4_P12ihipStream_tbEUlT_E_NS1_11comp_targetILNS1_3genE10ELNS1_11target_archE1201ELNS1_3gpuE5ELNS1_3repE0EEENS1_30default_config_static_selectorELNS0_4arch9wavefront6targetE1EEEvT1_
		.amdhsa_group_segment_fixed_size 0
		.amdhsa_private_segment_fixed_size 0
		.amdhsa_kernarg_size 56
		.amdhsa_user_sgpr_count 6
		.amdhsa_user_sgpr_private_segment_buffer 1
		.amdhsa_user_sgpr_dispatch_ptr 0
		.amdhsa_user_sgpr_queue_ptr 0
		.amdhsa_user_sgpr_kernarg_segment_ptr 1
		.amdhsa_user_sgpr_dispatch_id 0
		.amdhsa_user_sgpr_flat_scratch_init 0
		.amdhsa_user_sgpr_kernarg_preload_length 0
		.amdhsa_user_sgpr_kernarg_preload_offset 0
		.amdhsa_user_sgpr_private_segment_size 0
		.amdhsa_uses_dynamic_stack 0
		.amdhsa_system_sgpr_private_segment_wavefront_offset 0
		.amdhsa_system_sgpr_workgroup_id_x 1
		.amdhsa_system_sgpr_workgroup_id_y 0
		.amdhsa_system_sgpr_workgroup_id_z 0
		.amdhsa_system_sgpr_workgroup_info 0
		.amdhsa_system_vgpr_workitem_id 0
		.amdhsa_next_free_vgpr 1
		.amdhsa_next_free_sgpr 0
		.amdhsa_accum_offset 4
		.amdhsa_reserve_vcc 0
		.amdhsa_reserve_flat_scratch 0
		.amdhsa_float_round_mode_32 0
		.amdhsa_float_round_mode_16_64 0
		.amdhsa_float_denorm_mode_32 3
		.amdhsa_float_denorm_mode_16_64 3
		.amdhsa_dx10_clamp 1
		.amdhsa_ieee_mode 1
		.amdhsa_fp16_overflow 0
		.amdhsa_tg_split 0
		.amdhsa_exception_fp_ieee_invalid_op 0
		.amdhsa_exception_fp_denorm_src 0
		.amdhsa_exception_fp_ieee_div_zero 0
		.amdhsa_exception_fp_ieee_overflow 0
		.amdhsa_exception_fp_ieee_underflow 0
		.amdhsa_exception_fp_ieee_inexact 0
		.amdhsa_exception_int_div_zero 0
	.end_amdhsa_kernel
	.section	.text._ZN7rocprim17ROCPRIM_400000_NS6detail17trampoline_kernelINS0_14default_configENS1_35adjacent_difference_config_selectorILb1EaEEZNS1_24adjacent_difference_implIS3_Lb1ELb0EPaS7_N6thrust23THRUST_200600_302600_NS4plusIaEEEE10hipError_tPvRmT2_T3_mT4_P12ihipStream_tbEUlT_E_NS1_11comp_targetILNS1_3genE10ELNS1_11target_archE1201ELNS1_3gpuE5ELNS1_3repE0EEENS1_30default_config_static_selectorELNS0_4arch9wavefront6targetE1EEEvT1_,"axG",@progbits,_ZN7rocprim17ROCPRIM_400000_NS6detail17trampoline_kernelINS0_14default_configENS1_35adjacent_difference_config_selectorILb1EaEEZNS1_24adjacent_difference_implIS3_Lb1ELb0EPaS7_N6thrust23THRUST_200600_302600_NS4plusIaEEEE10hipError_tPvRmT2_T3_mT4_P12ihipStream_tbEUlT_E_NS1_11comp_targetILNS1_3genE10ELNS1_11target_archE1201ELNS1_3gpuE5ELNS1_3repE0EEENS1_30default_config_static_selectorELNS0_4arch9wavefront6targetE1EEEvT1_,comdat
.Lfunc_end44:
	.size	_ZN7rocprim17ROCPRIM_400000_NS6detail17trampoline_kernelINS0_14default_configENS1_35adjacent_difference_config_selectorILb1EaEEZNS1_24adjacent_difference_implIS3_Lb1ELb0EPaS7_N6thrust23THRUST_200600_302600_NS4plusIaEEEE10hipError_tPvRmT2_T3_mT4_P12ihipStream_tbEUlT_E_NS1_11comp_targetILNS1_3genE10ELNS1_11target_archE1201ELNS1_3gpuE5ELNS1_3repE0EEENS1_30default_config_static_selectorELNS0_4arch9wavefront6targetE1EEEvT1_, .Lfunc_end44-_ZN7rocprim17ROCPRIM_400000_NS6detail17trampoline_kernelINS0_14default_configENS1_35adjacent_difference_config_selectorILb1EaEEZNS1_24adjacent_difference_implIS3_Lb1ELb0EPaS7_N6thrust23THRUST_200600_302600_NS4plusIaEEEE10hipError_tPvRmT2_T3_mT4_P12ihipStream_tbEUlT_E_NS1_11comp_targetILNS1_3genE10ELNS1_11target_archE1201ELNS1_3gpuE5ELNS1_3repE0EEENS1_30default_config_static_selectorELNS0_4arch9wavefront6targetE1EEEvT1_
                                        ; -- End function
	.section	.AMDGPU.csdata,"",@progbits
; Kernel info:
; codeLenInByte = 0
; NumSgprs: 4
; NumVgprs: 0
; NumAgprs: 0
; TotalNumVgprs: 0
; ScratchSize: 0
; MemoryBound: 0
; FloatMode: 240
; IeeeMode: 1
; LDSByteSize: 0 bytes/workgroup (compile time only)
; SGPRBlocks: 0
; VGPRBlocks: 0
; NumSGPRsForWavesPerEU: 4
; NumVGPRsForWavesPerEU: 1
; AccumOffset: 4
; Occupancy: 8
; WaveLimiterHint : 0
; COMPUTE_PGM_RSRC2:SCRATCH_EN: 0
; COMPUTE_PGM_RSRC2:USER_SGPR: 6
; COMPUTE_PGM_RSRC2:TRAP_HANDLER: 0
; COMPUTE_PGM_RSRC2:TGID_X_EN: 1
; COMPUTE_PGM_RSRC2:TGID_Y_EN: 0
; COMPUTE_PGM_RSRC2:TGID_Z_EN: 0
; COMPUTE_PGM_RSRC2:TIDIG_COMP_CNT: 0
; COMPUTE_PGM_RSRC3_GFX90A:ACCUM_OFFSET: 0
; COMPUTE_PGM_RSRC3_GFX90A:TG_SPLIT: 0
	.section	.text._ZN7rocprim17ROCPRIM_400000_NS6detail17trampoline_kernelINS0_14default_configENS1_35adjacent_difference_config_selectorILb1EaEEZNS1_24adjacent_difference_implIS3_Lb1ELb0EPaS7_N6thrust23THRUST_200600_302600_NS4plusIaEEEE10hipError_tPvRmT2_T3_mT4_P12ihipStream_tbEUlT_E_NS1_11comp_targetILNS1_3genE5ELNS1_11target_archE942ELNS1_3gpuE9ELNS1_3repE0EEENS1_30default_config_static_selectorELNS0_4arch9wavefront6targetE1EEEvT1_,"axG",@progbits,_ZN7rocprim17ROCPRIM_400000_NS6detail17trampoline_kernelINS0_14default_configENS1_35adjacent_difference_config_selectorILb1EaEEZNS1_24adjacent_difference_implIS3_Lb1ELb0EPaS7_N6thrust23THRUST_200600_302600_NS4plusIaEEEE10hipError_tPvRmT2_T3_mT4_P12ihipStream_tbEUlT_E_NS1_11comp_targetILNS1_3genE5ELNS1_11target_archE942ELNS1_3gpuE9ELNS1_3repE0EEENS1_30default_config_static_selectorELNS0_4arch9wavefront6targetE1EEEvT1_,comdat
	.protected	_ZN7rocprim17ROCPRIM_400000_NS6detail17trampoline_kernelINS0_14default_configENS1_35adjacent_difference_config_selectorILb1EaEEZNS1_24adjacent_difference_implIS3_Lb1ELb0EPaS7_N6thrust23THRUST_200600_302600_NS4plusIaEEEE10hipError_tPvRmT2_T3_mT4_P12ihipStream_tbEUlT_E_NS1_11comp_targetILNS1_3genE5ELNS1_11target_archE942ELNS1_3gpuE9ELNS1_3repE0EEENS1_30default_config_static_selectorELNS0_4arch9wavefront6targetE1EEEvT1_ ; -- Begin function _ZN7rocprim17ROCPRIM_400000_NS6detail17trampoline_kernelINS0_14default_configENS1_35adjacent_difference_config_selectorILb1EaEEZNS1_24adjacent_difference_implIS3_Lb1ELb0EPaS7_N6thrust23THRUST_200600_302600_NS4plusIaEEEE10hipError_tPvRmT2_T3_mT4_P12ihipStream_tbEUlT_E_NS1_11comp_targetILNS1_3genE5ELNS1_11target_archE942ELNS1_3gpuE9ELNS1_3repE0EEENS1_30default_config_static_selectorELNS0_4arch9wavefront6targetE1EEEvT1_
	.globl	_ZN7rocprim17ROCPRIM_400000_NS6detail17trampoline_kernelINS0_14default_configENS1_35adjacent_difference_config_selectorILb1EaEEZNS1_24adjacent_difference_implIS3_Lb1ELb0EPaS7_N6thrust23THRUST_200600_302600_NS4plusIaEEEE10hipError_tPvRmT2_T3_mT4_P12ihipStream_tbEUlT_E_NS1_11comp_targetILNS1_3genE5ELNS1_11target_archE942ELNS1_3gpuE9ELNS1_3repE0EEENS1_30default_config_static_selectorELNS0_4arch9wavefront6targetE1EEEvT1_
	.p2align	8
	.type	_ZN7rocprim17ROCPRIM_400000_NS6detail17trampoline_kernelINS0_14default_configENS1_35adjacent_difference_config_selectorILb1EaEEZNS1_24adjacent_difference_implIS3_Lb1ELb0EPaS7_N6thrust23THRUST_200600_302600_NS4plusIaEEEE10hipError_tPvRmT2_T3_mT4_P12ihipStream_tbEUlT_E_NS1_11comp_targetILNS1_3genE5ELNS1_11target_archE942ELNS1_3gpuE9ELNS1_3repE0EEENS1_30default_config_static_selectorELNS0_4arch9wavefront6targetE1EEEvT1_,@function
_ZN7rocprim17ROCPRIM_400000_NS6detail17trampoline_kernelINS0_14default_configENS1_35adjacent_difference_config_selectorILb1EaEEZNS1_24adjacent_difference_implIS3_Lb1ELb0EPaS7_N6thrust23THRUST_200600_302600_NS4plusIaEEEE10hipError_tPvRmT2_T3_mT4_P12ihipStream_tbEUlT_E_NS1_11comp_targetILNS1_3genE5ELNS1_11target_archE942ELNS1_3gpuE9ELNS1_3repE0EEENS1_30default_config_static_selectorELNS0_4arch9wavefront6targetE1EEEvT1_: ; @_ZN7rocprim17ROCPRIM_400000_NS6detail17trampoline_kernelINS0_14default_configENS1_35adjacent_difference_config_selectorILb1EaEEZNS1_24adjacent_difference_implIS3_Lb1ELb0EPaS7_N6thrust23THRUST_200600_302600_NS4plusIaEEEE10hipError_tPvRmT2_T3_mT4_P12ihipStream_tbEUlT_E_NS1_11comp_targetILNS1_3genE5ELNS1_11target_archE942ELNS1_3gpuE9ELNS1_3repE0EEENS1_30default_config_static_selectorELNS0_4arch9wavefront6targetE1EEEvT1_
; %bb.0:
	.section	.rodata,"a",@progbits
	.p2align	6, 0x0
	.amdhsa_kernel _ZN7rocprim17ROCPRIM_400000_NS6detail17trampoline_kernelINS0_14default_configENS1_35adjacent_difference_config_selectorILb1EaEEZNS1_24adjacent_difference_implIS3_Lb1ELb0EPaS7_N6thrust23THRUST_200600_302600_NS4plusIaEEEE10hipError_tPvRmT2_T3_mT4_P12ihipStream_tbEUlT_E_NS1_11comp_targetILNS1_3genE5ELNS1_11target_archE942ELNS1_3gpuE9ELNS1_3repE0EEENS1_30default_config_static_selectorELNS0_4arch9wavefront6targetE1EEEvT1_
		.amdhsa_group_segment_fixed_size 0
		.amdhsa_private_segment_fixed_size 0
		.amdhsa_kernarg_size 56
		.amdhsa_user_sgpr_count 6
		.amdhsa_user_sgpr_private_segment_buffer 1
		.amdhsa_user_sgpr_dispatch_ptr 0
		.amdhsa_user_sgpr_queue_ptr 0
		.amdhsa_user_sgpr_kernarg_segment_ptr 1
		.amdhsa_user_sgpr_dispatch_id 0
		.amdhsa_user_sgpr_flat_scratch_init 0
		.amdhsa_user_sgpr_kernarg_preload_length 0
		.amdhsa_user_sgpr_kernarg_preload_offset 0
		.amdhsa_user_sgpr_private_segment_size 0
		.amdhsa_uses_dynamic_stack 0
		.amdhsa_system_sgpr_private_segment_wavefront_offset 0
		.amdhsa_system_sgpr_workgroup_id_x 1
		.amdhsa_system_sgpr_workgroup_id_y 0
		.amdhsa_system_sgpr_workgroup_id_z 0
		.amdhsa_system_sgpr_workgroup_info 0
		.amdhsa_system_vgpr_workitem_id 0
		.amdhsa_next_free_vgpr 1
		.amdhsa_next_free_sgpr 0
		.amdhsa_accum_offset 4
		.amdhsa_reserve_vcc 0
		.amdhsa_reserve_flat_scratch 0
		.amdhsa_float_round_mode_32 0
		.amdhsa_float_round_mode_16_64 0
		.amdhsa_float_denorm_mode_32 3
		.amdhsa_float_denorm_mode_16_64 3
		.amdhsa_dx10_clamp 1
		.amdhsa_ieee_mode 1
		.amdhsa_fp16_overflow 0
		.amdhsa_tg_split 0
		.amdhsa_exception_fp_ieee_invalid_op 0
		.amdhsa_exception_fp_denorm_src 0
		.amdhsa_exception_fp_ieee_div_zero 0
		.amdhsa_exception_fp_ieee_overflow 0
		.amdhsa_exception_fp_ieee_underflow 0
		.amdhsa_exception_fp_ieee_inexact 0
		.amdhsa_exception_int_div_zero 0
	.end_amdhsa_kernel
	.section	.text._ZN7rocprim17ROCPRIM_400000_NS6detail17trampoline_kernelINS0_14default_configENS1_35adjacent_difference_config_selectorILb1EaEEZNS1_24adjacent_difference_implIS3_Lb1ELb0EPaS7_N6thrust23THRUST_200600_302600_NS4plusIaEEEE10hipError_tPvRmT2_T3_mT4_P12ihipStream_tbEUlT_E_NS1_11comp_targetILNS1_3genE5ELNS1_11target_archE942ELNS1_3gpuE9ELNS1_3repE0EEENS1_30default_config_static_selectorELNS0_4arch9wavefront6targetE1EEEvT1_,"axG",@progbits,_ZN7rocprim17ROCPRIM_400000_NS6detail17trampoline_kernelINS0_14default_configENS1_35adjacent_difference_config_selectorILb1EaEEZNS1_24adjacent_difference_implIS3_Lb1ELb0EPaS7_N6thrust23THRUST_200600_302600_NS4plusIaEEEE10hipError_tPvRmT2_T3_mT4_P12ihipStream_tbEUlT_E_NS1_11comp_targetILNS1_3genE5ELNS1_11target_archE942ELNS1_3gpuE9ELNS1_3repE0EEENS1_30default_config_static_selectorELNS0_4arch9wavefront6targetE1EEEvT1_,comdat
.Lfunc_end45:
	.size	_ZN7rocprim17ROCPRIM_400000_NS6detail17trampoline_kernelINS0_14default_configENS1_35adjacent_difference_config_selectorILb1EaEEZNS1_24adjacent_difference_implIS3_Lb1ELb0EPaS7_N6thrust23THRUST_200600_302600_NS4plusIaEEEE10hipError_tPvRmT2_T3_mT4_P12ihipStream_tbEUlT_E_NS1_11comp_targetILNS1_3genE5ELNS1_11target_archE942ELNS1_3gpuE9ELNS1_3repE0EEENS1_30default_config_static_selectorELNS0_4arch9wavefront6targetE1EEEvT1_, .Lfunc_end45-_ZN7rocprim17ROCPRIM_400000_NS6detail17trampoline_kernelINS0_14default_configENS1_35adjacent_difference_config_selectorILb1EaEEZNS1_24adjacent_difference_implIS3_Lb1ELb0EPaS7_N6thrust23THRUST_200600_302600_NS4plusIaEEEE10hipError_tPvRmT2_T3_mT4_P12ihipStream_tbEUlT_E_NS1_11comp_targetILNS1_3genE5ELNS1_11target_archE942ELNS1_3gpuE9ELNS1_3repE0EEENS1_30default_config_static_selectorELNS0_4arch9wavefront6targetE1EEEvT1_
                                        ; -- End function
	.section	.AMDGPU.csdata,"",@progbits
; Kernel info:
; codeLenInByte = 0
; NumSgprs: 4
; NumVgprs: 0
; NumAgprs: 0
; TotalNumVgprs: 0
; ScratchSize: 0
; MemoryBound: 0
; FloatMode: 240
; IeeeMode: 1
; LDSByteSize: 0 bytes/workgroup (compile time only)
; SGPRBlocks: 0
; VGPRBlocks: 0
; NumSGPRsForWavesPerEU: 4
; NumVGPRsForWavesPerEU: 1
; AccumOffset: 4
; Occupancy: 8
; WaveLimiterHint : 0
; COMPUTE_PGM_RSRC2:SCRATCH_EN: 0
; COMPUTE_PGM_RSRC2:USER_SGPR: 6
; COMPUTE_PGM_RSRC2:TRAP_HANDLER: 0
; COMPUTE_PGM_RSRC2:TGID_X_EN: 1
; COMPUTE_PGM_RSRC2:TGID_Y_EN: 0
; COMPUTE_PGM_RSRC2:TGID_Z_EN: 0
; COMPUTE_PGM_RSRC2:TIDIG_COMP_CNT: 0
; COMPUTE_PGM_RSRC3_GFX90A:ACCUM_OFFSET: 0
; COMPUTE_PGM_RSRC3_GFX90A:TG_SPLIT: 0
	.section	.text._ZN7rocprim17ROCPRIM_400000_NS6detail17trampoline_kernelINS0_14default_configENS1_35adjacent_difference_config_selectorILb1EaEEZNS1_24adjacent_difference_implIS3_Lb1ELb0EPaS7_N6thrust23THRUST_200600_302600_NS4plusIaEEEE10hipError_tPvRmT2_T3_mT4_P12ihipStream_tbEUlT_E_NS1_11comp_targetILNS1_3genE4ELNS1_11target_archE910ELNS1_3gpuE8ELNS1_3repE0EEENS1_30default_config_static_selectorELNS0_4arch9wavefront6targetE1EEEvT1_,"axG",@progbits,_ZN7rocprim17ROCPRIM_400000_NS6detail17trampoline_kernelINS0_14default_configENS1_35adjacent_difference_config_selectorILb1EaEEZNS1_24adjacent_difference_implIS3_Lb1ELb0EPaS7_N6thrust23THRUST_200600_302600_NS4plusIaEEEE10hipError_tPvRmT2_T3_mT4_P12ihipStream_tbEUlT_E_NS1_11comp_targetILNS1_3genE4ELNS1_11target_archE910ELNS1_3gpuE8ELNS1_3repE0EEENS1_30default_config_static_selectorELNS0_4arch9wavefront6targetE1EEEvT1_,comdat
	.protected	_ZN7rocprim17ROCPRIM_400000_NS6detail17trampoline_kernelINS0_14default_configENS1_35adjacent_difference_config_selectorILb1EaEEZNS1_24adjacent_difference_implIS3_Lb1ELb0EPaS7_N6thrust23THRUST_200600_302600_NS4plusIaEEEE10hipError_tPvRmT2_T3_mT4_P12ihipStream_tbEUlT_E_NS1_11comp_targetILNS1_3genE4ELNS1_11target_archE910ELNS1_3gpuE8ELNS1_3repE0EEENS1_30default_config_static_selectorELNS0_4arch9wavefront6targetE1EEEvT1_ ; -- Begin function _ZN7rocprim17ROCPRIM_400000_NS6detail17trampoline_kernelINS0_14default_configENS1_35adjacent_difference_config_selectorILb1EaEEZNS1_24adjacent_difference_implIS3_Lb1ELb0EPaS7_N6thrust23THRUST_200600_302600_NS4plusIaEEEE10hipError_tPvRmT2_T3_mT4_P12ihipStream_tbEUlT_E_NS1_11comp_targetILNS1_3genE4ELNS1_11target_archE910ELNS1_3gpuE8ELNS1_3repE0EEENS1_30default_config_static_selectorELNS0_4arch9wavefront6targetE1EEEvT1_
	.globl	_ZN7rocprim17ROCPRIM_400000_NS6detail17trampoline_kernelINS0_14default_configENS1_35adjacent_difference_config_selectorILb1EaEEZNS1_24adjacent_difference_implIS3_Lb1ELb0EPaS7_N6thrust23THRUST_200600_302600_NS4plusIaEEEE10hipError_tPvRmT2_T3_mT4_P12ihipStream_tbEUlT_E_NS1_11comp_targetILNS1_3genE4ELNS1_11target_archE910ELNS1_3gpuE8ELNS1_3repE0EEENS1_30default_config_static_selectorELNS0_4arch9wavefront6targetE1EEEvT1_
	.p2align	8
	.type	_ZN7rocprim17ROCPRIM_400000_NS6detail17trampoline_kernelINS0_14default_configENS1_35adjacent_difference_config_selectorILb1EaEEZNS1_24adjacent_difference_implIS3_Lb1ELb0EPaS7_N6thrust23THRUST_200600_302600_NS4plusIaEEEE10hipError_tPvRmT2_T3_mT4_P12ihipStream_tbEUlT_E_NS1_11comp_targetILNS1_3genE4ELNS1_11target_archE910ELNS1_3gpuE8ELNS1_3repE0EEENS1_30default_config_static_selectorELNS0_4arch9wavefront6targetE1EEEvT1_,@function
_ZN7rocprim17ROCPRIM_400000_NS6detail17trampoline_kernelINS0_14default_configENS1_35adjacent_difference_config_selectorILb1EaEEZNS1_24adjacent_difference_implIS3_Lb1ELb0EPaS7_N6thrust23THRUST_200600_302600_NS4plusIaEEEE10hipError_tPvRmT2_T3_mT4_P12ihipStream_tbEUlT_E_NS1_11comp_targetILNS1_3genE4ELNS1_11target_archE910ELNS1_3gpuE8ELNS1_3repE0EEENS1_30default_config_static_selectorELNS0_4arch9wavefront6targetE1EEEvT1_: ; @_ZN7rocprim17ROCPRIM_400000_NS6detail17trampoline_kernelINS0_14default_configENS1_35adjacent_difference_config_selectorILb1EaEEZNS1_24adjacent_difference_implIS3_Lb1ELb0EPaS7_N6thrust23THRUST_200600_302600_NS4plusIaEEEE10hipError_tPvRmT2_T3_mT4_P12ihipStream_tbEUlT_E_NS1_11comp_targetILNS1_3genE4ELNS1_11target_archE910ELNS1_3gpuE8ELNS1_3repE0EEENS1_30default_config_static_selectorELNS0_4arch9wavefront6targetE1EEEvT1_
; %bb.0:
	s_load_dwordx8 s[40:47], s[4:5], 0x0
	s_mov_b32 s1, 0x5ca1aca0
	v_bfrev_b32_e32 v1, 6
	s_load_dwordx4 s[8:11], s[4:5], 0x28
	s_movk_i32 s0, 0x980
	s_waitcnt lgkmcnt(0)
	s_add_u32 s7, s40, s42
	s_addc_u32 s18, s41, s43
	s_add_u32 s1, 0x14a, s1
	s_addc_u32 s2, 0, 0
	v_add_co_u32_e32 v1, vcc, s1, v1
	s_cmp_lg_u64 vcc, 0
	v_readfirstlane_b32 s3, v1
	s_addc_u32 s1, s2, 0x1af286
	s_mul_hi_u32 s4, s3, 0xfffff680
	s_mul_i32 s2, s1, 0xfffff680
	s_sub_i32 s4, s4, s3
	s_add_i32 s4, s4, s2
	s_mul_i32 s12, s3, 0xfffff680
	s_mul_hi_u32 s2, s3, s4
	s_mul_i32 s5, s3, s4
	s_mul_hi_u32 s3, s3, s12
	s_add_u32 s3, s3, s5
	s_addc_u32 s2, 0, s2
	s_mul_hi_u32 s13, s1, s12
	s_mul_i32 s12, s1, s12
	s_add_u32 s3, s3, s12
	s_mul_hi_u32 s5, s1, s4
	s_addc_u32 s2, s2, s13
	s_addc_u32 s3, s5, 0
	s_mul_i32 s4, s1, s4
	s_add_u32 s2, s2, s4
	s_addc_u32 s3, 0, s3
	v_add_co_u32_e32 v1, vcc, s2, v1
	s_cmp_lg_u64 vcc, 0
	s_addc_u32 s1, s1, s3
	v_readfirstlane_b32 s4, v1
	s_mul_i32 s3, s46, s1
	s_mul_hi_u32 s5, s46, s4
	s_mul_hi_u32 s2, s46, s1
	s_add_u32 s3, s5, s3
	s_addc_u32 s2, 0, s2
	s_mul_hi_u32 s12, s47, s4
	s_mul_i32 s4, s47, s4
	s_add_u32 s3, s3, s4
	s_mul_hi_u32 s5, s47, s1
	s_addc_u32 s2, s2, s12
	s_addc_u32 s3, s5, 0
	s_mul_i32 s1, s47, s1
	s_add_u32 s1, s2, s1
	s_addc_u32 s2, 0, s3
	s_add_u32 s3, s1, 1
	s_addc_u32 s4, s2, 0
	s_add_u32 s5, s1, 2
	s_mul_i32 s13, s2, 0x980
	s_mul_hi_u32 s14, s1, 0x980
	s_addc_u32 s12, s2, 0
	s_add_i32 s14, s14, s13
	s_mul_i32 s13, s1, 0x980
	v_mov_b32_e32 v1, s13
	v_sub_co_u32_e32 v1, vcc, s46, v1
	s_cmp_lg_u64 vcc, 0
	s_subb_u32 s13, s47, s14
	v_subrev_co_u32_e32 v2, vcc, s0, v1
	s_cmp_lg_u64 vcc, 0
	s_subb_u32 s0, s13, 0
	v_readfirstlane_b32 s14, v2
	s_cmpk_gt_u32 s14, 0x97f
	s_cselect_b32 s14, -1, 0
	s_cmp_eq_u32 s0, 0
	s_cselect_b32 s0, s14, -1
	s_cmp_lg_u32 s0, 0
	s_cselect_b32 s0, s5, s3
	s_cselect_b32 s3, s12, s4
	v_readfirstlane_b32 s4, v1
	s_cmpk_gt_u32 s4, 0x97f
	s_cselect_b32 s4, -1, 0
	s_cmp_eq_u32 s13, 0
	s_cselect_b32 s4, s4, -1
	s_cmp_lg_u32 s4, 0
	s_cselect_b32 s3, s3, s2
	s_cselect_b32 s2, s0, s1
	s_mul_i32 s0, s3, 0x980
	s_mul_hi_u32 s1, s2, 0x980
	s_add_i32 s1, s1, s0
	s_mul_i32 s0, s2, 0x980
	s_sub_u32 s0, s46, s0
	s_subb_u32 s1, s47, s1
	s_cmp_lg_u64 s[0:1], 0
	s_cselect_b64 s[0:1], -1, 0
	v_cndmask_b32_e64 v1, 0, 1, s[0:1]
	v_readfirstlane_b32 s0, v1
	s_add_u32 s2, s2, s0
	s_addc_u32 s3, s3, 0
	s_add_u32 s4, s10, s6
	s_addc_u32 s5, s11, 0
	s_add_u32 s12, s2, -1
	s_addc_u32 s13, s3, -1
	v_pk_mov_b32 v[2:3], s[12:13], s[12:13] op_sel:[0,1]
	v_cmp_ge_u64_e64 s[0:1], s[4:5], v[2:3]
	s_mul_i32 s33, s6, 0x980
	s_mov_b64 s[14:15], -1
	s_and_b64 vcc, exec, s[0:1]
	s_mul_i32 s47, s12, 0xfffff680
	s_cbranch_vccz .LBB46_40
; %bb.1:
	s_add_i32 s19, s47, s46
	s_add_u32 s14, s7, s33
	s_addc_u32 s15, s18, 0
	v_cmp_gt_u32_e32 vcc, s19, v0
                                        ; implicit-def: $vgpr1
	s_and_saveexec_b64 s[16:17], vcc
	s_cbranch_execz .LBB46_3
; %bb.2:
	global_load_ubyte v1, v0, s[14:15]
.LBB46_3:
	s_or_b64 exec, exec, s[16:17]
	v_or_b32_e32 v2, 0x80, v0
	v_cmp_gt_u32_e32 vcc, s19, v2
                                        ; implicit-def: $vgpr2
	s_and_saveexec_b64 s[16:17], vcc
	s_cbranch_execz .LBB46_5
; %bb.4:
	global_load_ubyte v2, v0, s[14:15] offset:128
.LBB46_5:
	s_or_b64 exec, exec, s[16:17]
	v_or_b32_e32 v3, 0x100, v0
	v_cmp_gt_u32_e32 vcc, s19, v3
                                        ; implicit-def: $vgpr3
	s_and_saveexec_b64 s[16:17], vcc
	s_cbranch_execz .LBB46_7
; %bb.6:
	global_load_ubyte v3, v0, s[14:15] offset:256
.LBB46_7:
	s_or_b64 exec, exec, s[16:17]
	v_or_b32_e32 v4, 0x180, v0
	v_cmp_gt_u32_e32 vcc, s19, v4
                                        ; implicit-def: $vgpr4
	s_and_saveexec_b64 s[16:17], vcc
	s_cbranch_execz .LBB46_9
; %bb.8:
	global_load_ubyte v4, v0, s[14:15] offset:384
.LBB46_9:
	s_or_b64 exec, exec, s[16:17]
	v_or_b32_e32 v5, 0x200, v0
	v_cmp_gt_u32_e32 vcc, s19, v5
                                        ; implicit-def: $vgpr5
	s_and_saveexec_b64 s[16:17], vcc
	s_cbranch_execz .LBB46_11
; %bb.10:
	global_load_ubyte v5, v0, s[14:15] offset:512
.LBB46_11:
	s_or_b64 exec, exec, s[16:17]
	v_or_b32_e32 v6, 0x280, v0
	v_cmp_gt_u32_e32 vcc, s19, v6
                                        ; implicit-def: $vgpr6
	s_and_saveexec_b64 s[16:17], vcc
	s_cbranch_execz .LBB46_13
; %bb.12:
	global_load_ubyte v6, v0, s[14:15] offset:640
.LBB46_13:
	s_or_b64 exec, exec, s[16:17]
	v_or_b32_e32 v7, 0x300, v0
	v_cmp_gt_u32_e32 vcc, s19, v7
                                        ; implicit-def: $vgpr7
	s_and_saveexec_b64 s[16:17], vcc
	s_cbranch_execz .LBB46_15
; %bb.14:
	global_load_ubyte v7, v0, s[14:15] offset:768
.LBB46_15:
	s_or_b64 exec, exec, s[16:17]
	v_or_b32_e32 v8, 0x380, v0
	v_cmp_gt_u32_e32 vcc, s19, v8
                                        ; implicit-def: $vgpr8
	s_and_saveexec_b64 s[16:17], vcc
	s_cbranch_execz .LBB46_17
; %bb.16:
	global_load_ubyte v8, v0, s[14:15] offset:896
.LBB46_17:
	s_or_b64 exec, exec, s[16:17]
	v_or_b32_e32 v9, 0x400, v0
	v_cmp_gt_u32_e32 vcc, s19, v9
                                        ; implicit-def: $vgpr9
	s_and_saveexec_b64 s[16:17], vcc
	s_cbranch_execz .LBB46_19
; %bb.18:
	global_load_ubyte v9, v0, s[14:15] offset:1024
.LBB46_19:
	s_or_b64 exec, exec, s[16:17]
	v_or_b32_e32 v10, 0x480, v0
	v_cmp_gt_u32_e32 vcc, s19, v10
                                        ; implicit-def: $vgpr10
	s_and_saveexec_b64 s[16:17], vcc
	s_cbranch_execz .LBB46_21
; %bb.20:
	global_load_ubyte v10, v0, s[14:15] offset:1152
.LBB46_21:
	s_or_b64 exec, exec, s[16:17]
	v_or_b32_e32 v11, 0x500, v0
	v_cmp_gt_u32_e32 vcc, s19, v11
                                        ; implicit-def: $vgpr11
	s_and_saveexec_b64 s[16:17], vcc
	s_cbranch_execz .LBB46_23
; %bb.22:
	global_load_ubyte v11, v0, s[14:15] offset:1280
.LBB46_23:
	s_or_b64 exec, exec, s[16:17]
	v_or_b32_e32 v12, 0x580, v0
	v_cmp_gt_u32_e32 vcc, s19, v12
                                        ; implicit-def: $vgpr12
	s_and_saveexec_b64 s[16:17], vcc
	s_cbranch_execz .LBB46_25
; %bb.24:
	global_load_ubyte v12, v0, s[14:15] offset:1408
.LBB46_25:
	s_or_b64 exec, exec, s[16:17]
	v_or_b32_e32 v13, 0x600, v0
	v_cmp_gt_u32_e32 vcc, s19, v13
                                        ; implicit-def: $vgpr13
	s_and_saveexec_b64 s[16:17], vcc
	s_cbranch_execz .LBB46_27
; %bb.26:
	global_load_ubyte v13, v0, s[14:15] offset:1536
.LBB46_27:
	s_or_b64 exec, exec, s[16:17]
	v_or_b32_e32 v14, 0x680, v0
	v_cmp_gt_u32_e32 vcc, s19, v14
                                        ; implicit-def: $vgpr14
	s_and_saveexec_b64 s[16:17], vcc
	s_cbranch_execz .LBB46_29
; %bb.28:
	global_load_ubyte v14, v0, s[14:15] offset:1664
.LBB46_29:
	s_or_b64 exec, exec, s[16:17]
	v_or_b32_e32 v15, 0x700, v0
	v_cmp_gt_u32_e32 vcc, s19, v15
                                        ; implicit-def: $vgpr15
	s_and_saveexec_b64 s[16:17], vcc
	s_cbranch_execz .LBB46_31
; %bb.30:
	global_load_ubyte v15, v0, s[14:15] offset:1792
.LBB46_31:
	s_or_b64 exec, exec, s[16:17]
	v_or_b32_e32 v16, 0x780, v0
	v_cmp_gt_u32_e32 vcc, s19, v16
                                        ; implicit-def: $vgpr16
	s_and_saveexec_b64 s[16:17], vcc
	s_cbranch_execz .LBB46_33
; %bb.32:
	global_load_ubyte v16, v0, s[14:15] offset:1920
.LBB46_33:
	s_or_b64 exec, exec, s[16:17]
	v_or_b32_e32 v17, 0x800, v0
	v_cmp_gt_u32_e32 vcc, s19, v17
                                        ; implicit-def: $vgpr17
	s_and_saveexec_b64 s[16:17], vcc
	s_cbranch_execz .LBB46_35
; %bb.34:
	global_load_ubyte v17, v0, s[14:15] offset:2048
.LBB46_35:
	s_or_b64 exec, exec, s[16:17]
	v_or_b32_e32 v18, 0x880, v0
	v_cmp_gt_u32_e32 vcc, s19, v18
                                        ; implicit-def: $vgpr18
	s_and_saveexec_b64 s[16:17], vcc
	s_cbranch_execz .LBB46_37
; %bb.36:
	global_load_ubyte v18, v0, s[14:15] offset:2176
.LBB46_37:
	s_or_b64 exec, exec, s[16:17]
	v_or_b32_e32 v19, 0x900, v0
	v_cmp_gt_u32_e32 vcc, s19, v19
                                        ; implicit-def: $vgpr19
	s_and_saveexec_b64 s[16:17], vcc
	s_cbranch_execz .LBB46_39
; %bb.38:
	global_load_ubyte v19, v0, s[14:15] offset:2304
.LBB46_39:
	s_or_b64 exec, exec, s[16:17]
	s_mov_b64 s[14:15], 0
	s_waitcnt vmcnt(0)
	ds_write_b8 v0, v1
	ds_write_b8 v0, v2 offset:128
	ds_write_b8 v0, v3 offset:256
	;; [unrolled: 1-line block ×18, first 2 shown]
	s_waitcnt lgkmcnt(0)
	s_barrier
.LBB46_40:
	s_and_b64 vcc, exec, s[14:15]
	s_cbranch_vccz .LBB46_42
; %bb.41:
	s_add_u32 s14, s7, s33
	s_addc_u32 s15, s18, 0
	global_load_ubyte v1, v0, s[14:15]
	global_load_ubyte v2, v0, s[14:15] offset:128
	global_load_ubyte v3, v0, s[14:15] offset:256
	;; [unrolled: 1-line block ×18, first 2 shown]
	s_waitcnt vmcnt(18)
	ds_write_b8 v0, v1
	s_waitcnt vmcnt(17)
	ds_write_b8 v0, v2 offset:128
	s_waitcnt vmcnt(16)
	ds_write_b8 v0, v3 offset:256
	;; [unrolled: 2-line block ×18, first 2 shown]
	s_waitcnt lgkmcnt(0)
	s_barrier
.LBB46_42:
	v_mul_u32_u24_e32 v1, 19, v0
	ds_read_b128 v[2:5], v1
	ds_read_u8 v6, v1 offset:16
	ds_read_u8 v7, v1 offset:17
	;; [unrolled: 1-line block ×3, first 2 shown]
	s_cmp_eq_u64 s[4:5], 0
	s_waitcnt lgkmcnt(3)
	v_lshrrev_b32_e32 v9, 8, v2
	v_lshrrev_b32_e32 v10, 16, v2
	;; [unrolled: 1-line block ×12, first 2 shown]
	s_waitcnt lgkmcnt(0)
	s_barrier
	s_cbranch_scc1 .LBB46_47
; %bb.43:
	s_add_u32 s7, s8, s10
	s_addc_u32 s8, s9, s11
	s_add_u32 s6, s7, s6
	s_addc_u32 s7, s8, 0
	v_mov_b32_e32 v1, 0
	global_load_ubyte v38, v1, s[6:7] offset:-1
	s_cmp_eq_u64 s[4:5], s[12:13]
	s_cbranch_scc1 .LBB46_48
; %bb.44:
	v_cmp_ne_u32_e32 vcc, 0, v0
	s_waitcnt vmcnt(0)
	v_mov_b32_e32 v1, v38
	ds_write_b8 v0, v8
	s_waitcnt lgkmcnt(0)
	s_barrier
	s_and_saveexec_b64 s[6:7], vcc
	s_cbranch_execz .LBB46_46
; %bb.45:
	v_add_u32_e32 v1, -1, v0
	ds_read_u8 v1, v1
.LBB46_46:
	s_or_b64 exec, exec, s[6:7]
	s_waitcnt lgkmcnt(0)
	v_add_u16_e32 v1, v1, v2
	s_mov_b64 s[6:7], 0
	s_branch .LBB46_49
.LBB46_47:
                                        ; implicit-def: $vgpr1
                                        ; implicit-def: $vgpr39
                                        ; implicit-def: $vgpr37
                                        ; implicit-def: $vgpr36
                                        ; implicit-def: $vgpr35
                                        ; implicit-def: $vgpr34
                                        ; implicit-def: $vgpr33
                                        ; implicit-def: $vgpr32
                                        ; implicit-def: $vgpr31
                                        ; implicit-def: $vgpr30
                                        ; implicit-def: $vgpr28
                                        ; implicit-def: $vgpr27
                                        ; implicit-def: $vgpr26
                                        ; implicit-def: $vgpr25
                                        ; implicit-def: $vgpr24
                                        ; implicit-def: $vgpr23
                                        ; implicit-def: $vgpr22
                                        ; implicit-def: $vgpr21
                                        ; implicit-def: $vgpr29
	s_branch .LBB46_54
.LBB46_48:
	s_mov_b64 s[6:7], -1
                                        ; implicit-def: $vgpr1
.LBB46_49:
	s_and_b64 vcc, exec, s[6:7]
	v_mov_b32_e32 v39, v2
	v_mov_b32_e32 v37, v9
	;; [unrolled: 1-line block ×18, first 2 shown]
	s_cbranch_vccz .LBB46_53
; %bb.50:
	v_mul_u32_u24_e32 v1, 19, v0
	v_cmp_ne_u32_e32 vcc, 0, v0
	ds_write_b8 v0, v8
	s_waitcnt lgkmcnt(0)
	s_barrier
	s_and_saveexec_b64 s[6:7], vcc
	s_cbranch_execz .LBB46_52
; %bb.51:
	v_add_u32_e32 v21, -1, v0
	s_waitcnt vmcnt(0)
	ds_read_u8 v38, v21
.LBB46_52:
	s_or_b64 exec, exec, s[6:7]
	s_mulk_i32 s4, 0xf680
	s_add_i32 s4, s4, s46
	v_add_u32_e32 v21, 18, v1
	v_cmp_gt_u32_e32 vcc, s4, v21
	v_add_u32_e32 v21, 17, v1
	v_cndmask_b32_e32 v29, 0, v7, vcc
	v_cmp_gt_u32_e32 vcc, s4, v21
	v_add_u32_e32 v22, 16, v1
	v_cndmask_b32_e32 v21, 0, v6, vcc
	;; [unrolled: 3-line block ×17, first 2 shown]
	v_cmp_gt_u32_e32 vcc, s4, v39
	v_cndmask_b32_e32 v39, 0, v2, vcc
	v_cmp_gt_u32_e32 vcc, s4, v1
	s_waitcnt vmcnt(0) lgkmcnt(0)
	v_cndmask_b32_e32 v1, 0, v38, vcc
	v_add_u16_e32 v1, v1, v2
.LBB46_53:
	s_cbranch_execnz .LBB46_64
.LBB46_54:
	s_cmp_eq_u64 s[2:3], 1
	v_cmp_ne_u32_e32 vcc, 0, v0
	s_cbranch_scc1 .LBB46_58
; %bb.55:
	v_mov_b32_e32 v1, v2
	ds_write_b8 v0, v8
	s_waitcnt lgkmcnt(0)
	s_barrier
	s_and_saveexec_b64 s[2:3], vcc
	s_cbranch_execz .LBB46_57
; %bb.56:
	v_add_u32_e32 v1, -1, v0
	ds_read_u8 v1, v1
	s_waitcnt lgkmcnt(0)
	v_add_u16_e32 v1, v1, v2
.LBB46_57:
	s_or_b64 exec, exec, s[2:3]
	s_mov_b64 s[2:3], 0
	s_branch .LBB46_59
.LBB46_58:
	s_mov_b64 s[2:3], -1
                                        ; implicit-def: $vgpr1
.LBB46_59:
	s_andn2_b64 vcc, exec, s[2:3]
	v_mov_b32_e32 v37, v9
	v_mov_b32_e32 v36, v10
	;; [unrolled: 1-line block ×17, first 2 shown]
	s_cbranch_vccnz .LBB46_63
; %bb.60:
	v_mad_u32_u24 v21, v0, 19, 18
	v_cmp_gt_u32_e32 vcc, s46, v21
	v_mad_u32_u24 v21, v0, 19, 17
	v_cmp_gt_u32_e64 s[2:3], s46, v21
	v_mad_u32_u24 v21, v0, 19, 16
	v_cmp_gt_u32_e64 s[4:5], s46, v21
	;; [unrolled: 2-line block ×14, first 2 shown]
	v_mad_u32_u24 v21, v0, 19, 3
	v_mul_u32_u24_e32 v1, 19, v0
	v_cmp_gt_u32_e64 s[30:31], s46, v21
	v_mad_u32_u24 v21, v0, 19, 2
	v_cmp_gt_u32_e64 s[34:35], s46, v21
	v_mad_u32_u24 v21, v0, 19, 1
	v_cmp_ne_u32_e64 s[38:39], 0, v0
	v_cmp_gt_u32_e64 s[40:41], s46, v1
	v_cmp_gt_u32_e64 s[36:37], s46, v21
	s_and_b64 s[40:41], s[38:39], s[40:41]
	v_mov_b32_e32 v1, v2
	ds_write_b8 v0, v8
	s_waitcnt lgkmcnt(0)
	s_barrier
	s_and_saveexec_b64 s[38:39], s[40:41]
	s_cbranch_execz .LBB46_62
; %bb.61:
	v_add_u32_e32 v1, -1, v0
	ds_read_u8 v1, v1
	s_waitcnt lgkmcnt(0)
	v_add_u16_e32 v1, v1, v2
.LBB46_62:
	s_or_b64 exec, exec, s[38:39]
	v_cndmask_b32_e32 v29, 0, v7, vcc
	v_cndmask_b32_e64 v21, 0, v6, s[2:3]
	v_cndmask_b32_e64 v22, 0, v20, s[4:5]
	;; [unrolled: 1-line block ×17, first 2 shown]
.LBB46_63:
	v_mov_b32_e32 v39, v2
.LBB46_64:
	s_add_u32 s4, s44, s42
	v_add_u16_e32 v8, v29, v8
	v_add_u16_e32 v2, v39, v9
	;; [unrolled: 1-line block ×13, first 2 shown]
	s_addc_u32 s5, s45, s43
	v_add_u16_e32 v12, v31, v4
	v_add_u16_e32 v14, v26, v5
	v_add_u16_e32 v15, v24, v19
	v_add_u16_e32 v4, v22, v6
	v_add_u16_e32 v5, v21, v7
	s_and_b64 vcc, exec, s[0:1]
	v_mul_u32_u24_e32 v6, 19, v0
	v_lshlrev_b16_e32 v21, 8, v17
	v_lshlrev_b16_e32 v22, 8, v18
	;; [unrolled: 1-line block ×8, first 2 shown]
	s_barrier
	s_cbranch_vccz .LBB46_102
; %bb.65:
	v_or_b32_sdwa v2, v14, v21 dst_sel:DWORD dst_unused:UNUSED_PAD src0_sel:BYTE_0 src1_sel:DWORD
	v_or_b32_sdwa v3, v15, v22 dst_sel:WORD_1 dst_unused:UNUSED_PAD src0_sel:BYTE_0 src1_sel:DWORD
	v_or_b32_sdwa v27, v2, v3 dst_sel:DWORD dst_unused:UNUSED_PAD src0_sel:WORD_0 src1_sel:DWORD
	v_or_b32_sdwa v2, v12, v19 dst_sel:DWORD dst_unused:UNUSED_PAD src0_sel:BYTE_0 src1_sel:DWORD
	v_or_b32_sdwa v3, v13, v20 dst_sel:WORD_1 dst_unused:UNUSED_PAD src0_sel:BYTE_0 src1_sel:DWORD
	v_or_b32_sdwa v26, v2, v3 dst_sel:DWORD dst_unused:UNUSED_PAD src0_sel:WORD_0 src1_sel:DWORD
	;; [unrolled: 3-line block ×4, first 2 shown]
	ds_write_b128 v6, v[24:27]
	ds_write_b8 v6, v4 offset:16
	ds_write_b8 v6, v5 offset:17
	;; [unrolled: 1-line block ×3, first 2 shown]
	s_waitcnt lgkmcnt(0)
	s_barrier
	ds_read_u8 v40, v0 offset:128
	ds_read_u8 v39, v0 offset:256
	s_waitcnt vmcnt(0)
	ds_read_u8 v38, v0 offset:384
	ds_read_u8 v37, v0 offset:512
	;; [unrolled: 1-line block ×16, first 2 shown]
	s_add_i32 s47, s47, s46
	s_add_u32 s0, s4, s33
	s_addc_u32 s1, s5, 0
	v_mov_b32_e32 v3, s1
	v_add_co_u32_e32 v2, vcc, s0, v0
	v_addc_co_u32_e32 v3, vcc, 0, v3, vcc
	v_cmp_gt_u32_e32 vcc, s47, v0
	s_and_saveexec_b64 s[0:1], vcc
	s_cbranch_execz .LBB46_67
; %bb.66:
	ds_read_u8 v41, v0
	s_waitcnt lgkmcnt(0)
	global_store_byte v[2:3], v41, off
.LBB46_67:
	s_or_b64 exec, exec, s[0:1]
	v_or_b32_e32 v41, 0x80, v0
	v_cmp_gt_u32_e32 vcc, s47, v41
	s_and_saveexec_b64 s[0:1], vcc
	s_cbranch_execz .LBB46_69
; %bb.68:
	s_waitcnt lgkmcnt(14)
	global_store_byte v[2:3], v40, off offset:128
.LBB46_69:
	s_or_b64 exec, exec, s[0:1]
	s_waitcnt lgkmcnt(14)
	v_or_b32_e32 v40, 0x100, v0
	v_cmp_gt_u32_e32 vcc, s47, v40
	s_and_saveexec_b64 s[0:1], vcc
	s_cbranch_execz .LBB46_71
; %bb.70:
	global_store_byte v[2:3], v39, off offset:256
.LBB46_71:
	s_or_b64 exec, exec, s[0:1]
	v_or_b32_e32 v39, 0x180, v0
	v_cmp_gt_u32_e32 vcc, s47, v39
	s_and_saveexec_b64 s[0:1], vcc
	s_cbranch_execz .LBB46_73
; %bb.72:
	global_store_byte v[2:3], v38, off offset:384
.LBB46_73:
	s_or_b64 exec, exec, s[0:1]
	;; [unrolled: 8-line block ×3, first 2 shown]
	v_or_b32_e32 v37, 0x280, v0
	v_cmp_gt_u32_e32 vcc, s47, v37
	s_and_saveexec_b64 s[0:1], vcc
	s_cbranch_execz .LBB46_77
; %bb.76:
	s_waitcnt lgkmcnt(13)
	global_store_byte v[2:3], v36, off offset:640
.LBB46_77:
	s_or_b64 exec, exec, s[0:1]
	s_waitcnt lgkmcnt(13)
	v_or_b32_e32 v36, 0x300, v0
	v_cmp_gt_u32_e32 vcc, s47, v36
	s_and_saveexec_b64 s[0:1], vcc
	s_cbranch_execz .LBB46_79
; %bb.78:
	s_waitcnt lgkmcnt(12)
	global_store_byte v[2:3], v35, off offset:768
.LBB46_79:
	s_or_b64 exec, exec, s[0:1]
	s_waitcnt lgkmcnt(12)
	v_or_b32_e32 v35, 0x380, v0
	v_cmp_gt_u32_e32 vcc, s47, v35
	s_and_saveexec_b64 s[0:1], vcc
	s_cbranch_execz .LBB46_81
; %bb.80:
	s_waitcnt lgkmcnt(11)
	global_store_byte v[2:3], v34, off offset:896
.LBB46_81:
	s_or_b64 exec, exec, s[0:1]
	s_waitcnt lgkmcnt(11)
	v_or_b32_e32 v34, 0x400, v0
	v_cmp_gt_u32_e32 vcc, s47, v34
	s_and_saveexec_b64 s[0:1], vcc
	s_cbranch_execz .LBB46_83
; %bb.82:
	s_waitcnt lgkmcnt(10)
	global_store_byte v[2:3], v33, off offset:1024
.LBB46_83:
	s_or_b64 exec, exec, s[0:1]
	s_waitcnt lgkmcnt(10)
	v_or_b32_e32 v33, 0x480, v0
	v_cmp_gt_u32_e32 vcc, s47, v33
	s_and_saveexec_b64 s[0:1], vcc
	s_cbranch_execz .LBB46_85
; %bb.84:
	s_waitcnt lgkmcnt(9)
	global_store_byte v[2:3], v32, off offset:1152
.LBB46_85:
	s_or_b64 exec, exec, s[0:1]
	s_waitcnt lgkmcnt(9)
	v_or_b32_e32 v32, 0x500, v0
	v_cmp_gt_u32_e32 vcc, s47, v32
	s_and_saveexec_b64 s[0:1], vcc
	s_cbranch_execz .LBB46_87
; %bb.86:
	s_waitcnt lgkmcnt(8)
	global_store_byte v[2:3], v31, off offset:1280
.LBB46_87:
	s_or_b64 exec, exec, s[0:1]
	s_waitcnt lgkmcnt(8)
	v_or_b32_e32 v31, 0x580, v0
	v_cmp_gt_u32_e32 vcc, s47, v31
	s_and_saveexec_b64 s[0:1], vcc
	s_cbranch_execz .LBB46_89
; %bb.88:
	s_waitcnt lgkmcnt(7)
	global_store_byte v[2:3], v30, off offset:1408
.LBB46_89:
	s_or_b64 exec, exec, s[0:1]
	s_waitcnt lgkmcnt(7)
	v_or_b32_e32 v30, 0x600, v0
	v_cmp_gt_u32_e32 vcc, s47, v30
	s_and_saveexec_b64 s[0:1], vcc
	s_cbranch_execz .LBB46_91
; %bb.90:
	s_waitcnt lgkmcnt(6)
	global_store_byte v[2:3], v29, off offset:1536
.LBB46_91:
	s_or_b64 exec, exec, s[0:1]
	s_waitcnt lgkmcnt(6)
	v_or_b32_e32 v29, 0x680, v0
	v_cmp_gt_u32_e32 vcc, s47, v29
	s_and_saveexec_b64 s[0:1], vcc
	s_cbranch_execz .LBB46_93
; %bb.92:
	s_waitcnt lgkmcnt(5)
	global_store_byte v[2:3], v28, off offset:1664
.LBB46_93:
	s_or_b64 exec, exec, s[0:1]
	s_waitcnt lgkmcnt(5)
	v_or_b32_e32 v28, 0x700, v0
	v_cmp_gt_u32_e32 vcc, s47, v28
	s_and_saveexec_b64 s[0:1], vcc
	s_cbranch_execz .LBB46_95
; %bb.94:
	s_waitcnt lgkmcnt(4)
	global_store_byte v[2:3], v27, off offset:1792
.LBB46_95:
	s_or_b64 exec, exec, s[0:1]
	s_waitcnt lgkmcnt(4)
	v_or_b32_e32 v27, 0x780, v0
	v_cmp_gt_u32_e32 vcc, s47, v27
	s_and_saveexec_b64 s[0:1], vcc
	s_cbranch_execz .LBB46_97
; %bb.96:
	s_waitcnt lgkmcnt(3)
	global_store_byte v[2:3], v26, off offset:1920
.LBB46_97:
	s_or_b64 exec, exec, s[0:1]
	s_waitcnt lgkmcnt(3)
	v_or_b32_e32 v26, 0x800, v0
	v_cmp_gt_u32_e32 vcc, s47, v26
	s_and_saveexec_b64 s[0:1], vcc
	s_cbranch_execz .LBB46_99
; %bb.98:
	s_waitcnt lgkmcnt(2)
	global_store_byte v[2:3], v25, off offset:2048
.LBB46_99:
	s_or_b64 exec, exec, s[0:1]
	s_waitcnt lgkmcnt(2)
	v_or_b32_e32 v25, 0x880, v0
	v_cmp_gt_u32_e32 vcc, s47, v25
	s_and_saveexec_b64 s[0:1], vcc
	s_cbranch_execz .LBB46_101
; %bb.100:
	s_waitcnt lgkmcnt(1)
	global_store_byte v[2:3], v24, off offset:2176
.LBB46_101:
	s_or_b64 exec, exec, s[0:1]
	s_waitcnt lgkmcnt(1)
	v_or_b32_e32 v24, 0x900, v0
	v_cmp_gt_u32_e64 s[0:1], s47, v24
	s_branch .LBB46_104
.LBB46_102:
	s_mov_b64 s[0:1], 0
                                        ; implicit-def: $vgpr23
                                        ; implicit-def: $vgpr2_vgpr3
	s_cbranch_execz .LBB46_104
; %bb.103:
	v_or_b32_sdwa v2, v14, v21 dst_sel:DWORD dst_unused:UNUSED_PAD src0_sel:BYTE_0 src1_sel:DWORD
	v_or_b32_sdwa v3, v15, v22 dst_sel:WORD_1 dst_unused:UNUSED_PAD src0_sel:BYTE_0 src1_sel:DWORD
	v_or_b32_sdwa v15, v2, v3 dst_sel:DWORD dst_unused:UNUSED_PAD src0_sel:WORD_0 src1_sel:DWORD
	v_or_b32_sdwa v2, v12, v19 dst_sel:DWORD dst_unused:UNUSED_PAD src0_sel:BYTE_0 src1_sel:DWORD
	v_or_b32_sdwa v3, v13, v20 dst_sel:WORD_1 dst_unused:UNUSED_PAD src0_sel:BYTE_0 src1_sel:DWORD
	v_or_b32_sdwa v14, v2, v3 dst_sel:DWORD dst_unused:UNUSED_PAD src0_sel:WORD_0 src1_sel:DWORD
	;; [unrolled: 3-line block ×4, first 2 shown]
	s_add_u32 s2, s4, s33
	ds_write_b128 v6, v[12:15]
	ds_write_b8 v6, v4 offset:16
	ds_write_b8 v6, v5 offset:17
	;; [unrolled: 1-line block ×3, first 2 shown]
	s_waitcnt lgkmcnt(0)
	s_barrier
	ds_read_u8 v1, v0
	ds_read_u8 v4, v0 offset:128
	ds_read_u8 v5, v0 offset:256
	ds_read_u8 v6, v0 offset:384
	ds_read_u8 v7, v0 offset:512
	ds_read_u8 v8, v0 offset:640
	ds_read_u8 v9, v0 offset:768
	ds_read_u8 v10, v0 offset:896
	ds_read_u8 v11, v0 offset:1024
	ds_read_u8 v12, v0 offset:1152
	ds_read_u8 v13, v0 offset:1280
	ds_read_u8 v14, v0 offset:1408
	ds_read_u8 v15, v0 offset:1536
	ds_read_u8 v16, v0 offset:1664
	ds_read_u8 v17, v0 offset:1792
	ds_read_u8 v18, v0 offset:1920
	ds_read_u8 v19, v0 offset:2048
	ds_read_u8 v20, v0 offset:2176
	ds_read_u8 v23, v0 offset:2304
	s_addc_u32 s3, s5, 0
	v_mov_b32_e32 v3, s3
	v_add_co_u32_e32 v2, vcc, s2, v0
	v_addc_co_u32_e32 v3, vcc, 0, v3, vcc
	s_or_b64 s[0:1], s[0:1], exec
	s_waitcnt lgkmcnt(14)
	global_store_byte v0, v1, s[2:3]
	global_store_byte v0, v4, s[2:3] offset:128
	global_store_byte v0, v5, s[2:3] offset:256
	;; [unrolled: 1-line block ×4, first 2 shown]
	s_waitcnt lgkmcnt(13)
	global_store_byte v0, v8, s[2:3] offset:640
	s_waitcnt lgkmcnt(12)
	global_store_byte v0, v9, s[2:3] offset:768
	;; [unrolled: 2-line block ×13, first 2 shown]
.LBB46_104:
	s_and_saveexec_b64 s[2:3], s[0:1]
	s_cbranch_execnz .LBB46_106
; %bb.105:
	s_endpgm
.LBB46_106:
	s_waitcnt lgkmcnt(0)
	global_store_byte v[2:3], v23, off offset:2304
	s_endpgm
	.section	.rodata,"a",@progbits
	.p2align	6, 0x0
	.amdhsa_kernel _ZN7rocprim17ROCPRIM_400000_NS6detail17trampoline_kernelINS0_14default_configENS1_35adjacent_difference_config_selectorILb1EaEEZNS1_24adjacent_difference_implIS3_Lb1ELb0EPaS7_N6thrust23THRUST_200600_302600_NS4plusIaEEEE10hipError_tPvRmT2_T3_mT4_P12ihipStream_tbEUlT_E_NS1_11comp_targetILNS1_3genE4ELNS1_11target_archE910ELNS1_3gpuE8ELNS1_3repE0EEENS1_30default_config_static_selectorELNS0_4arch9wavefront6targetE1EEEvT1_
		.amdhsa_group_segment_fixed_size 2432
		.amdhsa_private_segment_fixed_size 0
		.amdhsa_kernarg_size 56
		.amdhsa_user_sgpr_count 6
		.amdhsa_user_sgpr_private_segment_buffer 1
		.amdhsa_user_sgpr_dispatch_ptr 0
		.amdhsa_user_sgpr_queue_ptr 0
		.amdhsa_user_sgpr_kernarg_segment_ptr 1
		.amdhsa_user_sgpr_dispatch_id 0
		.amdhsa_user_sgpr_flat_scratch_init 0
		.amdhsa_user_sgpr_kernarg_preload_length 0
		.amdhsa_user_sgpr_kernarg_preload_offset 0
		.amdhsa_user_sgpr_private_segment_size 0
		.amdhsa_uses_dynamic_stack 0
		.amdhsa_system_sgpr_private_segment_wavefront_offset 0
		.amdhsa_system_sgpr_workgroup_id_x 1
		.amdhsa_system_sgpr_workgroup_id_y 0
		.amdhsa_system_sgpr_workgroup_id_z 0
		.amdhsa_system_sgpr_workgroup_info 0
		.amdhsa_system_vgpr_workitem_id 0
		.amdhsa_next_free_vgpr 42
		.amdhsa_next_free_sgpr 48
		.amdhsa_accum_offset 44
		.amdhsa_reserve_vcc 1
		.amdhsa_reserve_flat_scratch 0
		.amdhsa_float_round_mode_32 0
		.amdhsa_float_round_mode_16_64 0
		.amdhsa_float_denorm_mode_32 3
		.amdhsa_float_denorm_mode_16_64 3
		.amdhsa_dx10_clamp 1
		.amdhsa_ieee_mode 1
		.amdhsa_fp16_overflow 0
		.amdhsa_tg_split 0
		.amdhsa_exception_fp_ieee_invalid_op 0
		.amdhsa_exception_fp_denorm_src 0
		.amdhsa_exception_fp_ieee_div_zero 0
		.amdhsa_exception_fp_ieee_overflow 0
		.amdhsa_exception_fp_ieee_underflow 0
		.amdhsa_exception_fp_ieee_inexact 0
		.amdhsa_exception_int_div_zero 0
	.end_amdhsa_kernel
	.section	.text._ZN7rocprim17ROCPRIM_400000_NS6detail17trampoline_kernelINS0_14default_configENS1_35adjacent_difference_config_selectorILb1EaEEZNS1_24adjacent_difference_implIS3_Lb1ELb0EPaS7_N6thrust23THRUST_200600_302600_NS4plusIaEEEE10hipError_tPvRmT2_T3_mT4_P12ihipStream_tbEUlT_E_NS1_11comp_targetILNS1_3genE4ELNS1_11target_archE910ELNS1_3gpuE8ELNS1_3repE0EEENS1_30default_config_static_selectorELNS0_4arch9wavefront6targetE1EEEvT1_,"axG",@progbits,_ZN7rocprim17ROCPRIM_400000_NS6detail17trampoline_kernelINS0_14default_configENS1_35adjacent_difference_config_selectorILb1EaEEZNS1_24adjacent_difference_implIS3_Lb1ELb0EPaS7_N6thrust23THRUST_200600_302600_NS4plusIaEEEE10hipError_tPvRmT2_T3_mT4_P12ihipStream_tbEUlT_E_NS1_11comp_targetILNS1_3genE4ELNS1_11target_archE910ELNS1_3gpuE8ELNS1_3repE0EEENS1_30default_config_static_selectorELNS0_4arch9wavefront6targetE1EEEvT1_,comdat
.Lfunc_end46:
	.size	_ZN7rocprim17ROCPRIM_400000_NS6detail17trampoline_kernelINS0_14default_configENS1_35adjacent_difference_config_selectorILb1EaEEZNS1_24adjacent_difference_implIS3_Lb1ELb0EPaS7_N6thrust23THRUST_200600_302600_NS4plusIaEEEE10hipError_tPvRmT2_T3_mT4_P12ihipStream_tbEUlT_E_NS1_11comp_targetILNS1_3genE4ELNS1_11target_archE910ELNS1_3gpuE8ELNS1_3repE0EEENS1_30default_config_static_selectorELNS0_4arch9wavefront6targetE1EEEvT1_, .Lfunc_end46-_ZN7rocprim17ROCPRIM_400000_NS6detail17trampoline_kernelINS0_14default_configENS1_35adjacent_difference_config_selectorILb1EaEEZNS1_24adjacent_difference_implIS3_Lb1ELb0EPaS7_N6thrust23THRUST_200600_302600_NS4plusIaEEEE10hipError_tPvRmT2_T3_mT4_P12ihipStream_tbEUlT_E_NS1_11comp_targetILNS1_3genE4ELNS1_11target_archE910ELNS1_3gpuE8ELNS1_3repE0EEENS1_30default_config_static_selectorELNS0_4arch9wavefront6targetE1EEEvT1_
                                        ; -- End function
	.section	.AMDGPU.csdata,"",@progbits
; Kernel info:
; codeLenInByte = 4624
; NumSgprs: 52
; NumVgprs: 42
; NumAgprs: 0
; TotalNumVgprs: 42
; ScratchSize: 0
; MemoryBound: 0
; FloatMode: 240
; IeeeMode: 1
; LDSByteSize: 2432 bytes/workgroup (compile time only)
; SGPRBlocks: 6
; VGPRBlocks: 5
; NumSGPRsForWavesPerEU: 52
; NumVGPRsForWavesPerEU: 42
; AccumOffset: 44
; Occupancy: 8
; WaveLimiterHint : 1
; COMPUTE_PGM_RSRC2:SCRATCH_EN: 0
; COMPUTE_PGM_RSRC2:USER_SGPR: 6
; COMPUTE_PGM_RSRC2:TRAP_HANDLER: 0
; COMPUTE_PGM_RSRC2:TGID_X_EN: 1
; COMPUTE_PGM_RSRC2:TGID_Y_EN: 0
; COMPUTE_PGM_RSRC2:TGID_Z_EN: 0
; COMPUTE_PGM_RSRC2:TIDIG_COMP_CNT: 0
; COMPUTE_PGM_RSRC3_GFX90A:ACCUM_OFFSET: 10
; COMPUTE_PGM_RSRC3_GFX90A:TG_SPLIT: 0
	.section	.text._ZN7rocprim17ROCPRIM_400000_NS6detail17trampoline_kernelINS0_14default_configENS1_35adjacent_difference_config_selectorILb1EaEEZNS1_24adjacent_difference_implIS3_Lb1ELb0EPaS7_N6thrust23THRUST_200600_302600_NS4plusIaEEEE10hipError_tPvRmT2_T3_mT4_P12ihipStream_tbEUlT_E_NS1_11comp_targetILNS1_3genE3ELNS1_11target_archE908ELNS1_3gpuE7ELNS1_3repE0EEENS1_30default_config_static_selectorELNS0_4arch9wavefront6targetE1EEEvT1_,"axG",@progbits,_ZN7rocprim17ROCPRIM_400000_NS6detail17trampoline_kernelINS0_14default_configENS1_35adjacent_difference_config_selectorILb1EaEEZNS1_24adjacent_difference_implIS3_Lb1ELb0EPaS7_N6thrust23THRUST_200600_302600_NS4plusIaEEEE10hipError_tPvRmT2_T3_mT4_P12ihipStream_tbEUlT_E_NS1_11comp_targetILNS1_3genE3ELNS1_11target_archE908ELNS1_3gpuE7ELNS1_3repE0EEENS1_30default_config_static_selectorELNS0_4arch9wavefront6targetE1EEEvT1_,comdat
	.protected	_ZN7rocprim17ROCPRIM_400000_NS6detail17trampoline_kernelINS0_14default_configENS1_35adjacent_difference_config_selectorILb1EaEEZNS1_24adjacent_difference_implIS3_Lb1ELb0EPaS7_N6thrust23THRUST_200600_302600_NS4plusIaEEEE10hipError_tPvRmT2_T3_mT4_P12ihipStream_tbEUlT_E_NS1_11comp_targetILNS1_3genE3ELNS1_11target_archE908ELNS1_3gpuE7ELNS1_3repE0EEENS1_30default_config_static_selectorELNS0_4arch9wavefront6targetE1EEEvT1_ ; -- Begin function _ZN7rocprim17ROCPRIM_400000_NS6detail17trampoline_kernelINS0_14default_configENS1_35adjacent_difference_config_selectorILb1EaEEZNS1_24adjacent_difference_implIS3_Lb1ELb0EPaS7_N6thrust23THRUST_200600_302600_NS4plusIaEEEE10hipError_tPvRmT2_T3_mT4_P12ihipStream_tbEUlT_E_NS1_11comp_targetILNS1_3genE3ELNS1_11target_archE908ELNS1_3gpuE7ELNS1_3repE0EEENS1_30default_config_static_selectorELNS0_4arch9wavefront6targetE1EEEvT1_
	.globl	_ZN7rocprim17ROCPRIM_400000_NS6detail17trampoline_kernelINS0_14default_configENS1_35adjacent_difference_config_selectorILb1EaEEZNS1_24adjacent_difference_implIS3_Lb1ELb0EPaS7_N6thrust23THRUST_200600_302600_NS4plusIaEEEE10hipError_tPvRmT2_T3_mT4_P12ihipStream_tbEUlT_E_NS1_11comp_targetILNS1_3genE3ELNS1_11target_archE908ELNS1_3gpuE7ELNS1_3repE0EEENS1_30default_config_static_selectorELNS0_4arch9wavefront6targetE1EEEvT1_
	.p2align	8
	.type	_ZN7rocprim17ROCPRIM_400000_NS6detail17trampoline_kernelINS0_14default_configENS1_35adjacent_difference_config_selectorILb1EaEEZNS1_24adjacent_difference_implIS3_Lb1ELb0EPaS7_N6thrust23THRUST_200600_302600_NS4plusIaEEEE10hipError_tPvRmT2_T3_mT4_P12ihipStream_tbEUlT_E_NS1_11comp_targetILNS1_3genE3ELNS1_11target_archE908ELNS1_3gpuE7ELNS1_3repE0EEENS1_30default_config_static_selectorELNS0_4arch9wavefront6targetE1EEEvT1_,@function
_ZN7rocprim17ROCPRIM_400000_NS6detail17trampoline_kernelINS0_14default_configENS1_35adjacent_difference_config_selectorILb1EaEEZNS1_24adjacent_difference_implIS3_Lb1ELb0EPaS7_N6thrust23THRUST_200600_302600_NS4plusIaEEEE10hipError_tPvRmT2_T3_mT4_P12ihipStream_tbEUlT_E_NS1_11comp_targetILNS1_3genE3ELNS1_11target_archE908ELNS1_3gpuE7ELNS1_3repE0EEENS1_30default_config_static_selectorELNS0_4arch9wavefront6targetE1EEEvT1_: ; @_ZN7rocprim17ROCPRIM_400000_NS6detail17trampoline_kernelINS0_14default_configENS1_35adjacent_difference_config_selectorILb1EaEEZNS1_24adjacent_difference_implIS3_Lb1ELb0EPaS7_N6thrust23THRUST_200600_302600_NS4plusIaEEEE10hipError_tPvRmT2_T3_mT4_P12ihipStream_tbEUlT_E_NS1_11comp_targetILNS1_3genE3ELNS1_11target_archE908ELNS1_3gpuE7ELNS1_3repE0EEENS1_30default_config_static_selectorELNS0_4arch9wavefront6targetE1EEEvT1_
; %bb.0:
	.section	.rodata,"a",@progbits
	.p2align	6, 0x0
	.amdhsa_kernel _ZN7rocprim17ROCPRIM_400000_NS6detail17trampoline_kernelINS0_14default_configENS1_35adjacent_difference_config_selectorILb1EaEEZNS1_24adjacent_difference_implIS3_Lb1ELb0EPaS7_N6thrust23THRUST_200600_302600_NS4plusIaEEEE10hipError_tPvRmT2_T3_mT4_P12ihipStream_tbEUlT_E_NS1_11comp_targetILNS1_3genE3ELNS1_11target_archE908ELNS1_3gpuE7ELNS1_3repE0EEENS1_30default_config_static_selectorELNS0_4arch9wavefront6targetE1EEEvT1_
		.amdhsa_group_segment_fixed_size 0
		.amdhsa_private_segment_fixed_size 0
		.amdhsa_kernarg_size 56
		.amdhsa_user_sgpr_count 6
		.amdhsa_user_sgpr_private_segment_buffer 1
		.amdhsa_user_sgpr_dispatch_ptr 0
		.amdhsa_user_sgpr_queue_ptr 0
		.amdhsa_user_sgpr_kernarg_segment_ptr 1
		.amdhsa_user_sgpr_dispatch_id 0
		.amdhsa_user_sgpr_flat_scratch_init 0
		.amdhsa_user_sgpr_kernarg_preload_length 0
		.amdhsa_user_sgpr_kernarg_preload_offset 0
		.amdhsa_user_sgpr_private_segment_size 0
		.amdhsa_uses_dynamic_stack 0
		.amdhsa_system_sgpr_private_segment_wavefront_offset 0
		.amdhsa_system_sgpr_workgroup_id_x 1
		.amdhsa_system_sgpr_workgroup_id_y 0
		.amdhsa_system_sgpr_workgroup_id_z 0
		.amdhsa_system_sgpr_workgroup_info 0
		.amdhsa_system_vgpr_workitem_id 0
		.amdhsa_next_free_vgpr 1
		.amdhsa_next_free_sgpr 0
		.amdhsa_accum_offset 4
		.amdhsa_reserve_vcc 0
		.amdhsa_reserve_flat_scratch 0
		.amdhsa_float_round_mode_32 0
		.amdhsa_float_round_mode_16_64 0
		.amdhsa_float_denorm_mode_32 3
		.amdhsa_float_denorm_mode_16_64 3
		.amdhsa_dx10_clamp 1
		.amdhsa_ieee_mode 1
		.amdhsa_fp16_overflow 0
		.amdhsa_tg_split 0
		.amdhsa_exception_fp_ieee_invalid_op 0
		.amdhsa_exception_fp_denorm_src 0
		.amdhsa_exception_fp_ieee_div_zero 0
		.amdhsa_exception_fp_ieee_overflow 0
		.amdhsa_exception_fp_ieee_underflow 0
		.amdhsa_exception_fp_ieee_inexact 0
		.amdhsa_exception_int_div_zero 0
	.end_amdhsa_kernel
	.section	.text._ZN7rocprim17ROCPRIM_400000_NS6detail17trampoline_kernelINS0_14default_configENS1_35adjacent_difference_config_selectorILb1EaEEZNS1_24adjacent_difference_implIS3_Lb1ELb0EPaS7_N6thrust23THRUST_200600_302600_NS4plusIaEEEE10hipError_tPvRmT2_T3_mT4_P12ihipStream_tbEUlT_E_NS1_11comp_targetILNS1_3genE3ELNS1_11target_archE908ELNS1_3gpuE7ELNS1_3repE0EEENS1_30default_config_static_selectorELNS0_4arch9wavefront6targetE1EEEvT1_,"axG",@progbits,_ZN7rocprim17ROCPRIM_400000_NS6detail17trampoline_kernelINS0_14default_configENS1_35adjacent_difference_config_selectorILb1EaEEZNS1_24adjacent_difference_implIS3_Lb1ELb0EPaS7_N6thrust23THRUST_200600_302600_NS4plusIaEEEE10hipError_tPvRmT2_T3_mT4_P12ihipStream_tbEUlT_E_NS1_11comp_targetILNS1_3genE3ELNS1_11target_archE908ELNS1_3gpuE7ELNS1_3repE0EEENS1_30default_config_static_selectorELNS0_4arch9wavefront6targetE1EEEvT1_,comdat
.Lfunc_end47:
	.size	_ZN7rocprim17ROCPRIM_400000_NS6detail17trampoline_kernelINS0_14default_configENS1_35adjacent_difference_config_selectorILb1EaEEZNS1_24adjacent_difference_implIS3_Lb1ELb0EPaS7_N6thrust23THRUST_200600_302600_NS4plusIaEEEE10hipError_tPvRmT2_T3_mT4_P12ihipStream_tbEUlT_E_NS1_11comp_targetILNS1_3genE3ELNS1_11target_archE908ELNS1_3gpuE7ELNS1_3repE0EEENS1_30default_config_static_selectorELNS0_4arch9wavefront6targetE1EEEvT1_, .Lfunc_end47-_ZN7rocprim17ROCPRIM_400000_NS6detail17trampoline_kernelINS0_14default_configENS1_35adjacent_difference_config_selectorILb1EaEEZNS1_24adjacent_difference_implIS3_Lb1ELb0EPaS7_N6thrust23THRUST_200600_302600_NS4plusIaEEEE10hipError_tPvRmT2_T3_mT4_P12ihipStream_tbEUlT_E_NS1_11comp_targetILNS1_3genE3ELNS1_11target_archE908ELNS1_3gpuE7ELNS1_3repE0EEENS1_30default_config_static_selectorELNS0_4arch9wavefront6targetE1EEEvT1_
                                        ; -- End function
	.section	.AMDGPU.csdata,"",@progbits
; Kernel info:
; codeLenInByte = 0
; NumSgprs: 4
; NumVgprs: 0
; NumAgprs: 0
; TotalNumVgprs: 0
; ScratchSize: 0
; MemoryBound: 0
; FloatMode: 240
; IeeeMode: 1
; LDSByteSize: 0 bytes/workgroup (compile time only)
; SGPRBlocks: 0
; VGPRBlocks: 0
; NumSGPRsForWavesPerEU: 4
; NumVGPRsForWavesPerEU: 1
; AccumOffset: 4
; Occupancy: 8
; WaveLimiterHint : 0
; COMPUTE_PGM_RSRC2:SCRATCH_EN: 0
; COMPUTE_PGM_RSRC2:USER_SGPR: 6
; COMPUTE_PGM_RSRC2:TRAP_HANDLER: 0
; COMPUTE_PGM_RSRC2:TGID_X_EN: 1
; COMPUTE_PGM_RSRC2:TGID_Y_EN: 0
; COMPUTE_PGM_RSRC2:TGID_Z_EN: 0
; COMPUTE_PGM_RSRC2:TIDIG_COMP_CNT: 0
; COMPUTE_PGM_RSRC3_GFX90A:ACCUM_OFFSET: 0
; COMPUTE_PGM_RSRC3_GFX90A:TG_SPLIT: 0
	.section	.text._ZN7rocprim17ROCPRIM_400000_NS6detail17trampoline_kernelINS0_14default_configENS1_35adjacent_difference_config_selectorILb1EaEEZNS1_24adjacent_difference_implIS3_Lb1ELb0EPaS7_N6thrust23THRUST_200600_302600_NS4plusIaEEEE10hipError_tPvRmT2_T3_mT4_P12ihipStream_tbEUlT_E_NS1_11comp_targetILNS1_3genE2ELNS1_11target_archE906ELNS1_3gpuE6ELNS1_3repE0EEENS1_30default_config_static_selectorELNS0_4arch9wavefront6targetE1EEEvT1_,"axG",@progbits,_ZN7rocprim17ROCPRIM_400000_NS6detail17trampoline_kernelINS0_14default_configENS1_35adjacent_difference_config_selectorILb1EaEEZNS1_24adjacent_difference_implIS3_Lb1ELb0EPaS7_N6thrust23THRUST_200600_302600_NS4plusIaEEEE10hipError_tPvRmT2_T3_mT4_P12ihipStream_tbEUlT_E_NS1_11comp_targetILNS1_3genE2ELNS1_11target_archE906ELNS1_3gpuE6ELNS1_3repE0EEENS1_30default_config_static_selectorELNS0_4arch9wavefront6targetE1EEEvT1_,comdat
	.protected	_ZN7rocprim17ROCPRIM_400000_NS6detail17trampoline_kernelINS0_14default_configENS1_35adjacent_difference_config_selectorILb1EaEEZNS1_24adjacent_difference_implIS3_Lb1ELb0EPaS7_N6thrust23THRUST_200600_302600_NS4plusIaEEEE10hipError_tPvRmT2_T3_mT4_P12ihipStream_tbEUlT_E_NS1_11comp_targetILNS1_3genE2ELNS1_11target_archE906ELNS1_3gpuE6ELNS1_3repE0EEENS1_30default_config_static_selectorELNS0_4arch9wavefront6targetE1EEEvT1_ ; -- Begin function _ZN7rocprim17ROCPRIM_400000_NS6detail17trampoline_kernelINS0_14default_configENS1_35adjacent_difference_config_selectorILb1EaEEZNS1_24adjacent_difference_implIS3_Lb1ELb0EPaS7_N6thrust23THRUST_200600_302600_NS4plusIaEEEE10hipError_tPvRmT2_T3_mT4_P12ihipStream_tbEUlT_E_NS1_11comp_targetILNS1_3genE2ELNS1_11target_archE906ELNS1_3gpuE6ELNS1_3repE0EEENS1_30default_config_static_selectorELNS0_4arch9wavefront6targetE1EEEvT1_
	.globl	_ZN7rocprim17ROCPRIM_400000_NS6detail17trampoline_kernelINS0_14default_configENS1_35adjacent_difference_config_selectorILb1EaEEZNS1_24adjacent_difference_implIS3_Lb1ELb0EPaS7_N6thrust23THRUST_200600_302600_NS4plusIaEEEE10hipError_tPvRmT2_T3_mT4_P12ihipStream_tbEUlT_E_NS1_11comp_targetILNS1_3genE2ELNS1_11target_archE906ELNS1_3gpuE6ELNS1_3repE0EEENS1_30default_config_static_selectorELNS0_4arch9wavefront6targetE1EEEvT1_
	.p2align	8
	.type	_ZN7rocprim17ROCPRIM_400000_NS6detail17trampoline_kernelINS0_14default_configENS1_35adjacent_difference_config_selectorILb1EaEEZNS1_24adjacent_difference_implIS3_Lb1ELb0EPaS7_N6thrust23THRUST_200600_302600_NS4plusIaEEEE10hipError_tPvRmT2_T3_mT4_P12ihipStream_tbEUlT_E_NS1_11comp_targetILNS1_3genE2ELNS1_11target_archE906ELNS1_3gpuE6ELNS1_3repE0EEENS1_30default_config_static_selectorELNS0_4arch9wavefront6targetE1EEEvT1_,@function
_ZN7rocprim17ROCPRIM_400000_NS6detail17trampoline_kernelINS0_14default_configENS1_35adjacent_difference_config_selectorILb1EaEEZNS1_24adjacent_difference_implIS3_Lb1ELb0EPaS7_N6thrust23THRUST_200600_302600_NS4plusIaEEEE10hipError_tPvRmT2_T3_mT4_P12ihipStream_tbEUlT_E_NS1_11comp_targetILNS1_3genE2ELNS1_11target_archE906ELNS1_3gpuE6ELNS1_3repE0EEENS1_30default_config_static_selectorELNS0_4arch9wavefront6targetE1EEEvT1_: ; @_ZN7rocprim17ROCPRIM_400000_NS6detail17trampoline_kernelINS0_14default_configENS1_35adjacent_difference_config_selectorILb1EaEEZNS1_24adjacent_difference_implIS3_Lb1ELb0EPaS7_N6thrust23THRUST_200600_302600_NS4plusIaEEEE10hipError_tPvRmT2_T3_mT4_P12ihipStream_tbEUlT_E_NS1_11comp_targetILNS1_3genE2ELNS1_11target_archE906ELNS1_3gpuE6ELNS1_3repE0EEENS1_30default_config_static_selectorELNS0_4arch9wavefront6targetE1EEEvT1_
; %bb.0:
	.section	.rodata,"a",@progbits
	.p2align	6, 0x0
	.amdhsa_kernel _ZN7rocprim17ROCPRIM_400000_NS6detail17trampoline_kernelINS0_14default_configENS1_35adjacent_difference_config_selectorILb1EaEEZNS1_24adjacent_difference_implIS3_Lb1ELb0EPaS7_N6thrust23THRUST_200600_302600_NS4plusIaEEEE10hipError_tPvRmT2_T3_mT4_P12ihipStream_tbEUlT_E_NS1_11comp_targetILNS1_3genE2ELNS1_11target_archE906ELNS1_3gpuE6ELNS1_3repE0EEENS1_30default_config_static_selectorELNS0_4arch9wavefront6targetE1EEEvT1_
		.amdhsa_group_segment_fixed_size 0
		.amdhsa_private_segment_fixed_size 0
		.amdhsa_kernarg_size 56
		.amdhsa_user_sgpr_count 6
		.amdhsa_user_sgpr_private_segment_buffer 1
		.amdhsa_user_sgpr_dispatch_ptr 0
		.amdhsa_user_sgpr_queue_ptr 0
		.amdhsa_user_sgpr_kernarg_segment_ptr 1
		.amdhsa_user_sgpr_dispatch_id 0
		.amdhsa_user_sgpr_flat_scratch_init 0
		.amdhsa_user_sgpr_kernarg_preload_length 0
		.amdhsa_user_sgpr_kernarg_preload_offset 0
		.amdhsa_user_sgpr_private_segment_size 0
		.amdhsa_uses_dynamic_stack 0
		.amdhsa_system_sgpr_private_segment_wavefront_offset 0
		.amdhsa_system_sgpr_workgroup_id_x 1
		.amdhsa_system_sgpr_workgroup_id_y 0
		.amdhsa_system_sgpr_workgroup_id_z 0
		.amdhsa_system_sgpr_workgroup_info 0
		.amdhsa_system_vgpr_workitem_id 0
		.amdhsa_next_free_vgpr 1
		.amdhsa_next_free_sgpr 0
		.amdhsa_accum_offset 4
		.amdhsa_reserve_vcc 0
		.amdhsa_reserve_flat_scratch 0
		.amdhsa_float_round_mode_32 0
		.amdhsa_float_round_mode_16_64 0
		.amdhsa_float_denorm_mode_32 3
		.amdhsa_float_denorm_mode_16_64 3
		.amdhsa_dx10_clamp 1
		.amdhsa_ieee_mode 1
		.amdhsa_fp16_overflow 0
		.amdhsa_tg_split 0
		.amdhsa_exception_fp_ieee_invalid_op 0
		.amdhsa_exception_fp_denorm_src 0
		.amdhsa_exception_fp_ieee_div_zero 0
		.amdhsa_exception_fp_ieee_overflow 0
		.amdhsa_exception_fp_ieee_underflow 0
		.amdhsa_exception_fp_ieee_inexact 0
		.amdhsa_exception_int_div_zero 0
	.end_amdhsa_kernel
	.section	.text._ZN7rocprim17ROCPRIM_400000_NS6detail17trampoline_kernelINS0_14default_configENS1_35adjacent_difference_config_selectorILb1EaEEZNS1_24adjacent_difference_implIS3_Lb1ELb0EPaS7_N6thrust23THRUST_200600_302600_NS4plusIaEEEE10hipError_tPvRmT2_T3_mT4_P12ihipStream_tbEUlT_E_NS1_11comp_targetILNS1_3genE2ELNS1_11target_archE906ELNS1_3gpuE6ELNS1_3repE0EEENS1_30default_config_static_selectorELNS0_4arch9wavefront6targetE1EEEvT1_,"axG",@progbits,_ZN7rocprim17ROCPRIM_400000_NS6detail17trampoline_kernelINS0_14default_configENS1_35adjacent_difference_config_selectorILb1EaEEZNS1_24adjacent_difference_implIS3_Lb1ELb0EPaS7_N6thrust23THRUST_200600_302600_NS4plusIaEEEE10hipError_tPvRmT2_T3_mT4_P12ihipStream_tbEUlT_E_NS1_11comp_targetILNS1_3genE2ELNS1_11target_archE906ELNS1_3gpuE6ELNS1_3repE0EEENS1_30default_config_static_selectorELNS0_4arch9wavefront6targetE1EEEvT1_,comdat
.Lfunc_end48:
	.size	_ZN7rocprim17ROCPRIM_400000_NS6detail17trampoline_kernelINS0_14default_configENS1_35adjacent_difference_config_selectorILb1EaEEZNS1_24adjacent_difference_implIS3_Lb1ELb0EPaS7_N6thrust23THRUST_200600_302600_NS4plusIaEEEE10hipError_tPvRmT2_T3_mT4_P12ihipStream_tbEUlT_E_NS1_11comp_targetILNS1_3genE2ELNS1_11target_archE906ELNS1_3gpuE6ELNS1_3repE0EEENS1_30default_config_static_selectorELNS0_4arch9wavefront6targetE1EEEvT1_, .Lfunc_end48-_ZN7rocprim17ROCPRIM_400000_NS6detail17trampoline_kernelINS0_14default_configENS1_35adjacent_difference_config_selectorILb1EaEEZNS1_24adjacent_difference_implIS3_Lb1ELb0EPaS7_N6thrust23THRUST_200600_302600_NS4plusIaEEEE10hipError_tPvRmT2_T3_mT4_P12ihipStream_tbEUlT_E_NS1_11comp_targetILNS1_3genE2ELNS1_11target_archE906ELNS1_3gpuE6ELNS1_3repE0EEENS1_30default_config_static_selectorELNS0_4arch9wavefront6targetE1EEEvT1_
                                        ; -- End function
	.section	.AMDGPU.csdata,"",@progbits
; Kernel info:
; codeLenInByte = 0
; NumSgprs: 4
; NumVgprs: 0
; NumAgprs: 0
; TotalNumVgprs: 0
; ScratchSize: 0
; MemoryBound: 0
; FloatMode: 240
; IeeeMode: 1
; LDSByteSize: 0 bytes/workgroup (compile time only)
; SGPRBlocks: 0
; VGPRBlocks: 0
; NumSGPRsForWavesPerEU: 4
; NumVGPRsForWavesPerEU: 1
; AccumOffset: 4
; Occupancy: 8
; WaveLimiterHint : 0
; COMPUTE_PGM_RSRC2:SCRATCH_EN: 0
; COMPUTE_PGM_RSRC2:USER_SGPR: 6
; COMPUTE_PGM_RSRC2:TRAP_HANDLER: 0
; COMPUTE_PGM_RSRC2:TGID_X_EN: 1
; COMPUTE_PGM_RSRC2:TGID_Y_EN: 0
; COMPUTE_PGM_RSRC2:TGID_Z_EN: 0
; COMPUTE_PGM_RSRC2:TIDIG_COMP_CNT: 0
; COMPUTE_PGM_RSRC3_GFX90A:ACCUM_OFFSET: 0
; COMPUTE_PGM_RSRC3_GFX90A:TG_SPLIT: 0
	.section	.text._ZN7rocprim17ROCPRIM_400000_NS6detail17trampoline_kernelINS0_14default_configENS1_35adjacent_difference_config_selectorILb1EaEEZNS1_24adjacent_difference_implIS3_Lb1ELb0EPaS7_N6thrust23THRUST_200600_302600_NS4plusIaEEEE10hipError_tPvRmT2_T3_mT4_P12ihipStream_tbEUlT_E_NS1_11comp_targetILNS1_3genE9ELNS1_11target_archE1100ELNS1_3gpuE3ELNS1_3repE0EEENS1_30default_config_static_selectorELNS0_4arch9wavefront6targetE1EEEvT1_,"axG",@progbits,_ZN7rocprim17ROCPRIM_400000_NS6detail17trampoline_kernelINS0_14default_configENS1_35adjacent_difference_config_selectorILb1EaEEZNS1_24adjacent_difference_implIS3_Lb1ELb0EPaS7_N6thrust23THRUST_200600_302600_NS4plusIaEEEE10hipError_tPvRmT2_T3_mT4_P12ihipStream_tbEUlT_E_NS1_11comp_targetILNS1_3genE9ELNS1_11target_archE1100ELNS1_3gpuE3ELNS1_3repE0EEENS1_30default_config_static_selectorELNS0_4arch9wavefront6targetE1EEEvT1_,comdat
	.protected	_ZN7rocprim17ROCPRIM_400000_NS6detail17trampoline_kernelINS0_14default_configENS1_35adjacent_difference_config_selectorILb1EaEEZNS1_24adjacent_difference_implIS3_Lb1ELb0EPaS7_N6thrust23THRUST_200600_302600_NS4plusIaEEEE10hipError_tPvRmT2_T3_mT4_P12ihipStream_tbEUlT_E_NS1_11comp_targetILNS1_3genE9ELNS1_11target_archE1100ELNS1_3gpuE3ELNS1_3repE0EEENS1_30default_config_static_selectorELNS0_4arch9wavefront6targetE1EEEvT1_ ; -- Begin function _ZN7rocprim17ROCPRIM_400000_NS6detail17trampoline_kernelINS0_14default_configENS1_35adjacent_difference_config_selectorILb1EaEEZNS1_24adjacent_difference_implIS3_Lb1ELb0EPaS7_N6thrust23THRUST_200600_302600_NS4plusIaEEEE10hipError_tPvRmT2_T3_mT4_P12ihipStream_tbEUlT_E_NS1_11comp_targetILNS1_3genE9ELNS1_11target_archE1100ELNS1_3gpuE3ELNS1_3repE0EEENS1_30default_config_static_selectorELNS0_4arch9wavefront6targetE1EEEvT1_
	.globl	_ZN7rocprim17ROCPRIM_400000_NS6detail17trampoline_kernelINS0_14default_configENS1_35adjacent_difference_config_selectorILb1EaEEZNS1_24adjacent_difference_implIS3_Lb1ELb0EPaS7_N6thrust23THRUST_200600_302600_NS4plusIaEEEE10hipError_tPvRmT2_T3_mT4_P12ihipStream_tbEUlT_E_NS1_11comp_targetILNS1_3genE9ELNS1_11target_archE1100ELNS1_3gpuE3ELNS1_3repE0EEENS1_30default_config_static_selectorELNS0_4arch9wavefront6targetE1EEEvT1_
	.p2align	8
	.type	_ZN7rocprim17ROCPRIM_400000_NS6detail17trampoline_kernelINS0_14default_configENS1_35adjacent_difference_config_selectorILb1EaEEZNS1_24adjacent_difference_implIS3_Lb1ELb0EPaS7_N6thrust23THRUST_200600_302600_NS4plusIaEEEE10hipError_tPvRmT2_T3_mT4_P12ihipStream_tbEUlT_E_NS1_11comp_targetILNS1_3genE9ELNS1_11target_archE1100ELNS1_3gpuE3ELNS1_3repE0EEENS1_30default_config_static_selectorELNS0_4arch9wavefront6targetE1EEEvT1_,@function
_ZN7rocprim17ROCPRIM_400000_NS6detail17trampoline_kernelINS0_14default_configENS1_35adjacent_difference_config_selectorILb1EaEEZNS1_24adjacent_difference_implIS3_Lb1ELb0EPaS7_N6thrust23THRUST_200600_302600_NS4plusIaEEEE10hipError_tPvRmT2_T3_mT4_P12ihipStream_tbEUlT_E_NS1_11comp_targetILNS1_3genE9ELNS1_11target_archE1100ELNS1_3gpuE3ELNS1_3repE0EEENS1_30default_config_static_selectorELNS0_4arch9wavefront6targetE1EEEvT1_: ; @_ZN7rocprim17ROCPRIM_400000_NS6detail17trampoline_kernelINS0_14default_configENS1_35adjacent_difference_config_selectorILb1EaEEZNS1_24adjacent_difference_implIS3_Lb1ELb0EPaS7_N6thrust23THRUST_200600_302600_NS4plusIaEEEE10hipError_tPvRmT2_T3_mT4_P12ihipStream_tbEUlT_E_NS1_11comp_targetILNS1_3genE9ELNS1_11target_archE1100ELNS1_3gpuE3ELNS1_3repE0EEENS1_30default_config_static_selectorELNS0_4arch9wavefront6targetE1EEEvT1_
; %bb.0:
	.section	.rodata,"a",@progbits
	.p2align	6, 0x0
	.amdhsa_kernel _ZN7rocprim17ROCPRIM_400000_NS6detail17trampoline_kernelINS0_14default_configENS1_35adjacent_difference_config_selectorILb1EaEEZNS1_24adjacent_difference_implIS3_Lb1ELb0EPaS7_N6thrust23THRUST_200600_302600_NS4plusIaEEEE10hipError_tPvRmT2_T3_mT4_P12ihipStream_tbEUlT_E_NS1_11comp_targetILNS1_3genE9ELNS1_11target_archE1100ELNS1_3gpuE3ELNS1_3repE0EEENS1_30default_config_static_selectorELNS0_4arch9wavefront6targetE1EEEvT1_
		.amdhsa_group_segment_fixed_size 0
		.amdhsa_private_segment_fixed_size 0
		.amdhsa_kernarg_size 56
		.amdhsa_user_sgpr_count 6
		.amdhsa_user_sgpr_private_segment_buffer 1
		.amdhsa_user_sgpr_dispatch_ptr 0
		.amdhsa_user_sgpr_queue_ptr 0
		.amdhsa_user_sgpr_kernarg_segment_ptr 1
		.amdhsa_user_sgpr_dispatch_id 0
		.amdhsa_user_sgpr_flat_scratch_init 0
		.amdhsa_user_sgpr_kernarg_preload_length 0
		.amdhsa_user_sgpr_kernarg_preload_offset 0
		.amdhsa_user_sgpr_private_segment_size 0
		.amdhsa_uses_dynamic_stack 0
		.amdhsa_system_sgpr_private_segment_wavefront_offset 0
		.amdhsa_system_sgpr_workgroup_id_x 1
		.amdhsa_system_sgpr_workgroup_id_y 0
		.amdhsa_system_sgpr_workgroup_id_z 0
		.amdhsa_system_sgpr_workgroup_info 0
		.amdhsa_system_vgpr_workitem_id 0
		.amdhsa_next_free_vgpr 1
		.amdhsa_next_free_sgpr 0
		.amdhsa_accum_offset 4
		.amdhsa_reserve_vcc 0
		.amdhsa_reserve_flat_scratch 0
		.amdhsa_float_round_mode_32 0
		.amdhsa_float_round_mode_16_64 0
		.amdhsa_float_denorm_mode_32 3
		.amdhsa_float_denorm_mode_16_64 3
		.amdhsa_dx10_clamp 1
		.amdhsa_ieee_mode 1
		.amdhsa_fp16_overflow 0
		.amdhsa_tg_split 0
		.amdhsa_exception_fp_ieee_invalid_op 0
		.amdhsa_exception_fp_denorm_src 0
		.amdhsa_exception_fp_ieee_div_zero 0
		.amdhsa_exception_fp_ieee_overflow 0
		.amdhsa_exception_fp_ieee_underflow 0
		.amdhsa_exception_fp_ieee_inexact 0
		.amdhsa_exception_int_div_zero 0
	.end_amdhsa_kernel
	.section	.text._ZN7rocprim17ROCPRIM_400000_NS6detail17trampoline_kernelINS0_14default_configENS1_35adjacent_difference_config_selectorILb1EaEEZNS1_24adjacent_difference_implIS3_Lb1ELb0EPaS7_N6thrust23THRUST_200600_302600_NS4plusIaEEEE10hipError_tPvRmT2_T3_mT4_P12ihipStream_tbEUlT_E_NS1_11comp_targetILNS1_3genE9ELNS1_11target_archE1100ELNS1_3gpuE3ELNS1_3repE0EEENS1_30default_config_static_selectorELNS0_4arch9wavefront6targetE1EEEvT1_,"axG",@progbits,_ZN7rocprim17ROCPRIM_400000_NS6detail17trampoline_kernelINS0_14default_configENS1_35adjacent_difference_config_selectorILb1EaEEZNS1_24adjacent_difference_implIS3_Lb1ELb0EPaS7_N6thrust23THRUST_200600_302600_NS4plusIaEEEE10hipError_tPvRmT2_T3_mT4_P12ihipStream_tbEUlT_E_NS1_11comp_targetILNS1_3genE9ELNS1_11target_archE1100ELNS1_3gpuE3ELNS1_3repE0EEENS1_30default_config_static_selectorELNS0_4arch9wavefront6targetE1EEEvT1_,comdat
.Lfunc_end49:
	.size	_ZN7rocprim17ROCPRIM_400000_NS6detail17trampoline_kernelINS0_14default_configENS1_35adjacent_difference_config_selectorILb1EaEEZNS1_24adjacent_difference_implIS3_Lb1ELb0EPaS7_N6thrust23THRUST_200600_302600_NS4plusIaEEEE10hipError_tPvRmT2_T3_mT4_P12ihipStream_tbEUlT_E_NS1_11comp_targetILNS1_3genE9ELNS1_11target_archE1100ELNS1_3gpuE3ELNS1_3repE0EEENS1_30default_config_static_selectorELNS0_4arch9wavefront6targetE1EEEvT1_, .Lfunc_end49-_ZN7rocprim17ROCPRIM_400000_NS6detail17trampoline_kernelINS0_14default_configENS1_35adjacent_difference_config_selectorILb1EaEEZNS1_24adjacent_difference_implIS3_Lb1ELb0EPaS7_N6thrust23THRUST_200600_302600_NS4plusIaEEEE10hipError_tPvRmT2_T3_mT4_P12ihipStream_tbEUlT_E_NS1_11comp_targetILNS1_3genE9ELNS1_11target_archE1100ELNS1_3gpuE3ELNS1_3repE0EEENS1_30default_config_static_selectorELNS0_4arch9wavefront6targetE1EEEvT1_
                                        ; -- End function
	.section	.AMDGPU.csdata,"",@progbits
; Kernel info:
; codeLenInByte = 0
; NumSgprs: 4
; NumVgprs: 0
; NumAgprs: 0
; TotalNumVgprs: 0
; ScratchSize: 0
; MemoryBound: 0
; FloatMode: 240
; IeeeMode: 1
; LDSByteSize: 0 bytes/workgroup (compile time only)
; SGPRBlocks: 0
; VGPRBlocks: 0
; NumSGPRsForWavesPerEU: 4
; NumVGPRsForWavesPerEU: 1
; AccumOffset: 4
; Occupancy: 8
; WaveLimiterHint : 0
; COMPUTE_PGM_RSRC2:SCRATCH_EN: 0
; COMPUTE_PGM_RSRC2:USER_SGPR: 6
; COMPUTE_PGM_RSRC2:TRAP_HANDLER: 0
; COMPUTE_PGM_RSRC2:TGID_X_EN: 1
; COMPUTE_PGM_RSRC2:TGID_Y_EN: 0
; COMPUTE_PGM_RSRC2:TGID_Z_EN: 0
; COMPUTE_PGM_RSRC2:TIDIG_COMP_CNT: 0
; COMPUTE_PGM_RSRC3_GFX90A:ACCUM_OFFSET: 0
; COMPUTE_PGM_RSRC3_GFX90A:TG_SPLIT: 0
	.section	.text._ZN7rocprim17ROCPRIM_400000_NS6detail17trampoline_kernelINS0_14default_configENS1_35adjacent_difference_config_selectorILb1EaEEZNS1_24adjacent_difference_implIS3_Lb1ELb0EPaS7_N6thrust23THRUST_200600_302600_NS4plusIaEEEE10hipError_tPvRmT2_T3_mT4_P12ihipStream_tbEUlT_E_NS1_11comp_targetILNS1_3genE8ELNS1_11target_archE1030ELNS1_3gpuE2ELNS1_3repE0EEENS1_30default_config_static_selectorELNS0_4arch9wavefront6targetE1EEEvT1_,"axG",@progbits,_ZN7rocprim17ROCPRIM_400000_NS6detail17trampoline_kernelINS0_14default_configENS1_35adjacent_difference_config_selectorILb1EaEEZNS1_24adjacent_difference_implIS3_Lb1ELb0EPaS7_N6thrust23THRUST_200600_302600_NS4plusIaEEEE10hipError_tPvRmT2_T3_mT4_P12ihipStream_tbEUlT_E_NS1_11comp_targetILNS1_3genE8ELNS1_11target_archE1030ELNS1_3gpuE2ELNS1_3repE0EEENS1_30default_config_static_selectorELNS0_4arch9wavefront6targetE1EEEvT1_,comdat
	.protected	_ZN7rocprim17ROCPRIM_400000_NS6detail17trampoline_kernelINS0_14default_configENS1_35adjacent_difference_config_selectorILb1EaEEZNS1_24adjacent_difference_implIS3_Lb1ELb0EPaS7_N6thrust23THRUST_200600_302600_NS4plusIaEEEE10hipError_tPvRmT2_T3_mT4_P12ihipStream_tbEUlT_E_NS1_11comp_targetILNS1_3genE8ELNS1_11target_archE1030ELNS1_3gpuE2ELNS1_3repE0EEENS1_30default_config_static_selectorELNS0_4arch9wavefront6targetE1EEEvT1_ ; -- Begin function _ZN7rocprim17ROCPRIM_400000_NS6detail17trampoline_kernelINS0_14default_configENS1_35adjacent_difference_config_selectorILb1EaEEZNS1_24adjacent_difference_implIS3_Lb1ELb0EPaS7_N6thrust23THRUST_200600_302600_NS4plusIaEEEE10hipError_tPvRmT2_T3_mT4_P12ihipStream_tbEUlT_E_NS1_11comp_targetILNS1_3genE8ELNS1_11target_archE1030ELNS1_3gpuE2ELNS1_3repE0EEENS1_30default_config_static_selectorELNS0_4arch9wavefront6targetE1EEEvT1_
	.globl	_ZN7rocprim17ROCPRIM_400000_NS6detail17trampoline_kernelINS0_14default_configENS1_35adjacent_difference_config_selectorILb1EaEEZNS1_24adjacent_difference_implIS3_Lb1ELb0EPaS7_N6thrust23THRUST_200600_302600_NS4plusIaEEEE10hipError_tPvRmT2_T3_mT4_P12ihipStream_tbEUlT_E_NS1_11comp_targetILNS1_3genE8ELNS1_11target_archE1030ELNS1_3gpuE2ELNS1_3repE0EEENS1_30default_config_static_selectorELNS0_4arch9wavefront6targetE1EEEvT1_
	.p2align	8
	.type	_ZN7rocprim17ROCPRIM_400000_NS6detail17trampoline_kernelINS0_14default_configENS1_35adjacent_difference_config_selectorILb1EaEEZNS1_24adjacent_difference_implIS3_Lb1ELb0EPaS7_N6thrust23THRUST_200600_302600_NS4plusIaEEEE10hipError_tPvRmT2_T3_mT4_P12ihipStream_tbEUlT_E_NS1_11comp_targetILNS1_3genE8ELNS1_11target_archE1030ELNS1_3gpuE2ELNS1_3repE0EEENS1_30default_config_static_selectorELNS0_4arch9wavefront6targetE1EEEvT1_,@function
_ZN7rocprim17ROCPRIM_400000_NS6detail17trampoline_kernelINS0_14default_configENS1_35adjacent_difference_config_selectorILb1EaEEZNS1_24adjacent_difference_implIS3_Lb1ELb0EPaS7_N6thrust23THRUST_200600_302600_NS4plusIaEEEE10hipError_tPvRmT2_T3_mT4_P12ihipStream_tbEUlT_E_NS1_11comp_targetILNS1_3genE8ELNS1_11target_archE1030ELNS1_3gpuE2ELNS1_3repE0EEENS1_30default_config_static_selectorELNS0_4arch9wavefront6targetE1EEEvT1_: ; @_ZN7rocprim17ROCPRIM_400000_NS6detail17trampoline_kernelINS0_14default_configENS1_35adjacent_difference_config_selectorILb1EaEEZNS1_24adjacent_difference_implIS3_Lb1ELb0EPaS7_N6thrust23THRUST_200600_302600_NS4plusIaEEEE10hipError_tPvRmT2_T3_mT4_P12ihipStream_tbEUlT_E_NS1_11comp_targetILNS1_3genE8ELNS1_11target_archE1030ELNS1_3gpuE2ELNS1_3repE0EEENS1_30default_config_static_selectorELNS0_4arch9wavefront6targetE1EEEvT1_
; %bb.0:
	.section	.rodata,"a",@progbits
	.p2align	6, 0x0
	.amdhsa_kernel _ZN7rocprim17ROCPRIM_400000_NS6detail17trampoline_kernelINS0_14default_configENS1_35adjacent_difference_config_selectorILb1EaEEZNS1_24adjacent_difference_implIS3_Lb1ELb0EPaS7_N6thrust23THRUST_200600_302600_NS4plusIaEEEE10hipError_tPvRmT2_T3_mT4_P12ihipStream_tbEUlT_E_NS1_11comp_targetILNS1_3genE8ELNS1_11target_archE1030ELNS1_3gpuE2ELNS1_3repE0EEENS1_30default_config_static_selectorELNS0_4arch9wavefront6targetE1EEEvT1_
		.amdhsa_group_segment_fixed_size 0
		.amdhsa_private_segment_fixed_size 0
		.amdhsa_kernarg_size 56
		.amdhsa_user_sgpr_count 6
		.amdhsa_user_sgpr_private_segment_buffer 1
		.amdhsa_user_sgpr_dispatch_ptr 0
		.amdhsa_user_sgpr_queue_ptr 0
		.amdhsa_user_sgpr_kernarg_segment_ptr 1
		.amdhsa_user_sgpr_dispatch_id 0
		.amdhsa_user_sgpr_flat_scratch_init 0
		.amdhsa_user_sgpr_kernarg_preload_length 0
		.amdhsa_user_sgpr_kernarg_preload_offset 0
		.amdhsa_user_sgpr_private_segment_size 0
		.amdhsa_uses_dynamic_stack 0
		.amdhsa_system_sgpr_private_segment_wavefront_offset 0
		.amdhsa_system_sgpr_workgroup_id_x 1
		.amdhsa_system_sgpr_workgroup_id_y 0
		.amdhsa_system_sgpr_workgroup_id_z 0
		.amdhsa_system_sgpr_workgroup_info 0
		.amdhsa_system_vgpr_workitem_id 0
		.amdhsa_next_free_vgpr 1
		.amdhsa_next_free_sgpr 0
		.amdhsa_accum_offset 4
		.amdhsa_reserve_vcc 0
		.amdhsa_reserve_flat_scratch 0
		.amdhsa_float_round_mode_32 0
		.amdhsa_float_round_mode_16_64 0
		.amdhsa_float_denorm_mode_32 3
		.amdhsa_float_denorm_mode_16_64 3
		.amdhsa_dx10_clamp 1
		.amdhsa_ieee_mode 1
		.amdhsa_fp16_overflow 0
		.amdhsa_tg_split 0
		.amdhsa_exception_fp_ieee_invalid_op 0
		.amdhsa_exception_fp_denorm_src 0
		.amdhsa_exception_fp_ieee_div_zero 0
		.amdhsa_exception_fp_ieee_overflow 0
		.amdhsa_exception_fp_ieee_underflow 0
		.amdhsa_exception_fp_ieee_inexact 0
		.amdhsa_exception_int_div_zero 0
	.end_amdhsa_kernel
	.section	.text._ZN7rocprim17ROCPRIM_400000_NS6detail17trampoline_kernelINS0_14default_configENS1_35adjacent_difference_config_selectorILb1EaEEZNS1_24adjacent_difference_implIS3_Lb1ELb0EPaS7_N6thrust23THRUST_200600_302600_NS4plusIaEEEE10hipError_tPvRmT2_T3_mT4_P12ihipStream_tbEUlT_E_NS1_11comp_targetILNS1_3genE8ELNS1_11target_archE1030ELNS1_3gpuE2ELNS1_3repE0EEENS1_30default_config_static_selectorELNS0_4arch9wavefront6targetE1EEEvT1_,"axG",@progbits,_ZN7rocprim17ROCPRIM_400000_NS6detail17trampoline_kernelINS0_14default_configENS1_35adjacent_difference_config_selectorILb1EaEEZNS1_24adjacent_difference_implIS3_Lb1ELb0EPaS7_N6thrust23THRUST_200600_302600_NS4plusIaEEEE10hipError_tPvRmT2_T3_mT4_P12ihipStream_tbEUlT_E_NS1_11comp_targetILNS1_3genE8ELNS1_11target_archE1030ELNS1_3gpuE2ELNS1_3repE0EEENS1_30default_config_static_selectorELNS0_4arch9wavefront6targetE1EEEvT1_,comdat
.Lfunc_end50:
	.size	_ZN7rocprim17ROCPRIM_400000_NS6detail17trampoline_kernelINS0_14default_configENS1_35adjacent_difference_config_selectorILb1EaEEZNS1_24adjacent_difference_implIS3_Lb1ELb0EPaS7_N6thrust23THRUST_200600_302600_NS4plusIaEEEE10hipError_tPvRmT2_T3_mT4_P12ihipStream_tbEUlT_E_NS1_11comp_targetILNS1_3genE8ELNS1_11target_archE1030ELNS1_3gpuE2ELNS1_3repE0EEENS1_30default_config_static_selectorELNS0_4arch9wavefront6targetE1EEEvT1_, .Lfunc_end50-_ZN7rocprim17ROCPRIM_400000_NS6detail17trampoline_kernelINS0_14default_configENS1_35adjacent_difference_config_selectorILb1EaEEZNS1_24adjacent_difference_implIS3_Lb1ELb0EPaS7_N6thrust23THRUST_200600_302600_NS4plusIaEEEE10hipError_tPvRmT2_T3_mT4_P12ihipStream_tbEUlT_E_NS1_11comp_targetILNS1_3genE8ELNS1_11target_archE1030ELNS1_3gpuE2ELNS1_3repE0EEENS1_30default_config_static_selectorELNS0_4arch9wavefront6targetE1EEEvT1_
                                        ; -- End function
	.section	.AMDGPU.csdata,"",@progbits
; Kernel info:
; codeLenInByte = 0
; NumSgprs: 4
; NumVgprs: 0
; NumAgprs: 0
; TotalNumVgprs: 0
; ScratchSize: 0
; MemoryBound: 0
; FloatMode: 240
; IeeeMode: 1
; LDSByteSize: 0 bytes/workgroup (compile time only)
; SGPRBlocks: 0
; VGPRBlocks: 0
; NumSGPRsForWavesPerEU: 4
; NumVGPRsForWavesPerEU: 1
; AccumOffset: 4
; Occupancy: 8
; WaveLimiterHint : 0
; COMPUTE_PGM_RSRC2:SCRATCH_EN: 0
; COMPUTE_PGM_RSRC2:USER_SGPR: 6
; COMPUTE_PGM_RSRC2:TRAP_HANDLER: 0
; COMPUTE_PGM_RSRC2:TGID_X_EN: 1
; COMPUTE_PGM_RSRC2:TGID_Y_EN: 0
; COMPUTE_PGM_RSRC2:TGID_Z_EN: 0
; COMPUTE_PGM_RSRC2:TIDIG_COMP_CNT: 0
; COMPUTE_PGM_RSRC3_GFX90A:ACCUM_OFFSET: 0
; COMPUTE_PGM_RSRC3_GFX90A:TG_SPLIT: 0
	.section	.text._ZN6thrust23THRUST_200600_302600_NS11hip_rocprim14__parallel_for6kernelILj256ENS1_20__uninitialized_fill7functorINS0_10device_ptrIsEEsEEmLj1EEEvT0_T1_SA_,"axG",@progbits,_ZN6thrust23THRUST_200600_302600_NS11hip_rocprim14__parallel_for6kernelILj256ENS1_20__uninitialized_fill7functorINS0_10device_ptrIsEEsEEmLj1EEEvT0_T1_SA_,comdat
	.protected	_ZN6thrust23THRUST_200600_302600_NS11hip_rocprim14__parallel_for6kernelILj256ENS1_20__uninitialized_fill7functorINS0_10device_ptrIsEEsEEmLj1EEEvT0_T1_SA_ ; -- Begin function _ZN6thrust23THRUST_200600_302600_NS11hip_rocprim14__parallel_for6kernelILj256ENS1_20__uninitialized_fill7functorINS0_10device_ptrIsEEsEEmLj1EEEvT0_T1_SA_
	.globl	_ZN6thrust23THRUST_200600_302600_NS11hip_rocprim14__parallel_for6kernelILj256ENS1_20__uninitialized_fill7functorINS0_10device_ptrIsEEsEEmLj1EEEvT0_T1_SA_
	.p2align	8
	.type	_ZN6thrust23THRUST_200600_302600_NS11hip_rocprim14__parallel_for6kernelILj256ENS1_20__uninitialized_fill7functorINS0_10device_ptrIsEEsEEmLj1EEEvT0_T1_SA_,@function
_ZN6thrust23THRUST_200600_302600_NS11hip_rocprim14__parallel_for6kernelILj256ENS1_20__uninitialized_fill7functorINS0_10device_ptrIsEEsEEmLj1EEEvT0_T1_SA_: ; @_ZN6thrust23THRUST_200600_302600_NS11hip_rocprim14__parallel_for6kernelILj256ENS1_20__uninitialized_fill7functorINS0_10device_ptrIsEEsEEmLj1EEEvT0_T1_SA_
; %bb.0:
	s_load_dwordx4 s[8:11], s[4:5], 0x10
	s_lshl_b32 s0, s6, 8
	v_mov_b32_e32 v2, 0x100
	v_mov_b32_e32 v3, 0
	s_waitcnt lgkmcnt(0)
	s_add_u32 s0, s0, s10
	s_addc_u32 s1, 0, s11
	s_sub_u32 s2, s8, s0
	s_subb_u32 s3, s9, s1
	v_cmp_lt_u64_e32 vcc, s[2:3], v[2:3]
	s_cbranch_vccz .LBB51_2
; %bb.1:
	v_cmp_gt_u32_e32 vcc, s2, v0
	s_and_b64 s[2:3], vcc, exec
	s_cbranch_execz .LBB51_3
	s_branch .LBB51_4
.LBB51_2:
	s_mov_b64 s[2:3], 0
.LBB51_3:
	s_or_b64 s[2:3], s[2:3], exec
.LBB51_4:
	s_and_saveexec_b64 s[6:7], s[2:3]
	s_cbranch_execnz .LBB51_6
; %bb.5:
	s_endpgm
.LBB51_6:
	s_load_dwordx2 s[2:3], s[4:5], 0x0
	s_load_dword s6, s[4:5], 0x8
	s_lshl_b64 s[0:1], s[0:1], 1
	v_mov_b32_e32 v1, 0
	v_lshlrev_b64 v[0:1], 1, v[0:1]
	s_waitcnt lgkmcnt(0)
	s_add_u32 s0, s2, s0
	s_addc_u32 s1, s3, s1
	v_mov_b32_e32 v2, s1
	v_add_co_u32_e32 v0, vcc, s0, v0
	v_addc_co_u32_e32 v1, vcc, v2, v1, vcc
	v_mov_b32_e32 v2, s6
	flat_store_short v[0:1], v2
	s_endpgm
	.section	.rodata,"a",@progbits
	.p2align	6, 0x0
	.amdhsa_kernel _ZN6thrust23THRUST_200600_302600_NS11hip_rocprim14__parallel_for6kernelILj256ENS1_20__uninitialized_fill7functorINS0_10device_ptrIsEEsEEmLj1EEEvT0_T1_SA_
		.amdhsa_group_segment_fixed_size 0
		.amdhsa_private_segment_fixed_size 0
		.amdhsa_kernarg_size 32
		.amdhsa_user_sgpr_count 6
		.amdhsa_user_sgpr_private_segment_buffer 1
		.amdhsa_user_sgpr_dispatch_ptr 0
		.amdhsa_user_sgpr_queue_ptr 0
		.amdhsa_user_sgpr_kernarg_segment_ptr 1
		.amdhsa_user_sgpr_dispatch_id 0
		.amdhsa_user_sgpr_flat_scratch_init 0
		.amdhsa_user_sgpr_kernarg_preload_length 0
		.amdhsa_user_sgpr_kernarg_preload_offset 0
		.amdhsa_user_sgpr_private_segment_size 0
		.amdhsa_uses_dynamic_stack 0
		.amdhsa_system_sgpr_private_segment_wavefront_offset 0
		.amdhsa_system_sgpr_workgroup_id_x 1
		.amdhsa_system_sgpr_workgroup_id_y 0
		.amdhsa_system_sgpr_workgroup_id_z 0
		.amdhsa_system_sgpr_workgroup_info 0
		.amdhsa_system_vgpr_workitem_id 0
		.amdhsa_next_free_vgpr 4
		.amdhsa_next_free_sgpr 12
		.amdhsa_accum_offset 4
		.amdhsa_reserve_vcc 1
		.amdhsa_reserve_flat_scratch 0
		.amdhsa_float_round_mode_32 0
		.amdhsa_float_round_mode_16_64 0
		.amdhsa_float_denorm_mode_32 3
		.amdhsa_float_denorm_mode_16_64 3
		.amdhsa_dx10_clamp 1
		.amdhsa_ieee_mode 1
		.amdhsa_fp16_overflow 0
		.amdhsa_tg_split 0
		.amdhsa_exception_fp_ieee_invalid_op 0
		.amdhsa_exception_fp_denorm_src 0
		.amdhsa_exception_fp_ieee_div_zero 0
		.amdhsa_exception_fp_ieee_overflow 0
		.amdhsa_exception_fp_ieee_underflow 0
		.amdhsa_exception_fp_ieee_inexact 0
		.amdhsa_exception_int_div_zero 0
	.end_amdhsa_kernel
	.section	.text._ZN6thrust23THRUST_200600_302600_NS11hip_rocprim14__parallel_for6kernelILj256ENS1_20__uninitialized_fill7functorINS0_10device_ptrIsEEsEEmLj1EEEvT0_T1_SA_,"axG",@progbits,_ZN6thrust23THRUST_200600_302600_NS11hip_rocprim14__parallel_for6kernelILj256ENS1_20__uninitialized_fill7functorINS0_10device_ptrIsEEsEEmLj1EEEvT0_T1_SA_,comdat
.Lfunc_end51:
	.size	_ZN6thrust23THRUST_200600_302600_NS11hip_rocprim14__parallel_for6kernelILj256ENS1_20__uninitialized_fill7functorINS0_10device_ptrIsEEsEEmLj1EEEvT0_T1_SA_, .Lfunc_end51-_ZN6thrust23THRUST_200600_302600_NS11hip_rocprim14__parallel_for6kernelILj256ENS1_20__uninitialized_fill7functorINS0_10device_ptrIsEEsEEmLj1EEEvT0_T1_SA_
                                        ; -- End function
	.section	.AMDGPU.csdata,"",@progbits
; Kernel info:
; codeLenInByte = 160
; NumSgprs: 16
; NumVgprs: 4
; NumAgprs: 0
; TotalNumVgprs: 4
; ScratchSize: 0
; MemoryBound: 0
; FloatMode: 240
; IeeeMode: 1
; LDSByteSize: 0 bytes/workgroup (compile time only)
; SGPRBlocks: 1
; VGPRBlocks: 0
; NumSGPRsForWavesPerEU: 16
; NumVGPRsForWavesPerEU: 4
; AccumOffset: 4
; Occupancy: 8
; WaveLimiterHint : 0
; COMPUTE_PGM_RSRC2:SCRATCH_EN: 0
; COMPUTE_PGM_RSRC2:USER_SGPR: 6
; COMPUTE_PGM_RSRC2:TRAP_HANDLER: 0
; COMPUTE_PGM_RSRC2:TGID_X_EN: 1
; COMPUTE_PGM_RSRC2:TGID_Y_EN: 0
; COMPUTE_PGM_RSRC2:TGID_Z_EN: 0
; COMPUTE_PGM_RSRC2:TIDIG_COMP_CNT: 0
; COMPUTE_PGM_RSRC3_GFX90A:ACCUM_OFFSET: 0
; COMPUTE_PGM_RSRC3_GFX90A:TG_SPLIT: 0
	.section	.text._ZN7rocprim17ROCPRIM_400000_NS6detail17trampoline_kernelINS0_14default_configENS1_35adjacent_difference_config_selectorILb0EsEEZNS1_24adjacent_difference_implIS3_Lb0ELb0EPsS7_N6thrust23THRUST_200600_302600_NS5minusIsEEEE10hipError_tPvRmT2_T3_mT4_P12ihipStream_tbEUlT_E_NS1_11comp_targetILNS1_3genE0ELNS1_11target_archE4294967295ELNS1_3gpuE0ELNS1_3repE0EEENS1_30default_config_static_selectorELNS0_4arch9wavefront6targetE1EEEvT1_,"axG",@progbits,_ZN7rocprim17ROCPRIM_400000_NS6detail17trampoline_kernelINS0_14default_configENS1_35adjacent_difference_config_selectorILb0EsEEZNS1_24adjacent_difference_implIS3_Lb0ELb0EPsS7_N6thrust23THRUST_200600_302600_NS5minusIsEEEE10hipError_tPvRmT2_T3_mT4_P12ihipStream_tbEUlT_E_NS1_11comp_targetILNS1_3genE0ELNS1_11target_archE4294967295ELNS1_3gpuE0ELNS1_3repE0EEENS1_30default_config_static_selectorELNS0_4arch9wavefront6targetE1EEEvT1_,comdat
	.protected	_ZN7rocprim17ROCPRIM_400000_NS6detail17trampoline_kernelINS0_14default_configENS1_35adjacent_difference_config_selectorILb0EsEEZNS1_24adjacent_difference_implIS3_Lb0ELb0EPsS7_N6thrust23THRUST_200600_302600_NS5minusIsEEEE10hipError_tPvRmT2_T3_mT4_P12ihipStream_tbEUlT_E_NS1_11comp_targetILNS1_3genE0ELNS1_11target_archE4294967295ELNS1_3gpuE0ELNS1_3repE0EEENS1_30default_config_static_selectorELNS0_4arch9wavefront6targetE1EEEvT1_ ; -- Begin function _ZN7rocprim17ROCPRIM_400000_NS6detail17trampoline_kernelINS0_14default_configENS1_35adjacent_difference_config_selectorILb0EsEEZNS1_24adjacent_difference_implIS3_Lb0ELb0EPsS7_N6thrust23THRUST_200600_302600_NS5minusIsEEEE10hipError_tPvRmT2_T3_mT4_P12ihipStream_tbEUlT_E_NS1_11comp_targetILNS1_3genE0ELNS1_11target_archE4294967295ELNS1_3gpuE0ELNS1_3repE0EEENS1_30default_config_static_selectorELNS0_4arch9wavefront6targetE1EEEvT1_
	.globl	_ZN7rocprim17ROCPRIM_400000_NS6detail17trampoline_kernelINS0_14default_configENS1_35adjacent_difference_config_selectorILb0EsEEZNS1_24adjacent_difference_implIS3_Lb0ELb0EPsS7_N6thrust23THRUST_200600_302600_NS5minusIsEEEE10hipError_tPvRmT2_T3_mT4_P12ihipStream_tbEUlT_E_NS1_11comp_targetILNS1_3genE0ELNS1_11target_archE4294967295ELNS1_3gpuE0ELNS1_3repE0EEENS1_30default_config_static_selectorELNS0_4arch9wavefront6targetE1EEEvT1_
	.p2align	8
	.type	_ZN7rocprim17ROCPRIM_400000_NS6detail17trampoline_kernelINS0_14default_configENS1_35adjacent_difference_config_selectorILb0EsEEZNS1_24adjacent_difference_implIS3_Lb0ELb0EPsS7_N6thrust23THRUST_200600_302600_NS5minusIsEEEE10hipError_tPvRmT2_T3_mT4_P12ihipStream_tbEUlT_E_NS1_11comp_targetILNS1_3genE0ELNS1_11target_archE4294967295ELNS1_3gpuE0ELNS1_3repE0EEENS1_30default_config_static_selectorELNS0_4arch9wavefront6targetE1EEEvT1_,@function
_ZN7rocprim17ROCPRIM_400000_NS6detail17trampoline_kernelINS0_14default_configENS1_35adjacent_difference_config_selectorILb0EsEEZNS1_24adjacent_difference_implIS3_Lb0ELb0EPsS7_N6thrust23THRUST_200600_302600_NS5minusIsEEEE10hipError_tPvRmT2_T3_mT4_P12ihipStream_tbEUlT_E_NS1_11comp_targetILNS1_3genE0ELNS1_11target_archE4294967295ELNS1_3gpuE0ELNS1_3repE0EEENS1_30default_config_static_selectorELNS0_4arch9wavefront6targetE1EEEvT1_: ; @_ZN7rocprim17ROCPRIM_400000_NS6detail17trampoline_kernelINS0_14default_configENS1_35adjacent_difference_config_selectorILb0EsEEZNS1_24adjacent_difference_implIS3_Lb0ELb0EPsS7_N6thrust23THRUST_200600_302600_NS5minusIsEEEE10hipError_tPvRmT2_T3_mT4_P12ihipStream_tbEUlT_E_NS1_11comp_targetILNS1_3genE0ELNS1_11target_archE4294967295ELNS1_3gpuE0ELNS1_3repE0EEENS1_30default_config_static_selectorELNS0_4arch9wavefront6targetE1EEEvT1_
; %bb.0:
	.section	.rodata,"a",@progbits
	.p2align	6, 0x0
	.amdhsa_kernel _ZN7rocprim17ROCPRIM_400000_NS6detail17trampoline_kernelINS0_14default_configENS1_35adjacent_difference_config_selectorILb0EsEEZNS1_24adjacent_difference_implIS3_Lb0ELb0EPsS7_N6thrust23THRUST_200600_302600_NS5minusIsEEEE10hipError_tPvRmT2_T3_mT4_P12ihipStream_tbEUlT_E_NS1_11comp_targetILNS1_3genE0ELNS1_11target_archE4294967295ELNS1_3gpuE0ELNS1_3repE0EEENS1_30default_config_static_selectorELNS0_4arch9wavefront6targetE1EEEvT1_
		.amdhsa_group_segment_fixed_size 0
		.amdhsa_private_segment_fixed_size 0
		.amdhsa_kernarg_size 56
		.amdhsa_user_sgpr_count 6
		.amdhsa_user_sgpr_private_segment_buffer 1
		.amdhsa_user_sgpr_dispatch_ptr 0
		.amdhsa_user_sgpr_queue_ptr 0
		.amdhsa_user_sgpr_kernarg_segment_ptr 1
		.amdhsa_user_sgpr_dispatch_id 0
		.amdhsa_user_sgpr_flat_scratch_init 0
		.amdhsa_user_sgpr_kernarg_preload_length 0
		.amdhsa_user_sgpr_kernarg_preload_offset 0
		.amdhsa_user_sgpr_private_segment_size 0
		.amdhsa_uses_dynamic_stack 0
		.amdhsa_system_sgpr_private_segment_wavefront_offset 0
		.amdhsa_system_sgpr_workgroup_id_x 1
		.amdhsa_system_sgpr_workgroup_id_y 0
		.amdhsa_system_sgpr_workgroup_id_z 0
		.amdhsa_system_sgpr_workgroup_info 0
		.amdhsa_system_vgpr_workitem_id 0
		.amdhsa_next_free_vgpr 1
		.amdhsa_next_free_sgpr 0
		.amdhsa_accum_offset 4
		.amdhsa_reserve_vcc 0
		.amdhsa_reserve_flat_scratch 0
		.amdhsa_float_round_mode_32 0
		.amdhsa_float_round_mode_16_64 0
		.amdhsa_float_denorm_mode_32 3
		.amdhsa_float_denorm_mode_16_64 3
		.amdhsa_dx10_clamp 1
		.amdhsa_ieee_mode 1
		.amdhsa_fp16_overflow 0
		.amdhsa_tg_split 0
		.amdhsa_exception_fp_ieee_invalid_op 0
		.amdhsa_exception_fp_denorm_src 0
		.amdhsa_exception_fp_ieee_div_zero 0
		.amdhsa_exception_fp_ieee_overflow 0
		.amdhsa_exception_fp_ieee_underflow 0
		.amdhsa_exception_fp_ieee_inexact 0
		.amdhsa_exception_int_div_zero 0
	.end_amdhsa_kernel
	.section	.text._ZN7rocprim17ROCPRIM_400000_NS6detail17trampoline_kernelINS0_14default_configENS1_35adjacent_difference_config_selectorILb0EsEEZNS1_24adjacent_difference_implIS3_Lb0ELb0EPsS7_N6thrust23THRUST_200600_302600_NS5minusIsEEEE10hipError_tPvRmT2_T3_mT4_P12ihipStream_tbEUlT_E_NS1_11comp_targetILNS1_3genE0ELNS1_11target_archE4294967295ELNS1_3gpuE0ELNS1_3repE0EEENS1_30default_config_static_selectorELNS0_4arch9wavefront6targetE1EEEvT1_,"axG",@progbits,_ZN7rocprim17ROCPRIM_400000_NS6detail17trampoline_kernelINS0_14default_configENS1_35adjacent_difference_config_selectorILb0EsEEZNS1_24adjacent_difference_implIS3_Lb0ELb0EPsS7_N6thrust23THRUST_200600_302600_NS5minusIsEEEE10hipError_tPvRmT2_T3_mT4_P12ihipStream_tbEUlT_E_NS1_11comp_targetILNS1_3genE0ELNS1_11target_archE4294967295ELNS1_3gpuE0ELNS1_3repE0EEENS1_30default_config_static_selectorELNS0_4arch9wavefront6targetE1EEEvT1_,comdat
.Lfunc_end52:
	.size	_ZN7rocprim17ROCPRIM_400000_NS6detail17trampoline_kernelINS0_14default_configENS1_35adjacent_difference_config_selectorILb0EsEEZNS1_24adjacent_difference_implIS3_Lb0ELb0EPsS7_N6thrust23THRUST_200600_302600_NS5minusIsEEEE10hipError_tPvRmT2_T3_mT4_P12ihipStream_tbEUlT_E_NS1_11comp_targetILNS1_3genE0ELNS1_11target_archE4294967295ELNS1_3gpuE0ELNS1_3repE0EEENS1_30default_config_static_selectorELNS0_4arch9wavefront6targetE1EEEvT1_, .Lfunc_end52-_ZN7rocprim17ROCPRIM_400000_NS6detail17trampoline_kernelINS0_14default_configENS1_35adjacent_difference_config_selectorILb0EsEEZNS1_24adjacent_difference_implIS3_Lb0ELb0EPsS7_N6thrust23THRUST_200600_302600_NS5minusIsEEEE10hipError_tPvRmT2_T3_mT4_P12ihipStream_tbEUlT_E_NS1_11comp_targetILNS1_3genE0ELNS1_11target_archE4294967295ELNS1_3gpuE0ELNS1_3repE0EEENS1_30default_config_static_selectorELNS0_4arch9wavefront6targetE1EEEvT1_
                                        ; -- End function
	.section	.AMDGPU.csdata,"",@progbits
; Kernel info:
; codeLenInByte = 0
; NumSgprs: 4
; NumVgprs: 0
; NumAgprs: 0
; TotalNumVgprs: 0
; ScratchSize: 0
; MemoryBound: 0
; FloatMode: 240
; IeeeMode: 1
; LDSByteSize: 0 bytes/workgroup (compile time only)
; SGPRBlocks: 0
; VGPRBlocks: 0
; NumSGPRsForWavesPerEU: 4
; NumVGPRsForWavesPerEU: 1
; AccumOffset: 4
; Occupancy: 8
; WaveLimiterHint : 0
; COMPUTE_PGM_RSRC2:SCRATCH_EN: 0
; COMPUTE_PGM_RSRC2:USER_SGPR: 6
; COMPUTE_PGM_RSRC2:TRAP_HANDLER: 0
; COMPUTE_PGM_RSRC2:TGID_X_EN: 1
; COMPUTE_PGM_RSRC2:TGID_Y_EN: 0
; COMPUTE_PGM_RSRC2:TGID_Z_EN: 0
; COMPUTE_PGM_RSRC2:TIDIG_COMP_CNT: 0
; COMPUTE_PGM_RSRC3_GFX90A:ACCUM_OFFSET: 0
; COMPUTE_PGM_RSRC3_GFX90A:TG_SPLIT: 0
	.section	.text._ZN7rocprim17ROCPRIM_400000_NS6detail17trampoline_kernelINS0_14default_configENS1_35adjacent_difference_config_selectorILb0EsEEZNS1_24adjacent_difference_implIS3_Lb0ELb0EPsS7_N6thrust23THRUST_200600_302600_NS5minusIsEEEE10hipError_tPvRmT2_T3_mT4_P12ihipStream_tbEUlT_E_NS1_11comp_targetILNS1_3genE10ELNS1_11target_archE1201ELNS1_3gpuE5ELNS1_3repE0EEENS1_30default_config_static_selectorELNS0_4arch9wavefront6targetE1EEEvT1_,"axG",@progbits,_ZN7rocprim17ROCPRIM_400000_NS6detail17trampoline_kernelINS0_14default_configENS1_35adjacent_difference_config_selectorILb0EsEEZNS1_24adjacent_difference_implIS3_Lb0ELb0EPsS7_N6thrust23THRUST_200600_302600_NS5minusIsEEEE10hipError_tPvRmT2_T3_mT4_P12ihipStream_tbEUlT_E_NS1_11comp_targetILNS1_3genE10ELNS1_11target_archE1201ELNS1_3gpuE5ELNS1_3repE0EEENS1_30default_config_static_selectorELNS0_4arch9wavefront6targetE1EEEvT1_,comdat
	.protected	_ZN7rocprim17ROCPRIM_400000_NS6detail17trampoline_kernelINS0_14default_configENS1_35adjacent_difference_config_selectorILb0EsEEZNS1_24adjacent_difference_implIS3_Lb0ELb0EPsS7_N6thrust23THRUST_200600_302600_NS5minusIsEEEE10hipError_tPvRmT2_T3_mT4_P12ihipStream_tbEUlT_E_NS1_11comp_targetILNS1_3genE10ELNS1_11target_archE1201ELNS1_3gpuE5ELNS1_3repE0EEENS1_30default_config_static_selectorELNS0_4arch9wavefront6targetE1EEEvT1_ ; -- Begin function _ZN7rocprim17ROCPRIM_400000_NS6detail17trampoline_kernelINS0_14default_configENS1_35adjacent_difference_config_selectorILb0EsEEZNS1_24adjacent_difference_implIS3_Lb0ELb0EPsS7_N6thrust23THRUST_200600_302600_NS5minusIsEEEE10hipError_tPvRmT2_T3_mT4_P12ihipStream_tbEUlT_E_NS1_11comp_targetILNS1_3genE10ELNS1_11target_archE1201ELNS1_3gpuE5ELNS1_3repE0EEENS1_30default_config_static_selectorELNS0_4arch9wavefront6targetE1EEEvT1_
	.globl	_ZN7rocprim17ROCPRIM_400000_NS6detail17trampoline_kernelINS0_14default_configENS1_35adjacent_difference_config_selectorILb0EsEEZNS1_24adjacent_difference_implIS3_Lb0ELb0EPsS7_N6thrust23THRUST_200600_302600_NS5minusIsEEEE10hipError_tPvRmT2_T3_mT4_P12ihipStream_tbEUlT_E_NS1_11comp_targetILNS1_3genE10ELNS1_11target_archE1201ELNS1_3gpuE5ELNS1_3repE0EEENS1_30default_config_static_selectorELNS0_4arch9wavefront6targetE1EEEvT1_
	.p2align	8
	.type	_ZN7rocprim17ROCPRIM_400000_NS6detail17trampoline_kernelINS0_14default_configENS1_35adjacent_difference_config_selectorILb0EsEEZNS1_24adjacent_difference_implIS3_Lb0ELb0EPsS7_N6thrust23THRUST_200600_302600_NS5minusIsEEEE10hipError_tPvRmT2_T3_mT4_P12ihipStream_tbEUlT_E_NS1_11comp_targetILNS1_3genE10ELNS1_11target_archE1201ELNS1_3gpuE5ELNS1_3repE0EEENS1_30default_config_static_selectorELNS0_4arch9wavefront6targetE1EEEvT1_,@function
_ZN7rocprim17ROCPRIM_400000_NS6detail17trampoline_kernelINS0_14default_configENS1_35adjacent_difference_config_selectorILb0EsEEZNS1_24adjacent_difference_implIS3_Lb0ELb0EPsS7_N6thrust23THRUST_200600_302600_NS5minusIsEEEE10hipError_tPvRmT2_T3_mT4_P12ihipStream_tbEUlT_E_NS1_11comp_targetILNS1_3genE10ELNS1_11target_archE1201ELNS1_3gpuE5ELNS1_3repE0EEENS1_30default_config_static_selectorELNS0_4arch9wavefront6targetE1EEEvT1_: ; @_ZN7rocprim17ROCPRIM_400000_NS6detail17trampoline_kernelINS0_14default_configENS1_35adjacent_difference_config_selectorILb0EsEEZNS1_24adjacent_difference_implIS3_Lb0ELb0EPsS7_N6thrust23THRUST_200600_302600_NS5minusIsEEEE10hipError_tPvRmT2_T3_mT4_P12ihipStream_tbEUlT_E_NS1_11comp_targetILNS1_3genE10ELNS1_11target_archE1201ELNS1_3gpuE5ELNS1_3repE0EEENS1_30default_config_static_selectorELNS0_4arch9wavefront6targetE1EEEvT1_
; %bb.0:
	.section	.rodata,"a",@progbits
	.p2align	6, 0x0
	.amdhsa_kernel _ZN7rocprim17ROCPRIM_400000_NS6detail17trampoline_kernelINS0_14default_configENS1_35adjacent_difference_config_selectorILb0EsEEZNS1_24adjacent_difference_implIS3_Lb0ELb0EPsS7_N6thrust23THRUST_200600_302600_NS5minusIsEEEE10hipError_tPvRmT2_T3_mT4_P12ihipStream_tbEUlT_E_NS1_11comp_targetILNS1_3genE10ELNS1_11target_archE1201ELNS1_3gpuE5ELNS1_3repE0EEENS1_30default_config_static_selectorELNS0_4arch9wavefront6targetE1EEEvT1_
		.amdhsa_group_segment_fixed_size 0
		.amdhsa_private_segment_fixed_size 0
		.amdhsa_kernarg_size 56
		.amdhsa_user_sgpr_count 6
		.amdhsa_user_sgpr_private_segment_buffer 1
		.amdhsa_user_sgpr_dispatch_ptr 0
		.amdhsa_user_sgpr_queue_ptr 0
		.amdhsa_user_sgpr_kernarg_segment_ptr 1
		.amdhsa_user_sgpr_dispatch_id 0
		.amdhsa_user_sgpr_flat_scratch_init 0
		.amdhsa_user_sgpr_kernarg_preload_length 0
		.amdhsa_user_sgpr_kernarg_preload_offset 0
		.amdhsa_user_sgpr_private_segment_size 0
		.amdhsa_uses_dynamic_stack 0
		.amdhsa_system_sgpr_private_segment_wavefront_offset 0
		.amdhsa_system_sgpr_workgroup_id_x 1
		.amdhsa_system_sgpr_workgroup_id_y 0
		.amdhsa_system_sgpr_workgroup_id_z 0
		.amdhsa_system_sgpr_workgroup_info 0
		.amdhsa_system_vgpr_workitem_id 0
		.amdhsa_next_free_vgpr 1
		.amdhsa_next_free_sgpr 0
		.amdhsa_accum_offset 4
		.amdhsa_reserve_vcc 0
		.amdhsa_reserve_flat_scratch 0
		.amdhsa_float_round_mode_32 0
		.amdhsa_float_round_mode_16_64 0
		.amdhsa_float_denorm_mode_32 3
		.amdhsa_float_denorm_mode_16_64 3
		.amdhsa_dx10_clamp 1
		.amdhsa_ieee_mode 1
		.amdhsa_fp16_overflow 0
		.amdhsa_tg_split 0
		.amdhsa_exception_fp_ieee_invalid_op 0
		.amdhsa_exception_fp_denorm_src 0
		.amdhsa_exception_fp_ieee_div_zero 0
		.amdhsa_exception_fp_ieee_overflow 0
		.amdhsa_exception_fp_ieee_underflow 0
		.amdhsa_exception_fp_ieee_inexact 0
		.amdhsa_exception_int_div_zero 0
	.end_amdhsa_kernel
	.section	.text._ZN7rocprim17ROCPRIM_400000_NS6detail17trampoline_kernelINS0_14default_configENS1_35adjacent_difference_config_selectorILb0EsEEZNS1_24adjacent_difference_implIS3_Lb0ELb0EPsS7_N6thrust23THRUST_200600_302600_NS5minusIsEEEE10hipError_tPvRmT2_T3_mT4_P12ihipStream_tbEUlT_E_NS1_11comp_targetILNS1_3genE10ELNS1_11target_archE1201ELNS1_3gpuE5ELNS1_3repE0EEENS1_30default_config_static_selectorELNS0_4arch9wavefront6targetE1EEEvT1_,"axG",@progbits,_ZN7rocprim17ROCPRIM_400000_NS6detail17trampoline_kernelINS0_14default_configENS1_35adjacent_difference_config_selectorILb0EsEEZNS1_24adjacent_difference_implIS3_Lb0ELb0EPsS7_N6thrust23THRUST_200600_302600_NS5minusIsEEEE10hipError_tPvRmT2_T3_mT4_P12ihipStream_tbEUlT_E_NS1_11comp_targetILNS1_3genE10ELNS1_11target_archE1201ELNS1_3gpuE5ELNS1_3repE0EEENS1_30default_config_static_selectorELNS0_4arch9wavefront6targetE1EEEvT1_,comdat
.Lfunc_end53:
	.size	_ZN7rocprim17ROCPRIM_400000_NS6detail17trampoline_kernelINS0_14default_configENS1_35adjacent_difference_config_selectorILb0EsEEZNS1_24adjacent_difference_implIS3_Lb0ELb0EPsS7_N6thrust23THRUST_200600_302600_NS5minusIsEEEE10hipError_tPvRmT2_T3_mT4_P12ihipStream_tbEUlT_E_NS1_11comp_targetILNS1_3genE10ELNS1_11target_archE1201ELNS1_3gpuE5ELNS1_3repE0EEENS1_30default_config_static_selectorELNS0_4arch9wavefront6targetE1EEEvT1_, .Lfunc_end53-_ZN7rocprim17ROCPRIM_400000_NS6detail17trampoline_kernelINS0_14default_configENS1_35adjacent_difference_config_selectorILb0EsEEZNS1_24adjacent_difference_implIS3_Lb0ELb0EPsS7_N6thrust23THRUST_200600_302600_NS5minusIsEEEE10hipError_tPvRmT2_T3_mT4_P12ihipStream_tbEUlT_E_NS1_11comp_targetILNS1_3genE10ELNS1_11target_archE1201ELNS1_3gpuE5ELNS1_3repE0EEENS1_30default_config_static_selectorELNS0_4arch9wavefront6targetE1EEEvT1_
                                        ; -- End function
	.section	.AMDGPU.csdata,"",@progbits
; Kernel info:
; codeLenInByte = 0
; NumSgprs: 4
; NumVgprs: 0
; NumAgprs: 0
; TotalNumVgprs: 0
; ScratchSize: 0
; MemoryBound: 0
; FloatMode: 240
; IeeeMode: 1
; LDSByteSize: 0 bytes/workgroup (compile time only)
; SGPRBlocks: 0
; VGPRBlocks: 0
; NumSGPRsForWavesPerEU: 4
; NumVGPRsForWavesPerEU: 1
; AccumOffset: 4
; Occupancy: 8
; WaveLimiterHint : 0
; COMPUTE_PGM_RSRC2:SCRATCH_EN: 0
; COMPUTE_PGM_RSRC2:USER_SGPR: 6
; COMPUTE_PGM_RSRC2:TRAP_HANDLER: 0
; COMPUTE_PGM_RSRC2:TGID_X_EN: 1
; COMPUTE_PGM_RSRC2:TGID_Y_EN: 0
; COMPUTE_PGM_RSRC2:TGID_Z_EN: 0
; COMPUTE_PGM_RSRC2:TIDIG_COMP_CNT: 0
; COMPUTE_PGM_RSRC3_GFX90A:ACCUM_OFFSET: 0
; COMPUTE_PGM_RSRC3_GFX90A:TG_SPLIT: 0
	.section	.text._ZN7rocprim17ROCPRIM_400000_NS6detail17trampoline_kernelINS0_14default_configENS1_35adjacent_difference_config_selectorILb0EsEEZNS1_24adjacent_difference_implIS3_Lb0ELb0EPsS7_N6thrust23THRUST_200600_302600_NS5minusIsEEEE10hipError_tPvRmT2_T3_mT4_P12ihipStream_tbEUlT_E_NS1_11comp_targetILNS1_3genE5ELNS1_11target_archE942ELNS1_3gpuE9ELNS1_3repE0EEENS1_30default_config_static_selectorELNS0_4arch9wavefront6targetE1EEEvT1_,"axG",@progbits,_ZN7rocprim17ROCPRIM_400000_NS6detail17trampoline_kernelINS0_14default_configENS1_35adjacent_difference_config_selectorILb0EsEEZNS1_24adjacent_difference_implIS3_Lb0ELb0EPsS7_N6thrust23THRUST_200600_302600_NS5minusIsEEEE10hipError_tPvRmT2_T3_mT4_P12ihipStream_tbEUlT_E_NS1_11comp_targetILNS1_3genE5ELNS1_11target_archE942ELNS1_3gpuE9ELNS1_3repE0EEENS1_30default_config_static_selectorELNS0_4arch9wavefront6targetE1EEEvT1_,comdat
	.protected	_ZN7rocprim17ROCPRIM_400000_NS6detail17trampoline_kernelINS0_14default_configENS1_35adjacent_difference_config_selectorILb0EsEEZNS1_24adjacent_difference_implIS3_Lb0ELb0EPsS7_N6thrust23THRUST_200600_302600_NS5minusIsEEEE10hipError_tPvRmT2_T3_mT4_P12ihipStream_tbEUlT_E_NS1_11comp_targetILNS1_3genE5ELNS1_11target_archE942ELNS1_3gpuE9ELNS1_3repE0EEENS1_30default_config_static_selectorELNS0_4arch9wavefront6targetE1EEEvT1_ ; -- Begin function _ZN7rocprim17ROCPRIM_400000_NS6detail17trampoline_kernelINS0_14default_configENS1_35adjacent_difference_config_selectorILb0EsEEZNS1_24adjacent_difference_implIS3_Lb0ELb0EPsS7_N6thrust23THRUST_200600_302600_NS5minusIsEEEE10hipError_tPvRmT2_T3_mT4_P12ihipStream_tbEUlT_E_NS1_11comp_targetILNS1_3genE5ELNS1_11target_archE942ELNS1_3gpuE9ELNS1_3repE0EEENS1_30default_config_static_selectorELNS0_4arch9wavefront6targetE1EEEvT1_
	.globl	_ZN7rocprim17ROCPRIM_400000_NS6detail17trampoline_kernelINS0_14default_configENS1_35adjacent_difference_config_selectorILb0EsEEZNS1_24adjacent_difference_implIS3_Lb0ELb0EPsS7_N6thrust23THRUST_200600_302600_NS5minusIsEEEE10hipError_tPvRmT2_T3_mT4_P12ihipStream_tbEUlT_E_NS1_11comp_targetILNS1_3genE5ELNS1_11target_archE942ELNS1_3gpuE9ELNS1_3repE0EEENS1_30default_config_static_selectorELNS0_4arch9wavefront6targetE1EEEvT1_
	.p2align	8
	.type	_ZN7rocprim17ROCPRIM_400000_NS6detail17trampoline_kernelINS0_14default_configENS1_35adjacent_difference_config_selectorILb0EsEEZNS1_24adjacent_difference_implIS3_Lb0ELb0EPsS7_N6thrust23THRUST_200600_302600_NS5minusIsEEEE10hipError_tPvRmT2_T3_mT4_P12ihipStream_tbEUlT_E_NS1_11comp_targetILNS1_3genE5ELNS1_11target_archE942ELNS1_3gpuE9ELNS1_3repE0EEENS1_30default_config_static_selectorELNS0_4arch9wavefront6targetE1EEEvT1_,@function
_ZN7rocprim17ROCPRIM_400000_NS6detail17trampoline_kernelINS0_14default_configENS1_35adjacent_difference_config_selectorILb0EsEEZNS1_24adjacent_difference_implIS3_Lb0ELb0EPsS7_N6thrust23THRUST_200600_302600_NS5minusIsEEEE10hipError_tPvRmT2_T3_mT4_P12ihipStream_tbEUlT_E_NS1_11comp_targetILNS1_3genE5ELNS1_11target_archE942ELNS1_3gpuE9ELNS1_3repE0EEENS1_30default_config_static_selectorELNS0_4arch9wavefront6targetE1EEEvT1_: ; @_ZN7rocprim17ROCPRIM_400000_NS6detail17trampoline_kernelINS0_14default_configENS1_35adjacent_difference_config_selectorILb0EsEEZNS1_24adjacent_difference_implIS3_Lb0ELb0EPsS7_N6thrust23THRUST_200600_302600_NS5minusIsEEEE10hipError_tPvRmT2_T3_mT4_P12ihipStream_tbEUlT_E_NS1_11comp_targetILNS1_3genE5ELNS1_11target_archE942ELNS1_3gpuE9ELNS1_3repE0EEENS1_30default_config_static_selectorELNS0_4arch9wavefront6targetE1EEEvT1_
; %bb.0:
	.section	.rodata,"a",@progbits
	.p2align	6, 0x0
	.amdhsa_kernel _ZN7rocprim17ROCPRIM_400000_NS6detail17trampoline_kernelINS0_14default_configENS1_35adjacent_difference_config_selectorILb0EsEEZNS1_24adjacent_difference_implIS3_Lb0ELb0EPsS7_N6thrust23THRUST_200600_302600_NS5minusIsEEEE10hipError_tPvRmT2_T3_mT4_P12ihipStream_tbEUlT_E_NS1_11comp_targetILNS1_3genE5ELNS1_11target_archE942ELNS1_3gpuE9ELNS1_3repE0EEENS1_30default_config_static_selectorELNS0_4arch9wavefront6targetE1EEEvT1_
		.amdhsa_group_segment_fixed_size 0
		.amdhsa_private_segment_fixed_size 0
		.amdhsa_kernarg_size 56
		.amdhsa_user_sgpr_count 6
		.amdhsa_user_sgpr_private_segment_buffer 1
		.amdhsa_user_sgpr_dispatch_ptr 0
		.amdhsa_user_sgpr_queue_ptr 0
		.amdhsa_user_sgpr_kernarg_segment_ptr 1
		.amdhsa_user_sgpr_dispatch_id 0
		.amdhsa_user_sgpr_flat_scratch_init 0
		.amdhsa_user_sgpr_kernarg_preload_length 0
		.amdhsa_user_sgpr_kernarg_preload_offset 0
		.amdhsa_user_sgpr_private_segment_size 0
		.amdhsa_uses_dynamic_stack 0
		.amdhsa_system_sgpr_private_segment_wavefront_offset 0
		.amdhsa_system_sgpr_workgroup_id_x 1
		.amdhsa_system_sgpr_workgroup_id_y 0
		.amdhsa_system_sgpr_workgroup_id_z 0
		.amdhsa_system_sgpr_workgroup_info 0
		.amdhsa_system_vgpr_workitem_id 0
		.amdhsa_next_free_vgpr 1
		.amdhsa_next_free_sgpr 0
		.amdhsa_accum_offset 4
		.amdhsa_reserve_vcc 0
		.amdhsa_reserve_flat_scratch 0
		.amdhsa_float_round_mode_32 0
		.amdhsa_float_round_mode_16_64 0
		.amdhsa_float_denorm_mode_32 3
		.amdhsa_float_denorm_mode_16_64 3
		.amdhsa_dx10_clamp 1
		.amdhsa_ieee_mode 1
		.amdhsa_fp16_overflow 0
		.amdhsa_tg_split 0
		.amdhsa_exception_fp_ieee_invalid_op 0
		.amdhsa_exception_fp_denorm_src 0
		.amdhsa_exception_fp_ieee_div_zero 0
		.amdhsa_exception_fp_ieee_overflow 0
		.amdhsa_exception_fp_ieee_underflow 0
		.amdhsa_exception_fp_ieee_inexact 0
		.amdhsa_exception_int_div_zero 0
	.end_amdhsa_kernel
	.section	.text._ZN7rocprim17ROCPRIM_400000_NS6detail17trampoline_kernelINS0_14default_configENS1_35adjacent_difference_config_selectorILb0EsEEZNS1_24adjacent_difference_implIS3_Lb0ELb0EPsS7_N6thrust23THRUST_200600_302600_NS5minusIsEEEE10hipError_tPvRmT2_T3_mT4_P12ihipStream_tbEUlT_E_NS1_11comp_targetILNS1_3genE5ELNS1_11target_archE942ELNS1_3gpuE9ELNS1_3repE0EEENS1_30default_config_static_selectorELNS0_4arch9wavefront6targetE1EEEvT1_,"axG",@progbits,_ZN7rocprim17ROCPRIM_400000_NS6detail17trampoline_kernelINS0_14default_configENS1_35adjacent_difference_config_selectorILb0EsEEZNS1_24adjacent_difference_implIS3_Lb0ELb0EPsS7_N6thrust23THRUST_200600_302600_NS5minusIsEEEE10hipError_tPvRmT2_T3_mT4_P12ihipStream_tbEUlT_E_NS1_11comp_targetILNS1_3genE5ELNS1_11target_archE942ELNS1_3gpuE9ELNS1_3repE0EEENS1_30default_config_static_selectorELNS0_4arch9wavefront6targetE1EEEvT1_,comdat
.Lfunc_end54:
	.size	_ZN7rocprim17ROCPRIM_400000_NS6detail17trampoline_kernelINS0_14default_configENS1_35adjacent_difference_config_selectorILb0EsEEZNS1_24adjacent_difference_implIS3_Lb0ELb0EPsS7_N6thrust23THRUST_200600_302600_NS5minusIsEEEE10hipError_tPvRmT2_T3_mT4_P12ihipStream_tbEUlT_E_NS1_11comp_targetILNS1_3genE5ELNS1_11target_archE942ELNS1_3gpuE9ELNS1_3repE0EEENS1_30default_config_static_selectorELNS0_4arch9wavefront6targetE1EEEvT1_, .Lfunc_end54-_ZN7rocprim17ROCPRIM_400000_NS6detail17trampoline_kernelINS0_14default_configENS1_35adjacent_difference_config_selectorILb0EsEEZNS1_24adjacent_difference_implIS3_Lb0ELb0EPsS7_N6thrust23THRUST_200600_302600_NS5minusIsEEEE10hipError_tPvRmT2_T3_mT4_P12ihipStream_tbEUlT_E_NS1_11comp_targetILNS1_3genE5ELNS1_11target_archE942ELNS1_3gpuE9ELNS1_3repE0EEENS1_30default_config_static_selectorELNS0_4arch9wavefront6targetE1EEEvT1_
                                        ; -- End function
	.section	.AMDGPU.csdata,"",@progbits
; Kernel info:
; codeLenInByte = 0
; NumSgprs: 4
; NumVgprs: 0
; NumAgprs: 0
; TotalNumVgprs: 0
; ScratchSize: 0
; MemoryBound: 0
; FloatMode: 240
; IeeeMode: 1
; LDSByteSize: 0 bytes/workgroup (compile time only)
; SGPRBlocks: 0
; VGPRBlocks: 0
; NumSGPRsForWavesPerEU: 4
; NumVGPRsForWavesPerEU: 1
; AccumOffset: 4
; Occupancy: 8
; WaveLimiterHint : 0
; COMPUTE_PGM_RSRC2:SCRATCH_EN: 0
; COMPUTE_PGM_RSRC2:USER_SGPR: 6
; COMPUTE_PGM_RSRC2:TRAP_HANDLER: 0
; COMPUTE_PGM_RSRC2:TGID_X_EN: 1
; COMPUTE_PGM_RSRC2:TGID_Y_EN: 0
; COMPUTE_PGM_RSRC2:TGID_Z_EN: 0
; COMPUTE_PGM_RSRC2:TIDIG_COMP_CNT: 0
; COMPUTE_PGM_RSRC3_GFX90A:ACCUM_OFFSET: 0
; COMPUTE_PGM_RSRC3_GFX90A:TG_SPLIT: 0
	.section	.text._ZN7rocprim17ROCPRIM_400000_NS6detail17trampoline_kernelINS0_14default_configENS1_35adjacent_difference_config_selectorILb0EsEEZNS1_24adjacent_difference_implIS3_Lb0ELb0EPsS7_N6thrust23THRUST_200600_302600_NS5minusIsEEEE10hipError_tPvRmT2_T3_mT4_P12ihipStream_tbEUlT_E_NS1_11comp_targetILNS1_3genE4ELNS1_11target_archE910ELNS1_3gpuE8ELNS1_3repE0EEENS1_30default_config_static_selectorELNS0_4arch9wavefront6targetE1EEEvT1_,"axG",@progbits,_ZN7rocprim17ROCPRIM_400000_NS6detail17trampoline_kernelINS0_14default_configENS1_35adjacent_difference_config_selectorILb0EsEEZNS1_24adjacent_difference_implIS3_Lb0ELb0EPsS7_N6thrust23THRUST_200600_302600_NS5minusIsEEEE10hipError_tPvRmT2_T3_mT4_P12ihipStream_tbEUlT_E_NS1_11comp_targetILNS1_3genE4ELNS1_11target_archE910ELNS1_3gpuE8ELNS1_3repE0EEENS1_30default_config_static_selectorELNS0_4arch9wavefront6targetE1EEEvT1_,comdat
	.protected	_ZN7rocprim17ROCPRIM_400000_NS6detail17trampoline_kernelINS0_14default_configENS1_35adjacent_difference_config_selectorILb0EsEEZNS1_24adjacent_difference_implIS3_Lb0ELb0EPsS7_N6thrust23THRUST_200600_302600_NS5minusIsEEEE10hipError_tPvRmT2_T3_mT4_P12ihipStream_tbEUlT_E_NS1_11comp_targetILNS1_3genE4ELNS1_11target_archE910ELNS1_3gpuE8ELNS1_3repE0EEENS1_30default_config_static_selectorELNS0_4arch9wavefront6targetE1EEEvT1_ ; -- Begin function _ZN7rocprim17ROCPRIM_400000_NS6detail17trampoline_kernelINS0_14default_configENS1_35adjacent_difference_config_selectorILb0EsEEZNS1_24adjacent_difference_implIS3_Lb0ELb0EPsS7_N6thrust23THRUST_200600_302600_NS5minusIsEEEE10hipError_tPvRmT2_T3_mT4_P12ihipStream_tbEUlT_E_NS1_11comp_targetILNS1_3genE4ELNS1_11target_archE910ELNS1_3gpuE8ELNS1_3repE0EEENS1_30default_config_static_selectorELNS0_4arch9wavefront6targetE1EEEvT1_
	.globl	_ZN7rocprim17ROCPRIM_400000_NS6detail17trampoline_kernelINS0_14default_configENS1_35adjacent_difference_config_selectorILb0EsEEZNS1_24adjacent_difference_implIS3_Lb0ELb0EPsS7_N6thrust23THRUST_200600_302600_NS5minusIsEEEE10hipError_tPvRmT2_T3_mT4_P12ihipStream_tbEUlT_E_NS1_11comp_targetILNS1_3genE4ELNS1_11target_archE910ELNS1_3gpuE8ELNS1_3repE0EEENS1_30default_config_static_selectorELNS0_4arch9wavefront6targetE1EEEvT1_
	.p2align	8
	.type	_ZN7rocprim17ROCPRIM_400000_NS6detail17trampoline_kernelINS0_14default_configENS1_35adjacent_difference_config_selectorILb0EsEEZNS1_24adjacent_difference_implIS3_Lb0ELb0EPsS7_N6thrust23THRUST_200600_302600_NS5minusIsEEEE10hipError_tPvRmT2_T3_mT4_P12ihipStream_tbEUlT_E_NS1_11comp_targetILNS1_3genE4ELNS1_11target_archE910ELNS1_3gpuE8ELNS1_3repE0EEENS1_30default_config_static_selectorELNS0_4arch9wavefront6targetE1EEEvT1_,@function
_ZN7rocprim17ROCPRIM_400000_NS6detail17trampoline_kernelINS0_14default_configENS1_35adjacent_difference_config_selectorILb0EsEEZNS1_24adjacent_difference_implIS3_Lb0ELb0EPsS7_N6thrust23THRUST_200600_302600_NS5minusIsEEEE10hipError_tPvRmT2_T3_mT4_P12ihipStream_tbEUlT_E_NS1_11comp_targetILNS1_3genE4ELNS1_11target_archE910ELNS1_3gpuE8ELNS1_3repE0EEENS1_30default_config_static_selectorELNS0_4arch9wavefront6targetE1EEEvT1_: ; @_ZN7rocprim17ROCPRIM_400000_NS6detail17trampoline_kernelINS0_14default_configENS1_35adjacent_difference_config_selectorILb0EsEEZNS1_24adjacent_difference_implIS3_Lb0ELb0EPsS7_N6thrust23THRUST_200600_302600_NS5minusIsEEEE10hipError_tPvRmT2_T3_mT4_P12ihipStream_tbEUlT_E_NS1_11comp_targetILNS1_3genE4ELNS1_11target_archE910ELNS1_3gpuE8ELNS1_3repE0EEENS1_30default_config_static_selectorELNS0_4arch9wavefront6targetE1EEEvT1_
; %bb.0:
	s_load_dwordx8 s[8:15], s[4:5], 0x0
	s_mov_b32 s2, 0xfc3c3710
	s_load_dwordx2 s[0:1], s[4:5], 0x30
	s_movk_i32 s7, 0x440
	s_waitcnt lgkmcnt(0)
	s_lshl_b64 s[10:11], s[10:11], 1
	s_add_u32 s20, s8, s10
	s_addc_u32 s21, s9, s11
	s_add_u32 s2, 0x10c, s2
	s_addc_u32 s4, 0, 0
	v_add_co_u32_e64 v1, s[2:3], s2, 2.0
	s_cmp_lg_u64 s[2:3], 0
	s_addc_u32 s2, s4, 0x3c3c3b
	v_readfirstlane_b32 s4, v1
	s_mul_hi_u32 s5, s4, 0xfffffbc0
	s_mul_i32 s3, s2, 0xfffffbc0
	s_sub_i32 s5, s5, s4
	s_add_i32 s5, s5, s3
	s_mul_i32 s17, s4, 0xfffffbc0
	s_mul_hi_u32 s3, s4, s5
	s_mul_i32 s16, s4, s5
	s_mul_hi_u32 s4, s4, s17
	s_add_u32 s4, s4, s16
	s_addc_u32 s3, 0, s3
	s_mul_hi_u32 s18, s2, s17
	s_mul_i32 s17, s2, s17
	s_add_u32 s4, s4, s17
	s_mul_hi_u32 s16, s2, s5
	s_addc_u32 s3, s3, s18
	s_addc_u32 s4, s16, 0
	s_mul_i32 s5, s2, s5
	s_add_u32 s3, s3, s5
	s_addc_u32 s4, 0, s4
	v_add_co_u32_e32 v1, vcc, s3, v1
	s_cmp_lg_u64 vcc, 0
	s_addc_u32 s2, s2, s4
	v_readfirstlane_b32 s5, v1
	s_mul_i32 s4, s14, s2
	s_mul_hi_u32 s16, s14, s5
	s_mul_hi_u32 s3, s14, s2
	s_add_u32 s4, s16, s4
	s_addc_u32 s3, 0, s3
	s_mul_hi_u32 s17, s15, s5
	s_mul_i32 s5, s15, s5
	s_add_u32 s4, s4, s5
	s_mul_hi_u32 s16, s15, s2
	s_addc_u32 s3, s3, s17
	s_addc_u32 s4, s16, 0
	s_mul_i32 s2, s15, s2
	s_add_u32 s2, s3, s2
	s_addc_u32 s3, 0, s4
	s_add_u32 s4, s2, 1
	s_addc_u32 s5, s3, 0
	s_add_u32 s16, s2, 2
	s_mul_i32 s18, s3, 0x440
	s_mul_hi_u32 s19, s2, 0x440
	s_addc_u32 s17, s3, 0
	s_add_i32 s19, s19, s18
	s_mul_i32 s18, s2, 0x440
	v_mov_b32_e32 v1, s18
	v_sub_co_u32_e32 v1, vcc, s14, v1
	s_cmp_lg_u64 vcc, 0
	s_subb_u32 s18, s15, s19
	v_subrev_co_u32_e32 v2, vcc, s7, v1
	s_cmp_lg_u64 vcc, 0
	s_subb_u32 s7, s18, 0
	v_readfirstlane_b32 s19, v2
	s_cmpk_gt_u32 s19, 0x43f
	s_cselect_b32 s19, -1, 0
	s_cmp_eq_u32 s7, 0
	s_cselect_b32 s7, s19, -1
	s_cmp_lg_u32 s7, 0
	v_readfirstlane_b32 s7, v1
	s_cselect_b32 s4, s16, s4
	s_cselect_b32 s5, s17, s5
	s_cmpk_gt_u32 s7, 0x43f
	s_cselect_b32 s7, -1, 0
	s_cmp_eq_u32 s18, 0
	s_cselect_b32 s7, s7, -1
	s_cmp_lg_u32 s7, 0
	s_cselect_b32 s5, s5, s3
	s_cselect_b32 s4, s4, s2
	s_mul_i32 s2, s5, 0x440
	s_mul_hi_u32 s3, s4, 0x440
	s_add_i32 s3, s3, s2
	s_mul_i32 s2, s4, 0x440
	s_sub_u32 s2, s14, s2
	s_subb_u32 s3, s15, s3
	s_cmp_lg_u64 s[2:3], 0
	s_cselect_b64 s[2:3], -1, 0
	v_cndmask_b32_e64 v1, 0, 1, s[2:3]
	v_readfirstlane_b32 s2, v1
	s_add_u32 s2, s4, s2
	s_addc_u32 s3, s5, 0
	s_add_u32 s4, s0, s6
	s_addc_u32 s5, s1, 0
	s_mul_i32 s8, s6, 0x440
	s_add_u32 s6, s2, -1
	s_addc_u32 s7, s3, -1
	v_pk_mov_b32 v[2:3], s[6:7], s[6:7] op_sel:[0,1]
	v_cmp_ge_u64_e64 s[0:1], s[4:5], v[2:3]
	s_mov_b32 s9, 0
	s_mov_b64 s[16:17], -1
	s_and_b64 vcc, exec, s[0:1]
	s_mul_i32 s15, s6, 0xfffffbc0
	s_cbranch_vccz .LBB55_36
; %bb.1:
	s_add_i32 s22, s15, s14
	s_lshl_b64 s[16:17], s[8:9], 1
	s_add_u32 s16, s20, s16
	s_addc_u32 s17, s21, s17
	v_cmp_gt_u32_e32 vcc, s22, v0
                                        ; implicit-def: $vgpr1
	s_and_saveexec_b64 s[18:19], vcc
	s_cbranch_execz .LBB55_3
; %bb.2:
	v_lshlrev_b32_e32 v1, 1, v0
	global_load_ushort v1, v1, s[16:17]
.LBB55_3:
	s_or_b64 exec, exec, s[18:19]
	v_or_b32_e32 v2, 64, v0
	v_cmp_gt_u32_e32 vcc, s22, v2
                                        ; implicit-def: $vgpr2
	s_and_saveexec_b64 s[18:19], vcc
	s_cbranch_execz .LBB55_5
; %bb.4:
	v_lshlrev_b32_e32 v2, 1, v0
	global_load_ushort v2, v2, s[16:17] offset:128
.LBB55_5:
	s_or_b64 exec, exec, s[18:19]
	v_or_b32_e32 v3, 0x80, v0
	v_cmp_gt_u32_e32 vcc, s22, v3
                                        ; implicit-def: $vgpr3
	s_and_saveexec_b64 s[18:19], vcc
	s_cbranch_execz .LBB55_7
; %bb.6:
	v_lshlrev_b32_e32 v3, 1, v0
	global_load_ushort v3, v3, s[16:17] offset:256
.LBB55_7:
	s_or_b64 exec, exec, s[18:19]
	v_or_b32_e32 v4, 0xc0, v0
	v_cmp_gt_u32_e32 vcc, s22, v4
                                        ; implicit-def: $vgpr4
	s_and_saveexec_b64 s[18:19], vcc
	s_cbranch_execz .LBB55_9
; %bb.8:
	v_lshlrev_b32_e32 v4, 1, v0
	global_load_ushort v4, v4, s[16:17] offset:384
.LBB55_9:
	s_or_b64 exec, exec, s[18:19]
	v_or_b32_e32 v5, 0x100, v0
	v_cmp_gt_u32_e32 vcc, s22, v5
                                        ; implicit-def: $vgpr5
	s_and_saveexec_b64 s[18:19], vcc
	s_cbranch_execz .LBB55_11
; %bb.10:
	v_lshlrev_b32_e32 v5, 1, v0
	global_load_ushort v5, v5, s[16:17] offset:512
.LBB55_11:
	s_or_b64 exec, exec, s[18:19]
	v_or_b32_e32 v6, 0x140, v0
	v_cmp_gt_u32_e32 vcc, s22, v6
                                        ; implicit-def: $vgpr6
	s_and_saveexec_b64 s[18:19], vcc
	s_cbranch_execz .LBB55_13
; %bb.12:
	v_lshlrev_b32_e32 v6, 1, v0
	global_load_ushort v6, v6, s[16:17] offset:640
.LBB55_13:
	s_or_b64 exec, exec, s[18:19]
	v_or_b32_e32 v7, 0x180, v0
	v_cmp_gt_u32_e32 vcc, s22, v7
                                        ; implicit-def: $vgpr7
	s_and_saveexec_b64 s[18:19], vcc
	s_cbranch_execz .LBB55_15
; %bb.14:
	v_lshlrev_b32_e32 v7, 1, v0
	global_load_ushort v7, v7, s[16:17] offset:768
.LBB55_15:
	s_or_b64 exec, exec, s[18:19]
	v_or_b32_e32 v8, 0x1c0, v0
	v_cmp_gt_u32_e32 vcc, s22, v8
                                        ; implicit-def: $vgpr8
	s_and_saveexec_b64 s[18:19], vcc
	s_cbranch_execz .LBB55_17
; %bb.16:
	v_lshlrev_b32_e32 v8, 1, v0
	global_load_ushort v8, v8, s[16:17] offset:896
.LBB55_17:
	s_or_b64 exec, exec, s[18:19]
	v_or_b32_e32 v9, 0x200, v0
	v_cmp_gt_u32_e32 vcc, s22, v9
                                        ; implicit-def: $vgpr9
	s_and_saveexec_b64 s[18:19], vcc
	s_cbranch_execz .LBB55_19
; %bb.18:
	v_lshlrev_b32_e32 v9, 1, v0
	global_load_ushort v9, v9, s[16:17] offset:1024
.LBB55_19:
	s_or_b64 exec, exec, s[18:19]
	v_or_b32_e32 v10, 0x240, v0
	v_cmp_gt_u32_e32 vcc, s22, v10
                                        ; implicit-def: $vgpr10
	s_and_saveexec_b64 s[18:19], vcc
	s_cbranch_execz .LBB55_21
; %bb.20:
	v_lshlrev_b32_e32 v10, 1, v0
	global_load_ushort v10, v10, s[16:17] offset:1152
.LBB55_21:
	s_or_b64 exec, exec, s[18:19]
	v_or_b32_e32 v11, 0x280, v0
	v_cmp_gt_u32_e32 vcc, s22, v11
                                        ; implicit-def: $vgpr11
	s_and_saveexec_b64 s[18:19], vcc
	s_cbranch_execz .LBB55_23
; %bb.22:
	v_lshlrev_b32_e32 v11, 1, v0
	global_load_ushort v11, v11, s[16:17] offset:1280
.LBB55_23:
	s_or_b64 exec, exec, s[18:19]
	v_or_b32_e32 v12, 0x2c0, v0
	v_cmp_gt_u32_e32 vcc, s22, v12
                                        ; implicit-def: $vgpr12
	s_and_saveexec_b64 s[18:19], vcc
	s_cbranch_execz .LBB55_25
; %bb.24:
	v_lshlrev_b32_e32 v12, 1, v0
	global_load_ushort v12, v12, s[16:17] offset:1408
.LBB55_25:
	s_or_b64 exec, exec, s[18:19]
	v_or_b32_e32 v13, 0x300, v0
	v_cmp_gt_u32_e32 vcc, s22, v13
                                        ; implicit-def: $vgpr13
	s_and_saveexec_b64 s[18:19], vcc
	s_cbranch_execz .LBB55_27
; %bb.26:
	v_lshlrev_b32_e32 v13, 1, v0
	global_load_ushort v13, v13, s[16:17] offset:1536
.LBB55_27:
	s_or_b64 exec, exec, s[18:19]
	v_or_b32_e32 v14, 0x340, v0
	v_cmp_gt_u32_e32 vcc, s22, v14
                                        ; implicit-def: $vgpr14
	s_and_saveexec_b64 s[18:19], vcc
	s_cbranch_execz .LBB55_29
; %bb.28:
	v_lshlrev_b32_e32 v14, 1, v0
	global_load_ushort v14, v14, s[16:17] offset:1664
.LBB55_29:
	s_or_b64 exec, exec, s[18:19]
	v_or_b32_e32 v15, 0x380, v0
	v_cmp_gt_u32_e32 vcc, s22, v15
                                        ; implicit-def: $vgpr15
	s_and_saveexec_b64 s[18:19], vcc
	s_cbranch_execz .LBB55_31
; %bb.30:
	v_lshlrev_b32_e32 v15, 1, v0
	global_load_ushort v15, v15, s[16:17] offset:1792
.LBB55_31:
	s_or_b64 exec, exec, s[18:19]
	v_or_b32_e32 v16, 0x3c0, v0
	v_cmp_gt_u32_e32 vcc, s22, v16
                                        ; implicit-def: $vgpr16
	s_and_saveexec_b64 s[18:19], vcc
	s_cbranch_execz .LBB55_33
; %bb.32:
	v_lshlrev_b32_e32 v16, 1, v0
	global_load_ushort v16, v16, s[16:17] offset:1920
.LBB55_33:
	s_or_b64 exec, exec, s[18:19]
	v_or_b32_e32 v17, 0x400, v0
	v_cmp_gt_u32_e32 vcc, s22, v17
                                        ; implicit-def: $vgpr17
	s_and_saveexec_b64 s[18:19], vcc
	s_cbranch_execz .LBB55_35
; %bb.34:
	v_lshlrev_b32_e32 v17, 1, v0
	global_load_ushort v17, v17, s[16:17] offset:2048
.LBB55_35:
	s_or_b64 exec, exec, s[18:19]
	v_lshlrev_b32_e32 v18, 1, v0
	s_mov_b64 s[16:17], 0
	s_waitcnt vmcnt(0)
	ds_write_b16 v18, v1
	ds_write_b16 v18, v2 offset:128
	ds_write_b16 v18, v3 offset:256
	;; [unrolled: 1-line block ×16, first 2 shown]
	s_waitcnt lgkmcnt(0)
	; wave barrier
.LBB55_36:
	s_and_b64 vcc, exec, s[16:17]
	v_lshlrev_b32_e32 v1, 1, v0
	s_cbranch_vccz .LBB55_38
; %bb.37:
	s_lshl_b64 s[16:17], s[8:9], 1
	s_add_u32 s16, s20, s16
	s_addc_u32 s17, s21, s17
	global_load_ushort v2, v1, s[16:17]
	global_load_ushort v3, v1, s[16:17] offset:128
	global_load_ushort v4, v1, s[16:17] offset:256
	;; [unrolled: 1-line block ×16, first 2 shown]
	s_waitcnt vmcnt(16)
	ds_write_b16 v1, v2
	s_waitcnt vmcnt(15)
	ds_write_b16 v1, v3 offset:128
	s_waitcnt vmcnt(14)
	ds_write_b16 v1, v4 offset:256
	;; [unrolled: 2-line block ×16, first 2 shown]
	s_waitcnt lgkmcnt(0)
	; wave barrier
.LBB55_38:
	v_mul_u32_u24_e32 v2, 17, v0
	v_lshlrev_b32_e32 v5, 1, v2
	s_waitcnt lgkmcnt(0)
	ds_read_b96 v[2:4], v5 offset:20
	ds_read_b96 v[6:8], v5
	ds_read_b64 v[10:11], v5 offset:12
	ds_read_u16 v5, v5 offset:32
	s_cmp_eq_u64 s[4:5], 0
	s_waitcnt lgkmcnt(3)
	v_alignbit_b32 v9, v4, v3, 16
	v_alignbit_b32 v3, v3, v2, 16
	v_lshrrev_b32_e32 v4, 16, v4
	s_waitcnt lgkmcnt(2)
	v_alignbit_b32 v12, v8, v7, 16
	v_alignbit_b32 v7, v7, v6, 16
	v_lshrrev_b32_e32 v8, 16, v8
	s_waitcnt lgkmcnt(0)
	; wave barrier
	s_waitcnt lgkmcnt(0)
	s_cbranch_scc1 .LBB55_43
; %bb.39:
	s_lshl_b64 s[16:17], s[8:9], 1
	s_add_u32 s16, s20, s16
	s_addc_u32 s17, s21, s17
	v_mov_b32_e32 v13, 0
	global_load_ushort v23, v13, s[16:17] offset:-2
	s_cmp_eq_u64 s[4:5], s[6:7]
	s_cbranch_scc1 .LBB55_44
; %bb.40:
	v_cmp_ne_u32_e32 vcc, 0, v0
	s_waitcnt vmcnt(0)
	v_mov_b32_e32 v13, v23
	ds_write_b16 v1, v5
	s_waitcnt lgkmcnt(0)
	; wave barrier
	s_waitcnt lgkmcnt(0)
	s_and_saveexec_b64 s[6:7], vcc
	s_cbranch_execz .LBB55_42
; %bb.41:
	v_add_u32_e32 v13, -2, v1
	ds_read_u16 v13, v13
.LBB55_42:
	s_or_b64 exec, exec, s[6:7]
	s_mov_b32 s5, 0x5040100
	v_perm_b32 v16, v7, v6, s5
	v_perm_b32 v20, v10, v8, s5
	;; [unrolled: 1-line block ×3, first 2 shown]
	s_mov_b32 s5, 0xffff
	s_waitcnt lgkmcnt(0)
	v_sub_u16_e32 v14, v6, v13
	v_alignbit_b32 v19, v12, v7, 16
	v_lshrrev_b32_e32 v17, 16, v12
	v_alignbit_b32 v22, v11, v10, 16
	v_lshrrev_b32_e32 v15, 16, v11
	v_alignbit_b32 v21, v9, v3, 16
	v_bfi_b32 v13, s5, v4, v9
	s_branch .LBB55_48
.LBB55_43:
                                        ; implicit-def: $vgpr21
                                        ; implicit-def: $vgpr18
                                        ; implicit-def: $vgpr22
                                        ; implicit-def: $vgpr20
                                        ; implicit-def: $vgpr19
                                        ; implicit-def: $vgpr16
                                        ; implicit-def: $vgpr13
                                        ; implicit-def: $vgpr14
                                        ; implicit-def: $vgpr17
                                        ; implicit-def: $vgpr15
	s_branch .LBB55_49
.LBB55_44:
                                        ; implicit-def: $vgpr21
                                        ; implicit-def: $vgpr18
                                        ; implicit-def: $vgpr22
                                        ; implicit-def: $vgpr20
                                        ; implicit-def: $vgpr19
                                        ; implicit-def: $vgpr16
                                        ; implicit-def: $vgpr13
                                        ; implicit-def: $vgpr14
                                        ; implicit-def: $vgpr17
                                        ; implicit-def: $vgpr15
	s_cbranch_execz .LBB55_48
; %bb.45:
	v_mul_u32_u24_e32 v14, 17, v0
	v_cmp_ne_u32_e32 vcc, 0, v0
	ds_write_b16 v1, v5
	s_waitcnt lgkmcnt(0)
	; wave barrier
	s_waitcnt lgkmcnt(0)
	s_and_saveexec_b64 s[6:7], vcc
	s_cbranch_execz .LBB55_47
; %bb.46:
	v_add_u32_e32 v13, -2, v1
	s_waitcnt vmcnt(0)
	ds_read_u16 v23, v13
.LBB55_47:
	s_or_b64 exec, exec, s[6:7]
	s_mulk_i32 s4, 0xfbc0
	s_add_i32 s4, s4, s14
	v_add_u32_e32 v13, 16, v14
	v_add_u32_e32 v15, 15, v14
	v_cmp_gt_u32_e32 vcc, s4, v13
	v_cndmask_b32_e32 v13, 0, v4, vcc
	v_lshrrev_b32_e32 v16, 16, v9
	v_cmp_gt_u32_e32 vcc, s4, v15
	v_cndmask_b32_e32 v15, 0, v16, vcc
	s_mov_b32 s5, 0x5040100
	v_perm_b32 v13, v15, v13, s5
	v_add_u32_e32 v15, 13, v14
	v_add_u32_e32 v16, 14, v14
	v_lshrrev_b32_e32 v19, 16, v3
	v_cmp_gt_u32_e32 vcc, s4, v15
	v_add_u32_e32 v17, 11, v14
	v_cndmask_b32_e32 v21, 0, v19, vcc
	v_cmp_gt_u32_e32 vcc, s4, v16
	v_add_u32_e32 v18, 12, v14
	v_cndmask_b32_e32 v24, 0, v9, vcc
	v_cmp_gt_u32_e32 vcc, s4, v17
	v_cndmask_b32_e32 v25, 0, v2, vcc
	v_cmp_gt_u32_e32 vcc, s4, v18
	v_add_u32_e32 v15, 10, v14
	v_cndmask_b32_e32 v18, 0, v3, vcc
	v_lshrrev_b32_e32 v16, 16, v11
	v_cmp_gt_u32_e32 vcc, s4, v15
	v_cndmask_b32_e32 v15, 0, v16, vcc
	v_add_u32_e32 v16, 8, v14
	v_add_u32_e32 v17, 9, v14
	v_lshrrev_b32_e32 v22, 16, v10
	v_cmp_gt_u32_e32 vcc, s4, v16
	v_add_u32_e32 v19, 6, v14
	v_cndmask_b32_e32 v22, 0, v22, vcc
	v_cmp_gt_u32_e32 vcc, s4, v17
	v_add_u32_e32 v20, 7, v14
	v_cndmask_b32_e32 v26, 0, v11, vcc
	v_cmp_gt_u32_e32 vcc, s4, v19
	v_cndmask_b32_e32 v27, 0, v8, vcc
	v_cmp_gt_u32_e32 vcc, s4, v20
	v_add_u32_e32 v16, 5, v14
	v_cndmask_b32_e32 v20, 0, v10, vcc
	v_lshrrev_b32_e32 v17, 16, v12
	v_cmp_gt_u32_e32 vcc, s4, v16
	v_add_u32_e32 v16, 3, v14
	v_cndmask_b32_e32 v17, 0, v17, vcc
	v_add_u32_e32 v19, 4, v14
	v_lshrrev_b32_e32 v30, 16, v7
	v_cmp_gt_u32_e32 vcc, s4, v16
	v_add_u32_e32 v28, 1, v14
	v_cndmask_b32_e32 v30, 0, v30, vcc
	v_cmp_gt_u32_e32 vcc, s4, v19
	v_add_u32_e32 v29, 2, v14
	v_cndmask_b32_e32 v19, 0, v12, vcc
	v_cmp_gt_u32_e32 vcc, s4, v28
	v_cndmask_b32_e32 v16, 0, v6, vcc
	v_cmp_gt_u32_e32 vcc, s4, v29
	;; [unrolled: 2-line block ×3, first 2 shown]
	s_waitcnt vmcnt(0) lgkmcnt(0)
	v_cndmask_b32_e32 v14, 0, v23, vcc
	v_sub_u16_e32 v14, v6, v14
	v_perm_b32 v16, v28, v16, s5
	v_perm_b32 v19, v19, v30, s5
	;; [unrolled: 1-line block ×6, first 2 shown]
.LBB55_48:
	s_cbranch_execnz .LBB55_57
.LBB55_49:
	s_cmp_eq_u64 s[2:3], 1
	v_cmp_ne_u32_e32 vcc, 0, v0
	s_cbranch_scc1 .LBB55_53
; %bb.50:
	s_mov_b32 s5, 0x5040100
	s_mov_b32 s4, 0xffff
	v_mov_b32_e32 v14, v6
	ds_write_b16 v1, v5
	s_waitcnt lgkmcnt(0)
	; wave barrier
	s_waitcnt lgkmcnt(0)
	s_and_saveexec_b64 s[2:3], vcc
	s_cbranch_execz .LBB55_52
; %bb.51:
	v_add_u32_e32 v13, -2, v1
	ds_read_u16 v13, v13
	s_waitcnt lgkmcnt(0)
	v_sub_u16_e32 v14, v6, v13
.LBB55_52:
	s_or_b64 exec, exec, s[2:3]
	v_perm_b32 v16, v7, v6, s5
	v_alignbit_b32 v19, v12, v7, 16
	v_lshrrev_b32_e32 v17, 16, v12
	v_perm_b32 v20, v10, v8, s5
	v_alignbit_b32 v22, v11, v10, 16
	v_lshrrev_b32_e32 v15, 16, v11
	v_perm_b32 v18, v3, v2, s5
	v_alignbit_b32 v21, v9, v3, 16
	v_bfi_b32 v13, s4, v4, v9
	s_cbranch_execz .LBB55_54
	s_branch .LBB55_57
.LBB55_53:
                                        ; implicit-def: $vgpr21
                                        ; implicit-def: $vgpr18
                                        ; implicit-def: $vgpr22
                                        ; implicit-def: $vgpr20
                                        ; implicit-def: $vgpr19
                                        ; implicit-def: $vgpr16
                                        ; implicit-def: $vgpr13
                                        ; implicit-def: $vgpr14
                                        ; implicit-def: $vgpr17
                                        ; implicit-def: $vgpr15
.LBB55_54:
	v_mad_u32_u24 v13, v0, 17, 16
	v_mad_u32_u24 v14, v0, 17, 15
	v_cmp_gt_u32_e32 vcc, s14, v13
	v_cndmask_b32_e32 v13, 0, v4, vcc
	v_lshrrev_b32_e32 v15, 16, v9
	v_cmp_gt_u32_e32 vcc, s14, v14
	v_cndmask_b32_e32 v14, 0, v15, vcc
	v_mad_u32_u24 v15, v0, 17, 14
	v_mad_u32_u24 v16, v0, 17, 13
	v_cmp_gt_u32_e32 vcc, s14, v15
	v_mad_u32_u24 v18, v0, 17, 11
	v_lshrrev_b32_e32 v20, 16, v3
	v_cndmask_b32_e32 v21, 0, v9, vcc
	v_cmp_gt_u32_e32 vcc, s14, v16
	v_mad_u32_u24 v19, v0, 17, 12
	s_waitcnt vmcnt(0)
	v_cndmask_b32_e32 v23, 0, v20, vcc
	v_cmp_gt_u32_e32 vcc, s14, v18
	v_mad_u32_u24 v16, v0, 17, 9
	v_cndmask_b32_e32 v18, 0, v2, vcc
	v_cmp_gt_u32_e32 vcc, s14, v19
	v_mad_u32_u24 v19, v0, 17, 8
	v_cmp_gt_u32_e64 s[2:3], s14, v16
	v_cndmask_b32_e64 v22, 0, v11, s[2:3]
	v_cmp_gt_u32_e64 s[2:3], s14, v19
	v_mad_u32_u24 v19, v0, 17, 4
	v_mad_u32_u24 v27, v0, 17, 3
	v_cmp_gt_u32_e64 s[4:5], s14, v19
	v_mad_u32_u24 v28, v0, 17, 1
	v_lshrrev_b32_e32 v30, 16, v7
	v_cndmask_b32_e64 v19, 0, v12, s[4:5]
	v_cmp_gt_u32_e64 s[4:5], s14, v27
	v_mad_u32_u24 v20, v0, 17, 6
	v_lshrrev_b32_e32 v25, 16, v10
	v_mad_u32_u24 v29, v0, 17, 2
	v_cndmask_b32_e64 v27, 0, v30, s[4:5]
	v_cmp_gt_u32_e64 s[4:5], s14, v28
	v_mul_u32_u24_e32 v17, 17, v0
	v_mad_u32_u24 v26, v0, 17, 7
	v_cndmask_b32_e64 v25, 0, v25, s[2:3]
	v_cmp_gt_u32_e64 s[2:3], s14, v20
	v_cndmask_b32_e64 v28, 0, v6, s[4:5]
	v_cmp_gt_u32_e64 s[4:5], s14, v29
	v_mad_u32_u24 v15, v0, 17, 10
	v_cndmask_b32_e64 v20, 0, v8, s[2:3]
	v_cmp_gt_u32_e64 s[2:3], s14, v26
	v_mad_u32_u24 v16, v0, 17, 5
	v_cndmask_b32_e64 v29, 0, v7, s[4:5]
	v_cmp_ne_u32_e64 s[4:5], 0, v0
	v_cmp_gt_u32_e64 s[6:7], s14, v17
	s_mov_b32 s9, 0x5040100
	v_cndmask_b32_e32 v24, 0, v3, vcc
	v_cmp_gt_u32_e32 vcc, s14, v15
	v_lshrrev_b32_e32 v15, 16, v11
	v_cndmask_b32_e64 v26, 0, v10, s[2:3]
	v_cmp_gt_u32_e64 s[2:3], s14, v16
	v_lshrrev_b32_e32 v16, 16, v12
	s_and_b64 s[6:7], s[4:5], s[6:7]
	ds_write_b16 v1, v5
	s_waitcnt lgkmcnt(0)
	; wave barrier
	s_waitcnt lgkmcnt(0)
	s_and_saveexec_b64 s[4:5], s[6:7]
	s_cbranch_execz .LBB55_56
; %bb.55:
	v_add_u32_e32 v17, -2, v1
	ds_read_u16 v17, v17
	s_waitcnt lgkmcnt(0)
	v_sub_u16_e32 v6, v6, v17
.LBB55_56:
	s_or_b64 exec, exec, s[4:5]
	v_perm_b32 v13, v14, v13, s9
	v_cndmask_b32_e32 v15, 0, v15, vcc
	v_cndmask_b32_e64 v17, 0, v16, s[2:3]
	v_perm_b32 v16, v29, v28, s9
	v_perm_b32 v19, v19, v27, s9
	v_perm_b32 v20, v26, v20, s9
	v_perm_b32 v22, v22, v25, s9
	v_perm_b32 v18, v24, v18, s9
	v_perm_b32 v21, v21, v23, s9
	v_mov_b32_e32 v14, v6
.LBB55_57:
	s_add_u32 s4, s12, s10
	v_pk_sub_i16 v6, v12, v19
	v_pk_sub_i16 v16, v7, v16
	v_sub_u16_e32 v7, v8, v17
	v_sub_u16_e32 v15, v2, v15
	v_pk_sub_i16 v2, v9, v21
	v_pk_sub_i16 v17, v3, v18
	v_sub_u16_sdwa v3, v4, v13 dst_sel:DWORD dst_unused:UNUSED_PAD src0_sel:DWORD src1_sel:WORD_1
	s_addc_u32 s5, s13, s11
	v_pk_sub_i16 v11, v11, v22
	v_pk_sub_i16 v10, v10, v20
	v_sub_u16_e32 v5, v5, v13
	s_and_b64 vcc, exec, s[0:1]
	v_mul_u32_u24_e32 v9, 34, v0
	v_alignbit_b32 v8, v7, v6, 16
	v_alignbit_b32 v7, v6, v16, 16
	;; [unrolled: 1-line block ×4, first 2 shown]
	v_lshlrev_b32_e32 v18, 5, v0
	s_waitcnt lgkmcnt(0)
	; wave barrier
	s_cbranch_vccz .LBB55_91
; %bb.58:
	s_mov_b32 s2, 0x5040100
	v_perm_b32 v6, v16, v14, s2
	v_perm_b32 v2, v17, v15, s2
	ds_write_b96 v9, v[6:8]
	ds_write_b64 v9, v[10:11] offset:12
	ds_write_b96 v9, v[2:4] offset:20
	ds_write_b16 v9, v5 offset:32
	v_sub_u32_e32 v2, v9, v18
	s_waitcnt lgkmcnt(0)
	; wave barrier
	s_waitcnt lgkmcnt(0)
	ds_read_u16 v32, v2 offset:128
	ds_read_u16 v31, v2 offset:256
	;; [unrolled: 1-line block ×9, first 2 shown]
	s_waitcnt vmcnt(0)
	ds_read_u16 v23, v2 offset:1280
	ds_read_u16 v22, v2 offset:1408
	;; [unrolled: 1-line block ×7, first 2 shown]
	s_mov_b32 s9, 0
	s_add_i32 s15, s15, s14
	s_lshl_b64 s[0:1], s[8:9], 1
	s_add_u32 s0, s4, s0
	s_addc_u32 s1, s5, s1
	v_mov_b32_e32 v13, s1
	v_add_co_u32_e32 v12, vcc, s0, v1
	v_addc_co_u32_e32 v13, vcc, 0, v13, vcc
	v_cmp_gt_u32_e32 vcc, s15, v0
	s_and_saveexec_b64 s[0:1], vcc
	s_cbranch_execz .LBB55_60
; %bb.59:
	v_sub_u32_e32 v33, 0, v18
	v_add_u32_e32 v33, v9, v33
	ds_read_u16 v33, v33
	s_waitcnt lgkmcnt(0)
	global_store_short v[12:13], v33, off
.LBB55_60:
	s_or_b64 exec, exec, s[0:1]
	v_or_b32_e32 v33, 64, v0
	v_cmp_gt_u32_e32 vcc, s15, v33
	s_and_saveexec_b64 s[0:1], vcc
	s_cbranch_execz .LBB55_62
; %bb.61:
	s_waitcnt lgkmcnt(14)
	global_store_short v[12:13], v32, off offset:128
.LBB55_62:
	s_or_b64 exec, exec, s[0:1]
	s_waitcnt lgkmcnt(14)
	v_or_b32_e32 v32, 0x80, v0
	v_cmp_gt_u32_e32 vcc, s15, v32
	s_and_saveexec_b64 s[0:1], vcc
	s_cbranch_execz .LBB55_64
; %bb.63:
	global_store_short v[12:13], v31, off offset:256
.LBB55_64:
	s_or_b64 exec, exec, s[0:1]
	v_or_b32_e32 v31, 0xc0, v0
	v_cmp_gt_u32_e32 vcc, s15, v31
	s_and_saveexec_b64 s[0:1], vcc
	s_cbranch_execz .LBB55_66
; %bb.65:
	s_waitcnt lgkmcnt(13)
	global_store_short v[12:13], v30, off offset:384
.LBB55_66:
	s_or_b64 exec, exec, s[0:1]
	s_waitcnt lgkmcnt(13)
	v_or_b32_e32 v30, 0x100, v0
	v_cmp_gt_u32_e32 vcc, s15, v30
	s_and_saveexec_b64 s[0:1], vcc
	s_cbranch_execz .LBB55_68
; %bb.67:
	s_waitcnt lgkmcnt(12)
	global_store_short v[12:13], v29, off offset:512
.LBB55_68:
	s_or_b64 exec, exec, s[0:1]
	s_waitcnt lgkmcnt(12)
	;; [unrolled: 10-line block ×12, first 2 shown]
	v_or_b32_e32 v19, 0x3c0, v0
	v_cmp_gt_u32_e32 vcc, s15, v19
	s_and_saveexec_b64 s[0:1], vcc
	s_cbranch_execz .LBB55_90
; %bb.89:
	s_waitcnt lgkmcnt(1)
	global_store_short v[12:13], v6, off offset:1920
.LBB55_90:
	s_or_b64 exec, exec, s[0:1]
	v_or_b32_e32 v0, 0x400, v0
	v_cmp_gt_u32_e64 s[0:1], s15, v0
	s_branch .LBB55_93
.LBB55_91:
	s_mov_b64 s[0:1], 0
                                        ; implicit-def: $vgpr2
                                        ; implicit-def: $vgpr12_vgpr13
	s_cbranch_execz .LBB55_93
; %bb.92:
	s_mov_b32 s9, 0
	s_lshl_b64 s[2:3], s[8:9], 1
	s_add_u32 s2, s4, s2
	s_mov_b32 s4, 0x5040100
	s_waitcnt lgkmcnt(1)
	v_perm_b32 v6, v16, v14, s4
	s_waitcnt lgkmcnt(0)
	v_perm_b32 v2, v17, v15, s4
	v_sub_u32_e32 v0, v9, v18
	ds_write_b96 v9, v[6:8]
	ds_write_b64 v9, v[10:11] offset:12
	ds_write_b96 v9, v[2:4] offset:20
	ds_write_b16 v9, v5 offset:32
	s_waitcnt lgkmcnt(0)
	; wave barrier
	s_waitcnt lgkmcnt(0)
	ds_read_u16 v3, v0
	ds_read_u16 v4, v0 offset:128
	ds_read_u16 v5, v0 offset:256
	;; [unrolled: 1-line block ×16, first 2 shown]
	s_addc_u32 s3, s5, s3
	v_mov_b32_e32 v0, s3
	v_add_co_u32_e32 v12, vcc, s2, v1
	v_addc_co_u32_e32 v13, vcc, 0, v0, vcc
	s_or_b64 s[0:1], s[0:1], exec
	s_waitcnt lgkmcnt(14)
	global_store_short v1, v3, s[2:3]
	global_store_short v1, v4, s[2:3] offset:128
	global_store_short v1, v5, s[2:3] offset:256
	s_waitcnt lgkmcnt(13)
	global_store_short v1, v6, s[2:3] offset:384
	s_waitcnt lgkmcnt(12)
	;; [unrolled: 2-line block ×13, first 2 shown]
	global_store_short v1, v20, s[2:3] offset:1920
.LBB55_93:
	s_and_saveexec_b64 s[2:3], s[0:1]
	s_cbranch_execnz .LBB55_95
; %bb.94:
	s_endpgm
.LBB55_95:
	s_waitcnt lgkmcnt(0)
	global_store_short v[12:13], v2, off offset:2048
	s_endpgm
	.section	.rodata,"a",@progbits
	.p2align	6, 0x0
	.amdhsa_kernel _ZN7rocprim17ROCPRIM_400000_NS6detail17trampoline_kernelINS0_14default_configENS1_35adjacent_difference_config_selectorILb0EsEEZNS1_24adjacent_difference_implIS3_Lb0ELb0EPsS7_N6thrust23THRUST_200600_302600_NS5minusIsEEEE10hipError_tPvRmT2_T3_mT4_P12ihipStream_tbEUlT_E_NS1_11comp_targetILNS1_3genE4ELNS1_11target_archE910ELNS1_3gpuE8ELNS1_3repE0EEENS1_30default_config_static_selectorELNS0_4arch9wavefront6targetE1EEEvT1_
		.amdhsa_group_segment_fixed_size 2176
		.amdhsa_private_segment_fixed_size 0
		.amdhsa_kernarg_size 56
		.amdhsa_user_sgpr_count 6
		.amdhsa_user_sgpr_private_segment_buffer 1
		.amdhsa_user_sgpr_dispatch_ptr 0
		.amdhsa_user_sgpr_queue_ptr 0
		.amdhsa_user_sgpr_kernarg_segment_ptr 1
		.amdhsa_user_sgpr_dispatch_id 0
		.amdhsa_user_sgpr_flat_scratch_init 0
		.amdhsa_user_sgpr_kernarg_preload_length 0
		.amdhsa_user_sgpr_kernarg_preload_offset 0
		.amdhsa_user_sgpr_private_segment_size 0
		.amdhsa_uses_dynamic_stack 0
		.amdhsa_system_sgpr_private_segment_wavefront_offset 0
		.amdhsa_system_sgpr_workgroup_id_x 1
		.amdhsa_system_sgpr_workgroup_id_y 0
		.amdhsa_system_sgpr_workgroup_id_z 0
		.amdhsa_system_sgpr_workgroup_info 0
		.amdhsa_system_vgpr_workitem_id 0
		.amdhsa_next_free_vgpr 34
		.amdhsa_next_free_sgpr 23
		.amdhsa_accum_offset 36
		.amdhsa_reserve_vcc 1
		.amdhsa_reserve_flat_scratch 0
		.amdhsa_float_round_mode_32 0
		.amdhsa_float_round_mode_16_64 0
		.amdhsa_float_denorm_mode_32 3
		.amdhsa_float_denorm_mode_16_64 3
		.amdhsa_dx10_clamp 1
		.amdhsa_ieee_mode 1
		.amdhsa_fp16_overflow 0
		.amdhsa_tg_split 0
		.amdhsa_exception_fp_ieee_invalid_op 0
		.amdhsa_exception_fp_denorm_src 0
		.amdhsa_exception_fp_ieee_div_zero 0
		.amdhsa_exception_fp_ieee_overflow 0
		.amdhsa_exception_fp_ieee_underflow 0
		.amdhsa_exception_fp_ieee_inexact 0
		.amdhsa_exception_int_div_zero 0
	.end_amdhsa_kernel
	.section	.text._ZN7rocprim17ROCPRIM_400000_NS6detail17trampoline_kernelINS0_14default_configENS1_35adjacent_difference_config_selectorILb0EsEEZNS1_24adjacent_difference_implIS3_Lb0ELb0EPsS7_N6thrust23THRUST_200600_302600_NS5minusIsEEEE10hipError_tPvRmT2_T3_mT4_P12ihipStream_tbEUlT_E_NS1_11comp_targetILNS1_3genE4ELNS1_11target_archE910ELNS1_3gpuE8ELNS1_3repE0EEENS1_30default_config_static_selectorELNS0_4arch9wavefront6targetE1EEEvT1_,"axG",@progbits,_ZN7rocprim17ROCPRIM_400000_NS6detail17trampoline_kernelINS0_14default_configENS1_35adjacent_difference_config_selectorILb0EsEEZNS1_24adjacent_difference_implIS3_Lb0ELb0EPsS7_N6thrust23THRUST_200600_302600_NS5minusIsEEEE10hipError_tPvRmT2_T3_mT4_P12ihipStream_tbEUlT_E_NS1_11comp_targetILNS1_3genE4ELNS1_11target_archE910ELNS1_3gpuE8ELNS1_3repE0EEENS1_30default_config_static_selectorELNS0_4arch9wavefront6targetE1EEEvT1_,comdat
.Lfunc_end55:
	.size	_ZN7rocprim17ROCPRIM_400000_NS6detail17trampoline_kernelINS0_14default_configENS1_35adjacent_difference_config_selectorILb0EsEEZNS1_24adjacent_difference_implIS3_Lb0ELb0EPsS7_N6thrust23THRUST_200600_302600_NS5minusIsEEEE10hipError_tPvRmT2_T3_mT4_P12ihipStream_tbEUlT_E_NS1_11comp_targetILNS1_3genE4ELNS1_11target_archE910ELNS1_3gpuE8ELNS1_3repE0EEENS1_30default_config_static_selectorELNS0_4arch9wavefront6targetE1EEEvT1_, .Lfunc_end55-_ZN7rocprim17ROCPRIM_400000_NS6detail17trampoline_kernelINS0_14default_configENS1_35adjacent_difference_config_selectorILb0EsEEZNS1_24adjacent_difference_implIS3_Lb0ELb0EPsS7_N6thrust23THRUST_200600_302600_NS5minusIsEEEE10hipError_tPvRmT2_T3_mT4_P12ihipStream_tbEUlT_E_NS1_11comp_targetILNS1_3genE4ELNS1_11target_archE910ELNS1_3gpuE8ELNS1_3repE0EEENS1_30default_config_static_selectorELNS0_4arch9wavefront6targetE1EEEvT1_
                                        ; -- End function
	.section	.AMDGPU.csdata,"",@progbits
; Kernel info:
; codeLenInByte = 4412
; NumSgprs: 27
; NumVgprs: 34
; NumAgprs: 0
; TotalNumVgprs: 34
; ScratchSize: 0
; MemoryBound: 0
; FloatMode: 240
; IeeeMode: 1
; LDSByteSize: 2176 bytes/workgroup (compile time only)
; SGPRBlocks: 3
; VGPRBlocks: 4
; NumSGPRsForWavesPerEU: 27
; NumVGPRsForWavesPerEU: 34
; AccumOffset: 36
; Occupancy: 8
; WaveLimiterHint : 1
; COMPUTE_PGM_RSRC2:SCRATCH_EN: 0
; COMPUTE_PGM_RSRC2:USER_SGPR: 6
; COMPUTE_PGM_RSRC2:TRAP_HANDLER: 0
; COMPUTE_PGM_RSRC2:TGID_X_EN: 1
; COMPUTE_PGM_RSRC2:TGID_Y_EN: 0
; COMPUTE_PGM_RSRC2:TGID_Z_EN: 0
; COMPUTE_PGM_RSRC2:TIDIG_COMP_CNT: 0
; COMPUTE_PGM_RSRC3_GFX90A:ACCUM_OFFSET: 8
; COMPUTE_PGM_RSRC3_GFX90A:TG_SPLIT: 0
	.section	.text._ZN7rocprim17ROCPRIM_400000_NS6detail17trampoline_kernelINS0_14default_configENS1_35adjacent_difference_config_selectorILb0EsEEZNS1_24adjacent_difference_implIS3_Lb0ELb0EPsS7_N6thrust23THRUST_200600_302600_NS5minusIsEEEE10hipError_tPvRmT2_T3_mT4_P12ihipStream_tbEUlT_E_NS1_11comp_targetILNS1_3genE3ELNS1_11target_archE908ELNS1_3gpuE7ELNS1_3repE0EEENS1_30default_config_static_selectorELNS0_4arch9wavefront6targetE1EEEvT1_,"axG",@progbits,_ZN7rocprim17ROCPRIM_400000_NS6detail17trampoline_kernelINS0_14default_configENS1_35adjacent_difference_config_selectorILb0EsEEZNS1_24adjacent_difference_implIS3_Lb0ELb0EPsS7_N6thrust23THRUST_200600_302600_NS5minusIsEEEE10hipError_tPvRmT2_T3_mT4_P12ihipStream_tbEUlT_E_NS1_11comp_targetILNS1_3genE3ELNS1_11target_archE908ELNS1_3gpuE7ELNS1_3repE0EEENS1_30default_config_static_selectorELNS0_4arch9wavefront6targetE1EEEvT1_,comdat
	.protected	_ZN7rocprim17ROCPRIM_400000_NS6detail17trampoline_kernelINS0_14default_configENS1_35adjacent_difference_config_selectorILb0EsEEZNS1_24adjacent_difference_implIS3_Lb0ELb0EPsS7_N6thrust23THRUST_200600_302600_NS5minusIsEEEE10hipError_tPvRmT2_T3_mT4_P12ihipStream_tbEUlT_E_NS1_11comp_targetILNS1_3genE3ELNS1_11target_archE908ELNS1_3gpuE7ELNS1_3repE0EEENS1_30default_config_static_selectorELNS0_4arch9wavefront6targetE1EEEvT1_ ; -- Begin function _ZN7rocprim17ROCPRIM_400000_NS6detail17trampoline_kernelINS0_14default_configENS1_35adjacent_difference_config_selectorILb0EsEEZNS1_24adjacent_difference_implIS3_Lb0ELb0EPsS7_N6thrust23THRUST_200600_302600_NS5minusIsEEEE10hipError_tPvRmT2_T3_mT4_P12ihipStream_tbEUlT_E_NS1_11comp_targetILNS1_3genE3ELNS1_11target_archE908ELNS1_3gpuE7ELNS1_3repE0EEENS1_30default_config_static_selectorELNS0_4arch9wavefront6targetE1EEEvT1_
	.globl	_ZN7rocprim17ROCPRIM_400000_NS6detail17trampoline_kernelINS0_14default_configENS1_35adjacent_difference_config_selectorILb0EsEEZNS1_24adjacent_difference_implIS3_Lb0ELb0EPsS7_N6thrust23THRUST_200600_302600_NS5minusIsEEEE10hipError_tPvRmT2_T3_mT4_P12ihipStream_tbEUlT_E_NS1_11comp_targetILNS1_3genE3ELNS1_11target_archE908ELNS1_3gpuE7ELNS1_3repE0EEENS1_30default_config_static_selectorELNS0_4arch9wavefront6targetE1EEEvT1_
	.p2align	8
	.type	_ZN7rocprim17ROCPRIM_400000_NS6detail17trampoline_kernelINS0_14default_configENS1_35adjacent_difference_config_selectorILb0EsEEZNS1_24adjacent_difference_implIS3_Lb0ELb0EPsS7_N6thrust23THRUST_200600_302600_NS5minusIsEEEE10hipError_tPvRmT2_T3_mT4_P12ihipStream_tbEUlT_E_NS1_11comp_targetILNS1_3genE3ELNS1_11target_archE908ELNS1_3gpuE7ELNS1_3repE0EEENS1_30default_config_static_selectorELNS0_4arch9wavefront6targetE1EEEvT1_,@function
_ZN7rocprim17ROCPRIM_400000_NS6detail17trampoline_kernelINS0_14default_configENS1_35adjacent_difference_config_selectorILb0EsEEZNS1_24adjacent_difference_implIS3_Lb0ELb0EPsS7_N6thrust23THRUST_200600_302600_NS5minusIsEEEE10hipError_tPvRmT2_T3_mT4_P12ihipStream_tbEUlT_E_NS1_11comp_targetILNS1_3genE3ELNS1_11target_archE908ELNS1_3gpuE7ELNS1_3repE0EEENS1_30default_config_static_selectorELNS0_4arch9wavefront6targetE1EEEvT1_: ; @_ZN7rocprim17ROCPRIM_400000_NS6detail17trampoline_kernelINS0_14default_configENS1_35adjacent_difference_config_selectorILb0EsEEZNS1_24adjacent_difference_implIS3_Lb0ELb0EPsS7_N6thrust23THRUST_200600_302600_NS5minusIsEEEE10hipError_tPvRmT2_T3_mT4_P12ihipStream_tbEUlT_E_NS1_11comp_targetILNS1_3genE3ELNS1_11target_archE908ELNS1_3gpuE7ELNS1_3repE0EEENS1_30default_config_static_selectorELNS0_4arch9wavefront6targetE1EEEvT1_
; %bb.0:
	.section	.rodata,"a",@progbits
	.p2align	6, 0x0
	.amdhsa_kernel _ZN7rocprim17ROCPRIM_400000_NS6detail17trampoline_kernelINS0_14default_configENS1_35adjacent_difference_config_selectorILb0EsEEZNS1_24adjacent_difference_implIS3_Lb0ELb0EPsS7_N6thrust23THRUST_200600_302600_NS5minusIsEEEE10hipError_tPvRmT2_T3_mT4_P12ihipStream_tbEUlT_E_NS1_11comp_targetILNS1_3genE3ELNS1_11target_archE908ELNS1_3gpuE7ELNS1_3repE0EEENS1_30default_config_static_selectorELNS0_4arch9wavefront6targetE1EEEvT1_
		.amdhsa_group_segment_fixed_size 0
		.amdhsa_private_segment_fixed_size 0
		.amdhsa_kernarg_size 56
		.amdhsa_user_sgpr_count 6
		.amdhsa_user_sgpr_private_segment_buffer 1
		.amdhsa_user_sgpr_dispatch_ptr 0
		.amdhsa_user_sgpr_queue_ptr 0
		.amdhsa_user_sgpr_kernarg_segment_ptr 1
		.amdhsa_user_sgpr_dispatch_id 0
		.amdhsa_user_sgpr_flat_scratch_init 0
		.amdhsa_user_sgpr_kernarg_preload_length 0
		.amdhsa_user_sgpr_kernarg_preload_offset 0
		.amdhsa_user_sgpr_private_segment_size 0
		.amdhsa_uses_dynamic_stack 0
		.amdhsa_system_sgpr_private_segment_wavefront_offset 0
		.amdhsa_system_sgpr_workgroup_id_x 1
		.amdhsa_system_sgpr_workgroup_id_y 0
		.amdhsa_system_sgpr_workgroup_id_z 0
		.amdhsa_system_sgpr_workgroup_info 0
		.amdhsa_system_vgpr_workitem_id 0
		.amdhsa_next_free_vgpr 1
		.amdhsa_next_free_sgpr 0
		.amdhsa_accum_offset 4
		.amdhsa_reserve_vcc 0
		.amdhsa_reserve_flat_scratch 0
		.amdhsa_float_round_mode_32 0
		.amdhsa_float_round_mode_16_64 0
		.amdhsa_float_denorm_mode_32 3
		.amdhsa_float_denorm_mode_16_64 3
		.amdhsa_dx10_clamp 1
		.amdhsa_ieee_mode 1
		.amdhsa_fp16_overflow 0
		.amdhsa_tg_split 0
		.amdhsa_exception_fp_ieee_invalid_op 0
		.amdhsa_exception_fp_denorm_src 0
		.amdhsa_exception_fp_ieee_div_zero 0
		.amdhsa_exception_fp_ieee_overflow 0
		.amdhsa_exception_fp_ieee_underflow 0
		.amdhsa_exception_fp_ieee_inexact 0
		.amdhsa_exception_int_div_zero 0
	.end_amdhsa_kernel
	.section	.text._ZN7rocprim17ROCPRIM_400000_NS6detail17trampoline_kernelINS0_14default_configENS1_35adjacent_difference_config_selectorILb0EsEEZNS1_24adjacent_difference_implIS3_Lb0ELb0EPsS7_N6thrust23THRUST_200600_302600_NS5minusIsEEEE10hipError_tPvRmT2_T3_mT4_P12ihipStream_tbEUlT_E_NS1_11comp_targetILNS1_3genE3ELNS1_11target_archE908ELNS1_3gpuE7ELNS1_3repE0EEENS1_30default_config_static_selectorELNS0_4arch9wavefront6targetE1EEEvT1_,"axG",@progbits,_ZN7rocprim17ROCPRIM_400000_NS6detail17trampoline_kernelINS0_14default_configENS1_35adjacent_difference_config_selectorILb0EsEEZNS1_24adjacent_difference_implIS3_Lb0ELb0EPsS7_N6thrust23THRUST_200600_302600_NS5minusIsEEEE10hipError_tPvRmT2_T3_mT4_P12ihipStream_tbEUlT_E_NS1_11comp_targetILNS1_3genE3ELNS1_11target_archE908ELNS1_3gpuE7ELNS1_3repE0EEENS1_30default_config_static_selectorELNS0_4arch9wavefront6targetE1EEEvT1_,comdat
.Lfunc_end56:
	.size	_ZN7rocprim17ROCPRIM_400000_NS6detail17trampoline_kernelINS0_14default_configENS1_35adjacent_difference_config_selectorILb0EsEEZNS1_24adjacent_difference_implIS3_Lb0ELb0EPsS7_N6thrust23THRUST_200600_302600_NS5minusIsEEEE10hipError_tPvRmT2_T3_mT4_P12ihipStream_tbEUlT_E_NS1_11comp_targetILNS1_3genE3ELNS1_11target_archE908ELNS1_3gpuE7ELNS1_3repE0EEENS1_30default_config_static_selectorELNS0_4arch9wavefront6targetE1EEEvT1_, .Lfunc_end56-_ZN7rocprim17ROCPRIM_400000_NS6detail17trampoline_kernelINS0_14default_configENS1_35adjacent_difference_config_selectorILb0EsEEZNS1_24adjacent_difference_implIS3_Lb0ELb0EPsS7_N6thrust23THRUST_200600_302600_NS5minusIsEEEE10hipError_tPvRmT2_T3_mT4_P12ihipStream_tbEUlT_E_NS1_11comp_targetILNS1_3genE3ELNS1_11target_archE908ELNS1_3gpuE7ELNS1_3repE0EEENS1_30default_config_static_selectorELNS0_4arch9wavefront6targetE1EEEvT1_
                                        ; -- End function
	.section	.AMDGPU.csdata,"",@progbits
; Kernel info:
; codeLenInByte = 0
; NumSgprs: 4
; NumVgprs: 0
; NumAgprs: 0
; TotalNumVgprs: 0
; ScratchSize: 0
; MemoryBound: 0
; FloatMode: 240
; IeeeMode: 1
; LDSByteSize: 0 bytes/workgroup (compile time only)
; SGPRBlocks: 0
; VGPRBlocks: 0
; NumSGPRsForWavesPerEU: 4
; NumVGPRsForWavesPerEU: 1
; AccumOffset: 4
; Occupancy: 8
; WaveLimiterHint : 0
; COMPUTE_PGM_RSRC2:SCRATCH_EN: 0
; COMPUTE_PGM_RSRC2:USER_SGPR: 6
; COMPUTE_PGM_RSRC2:TRAP_HANDLER: 0
; COMPUTE_PGM_RSRC2:TGID_X_EN: 1
; COMPUTE_PGM_RSRC2:TGID_Y_EN: 0
; COMPUTE_PGM_RSRC2:TGID_Z_EN: 0
; COMPUTE_PGM_RSRC2:TIDIG_COMP_CNT: 0
; COMPUTE_PGM_RSRC3_GFX90A:ACCUM_OFFSET: 0
; COMPUTE_PGM_RSRC3_GFX90A:TG_SPLIT: 0
	.section	.text._ZN7rocprim17ROCPRIM_400000_NS6detail17trampoline_kernelINS0_14default_configENS1_35adjacent_difference_config_selectorILb0EsEEZNS1_24adjacent_difference_implIS3_Lb0ELb0EPsS7_N6thrust23THRUST_200600_302600_NS5minusIsEEEE10hipError_tPvRmT2_T3_mT4_P12ihipStream_tbEUlT_E_NS1_11comp_targetILNS1_3genE2ELNS1_11target_archE906ELNS1_3gpuE6ELNS1_3repE0EEENS1_30default_config_static_selectorELNS0_4arch9wavefront6targetE1EEEvT1_,"axG",@progbits,_ZN7rocprim17ROCPRIM_400000_NS6detail17trampoline_kernelINS0_14default_configENS1_35adjacent_difference_config_selectorILb0EsEEZNS1_24adjacent_difference_implIS3_Lb0ELb0EPsS7_N6thrust23THRUST_200600_302600_NS5minusIsEEEE10hipError_tPvRmT2_T3_mT4_P12ihipStream_tbEUlT_E_NS1_11comp_targetILNS1_3genE2ELNS1_11target_archE906ELNS1_3gpuE6ELNS1_3repE0EEENS1_30default_config_static_selectorELNS0_4arch9wavefront6targetE1EEEvT1_,comdat
	.protected	_ZN7rocprim17ROCPRIM_400000_NS6detail17trampoline_kernelINS0_14default_configENS1_35adjacent_difference_config_selectorILb0EsEEZNS1_24adjacent_difference_implIS3_Lb0ELb0EPsS7_N6thrust23THRUST_200600_302600_NS5minusIsEEEE10hipError_tPvRmT2_T3_mT4_P12ihipStream_tbEUlT_E_NS1_11comp_targetILNS1_3genE2ELNS1_11target_archE906ELNS1_3gpuE6ELNS1_3repE0EEENS1_30default_config_static_selectorELNS0_4arch9wavefront6targetE1EEEvT1_ ; -- Begin function _ZN7rocprim17ROCPRIM_400000_NS6detail17trampoline_kernelINS0_14default_configENS1_35adjacent_difference_config_selectorILb0EsEEZNS1_24adjacent_difference_implIS3_Lb0ELb0EPsS7_N6thrust23THRUST_200600_302600_NS5minusIsEEEE10hipError_tPvRmT2_T3_mT4_P12ihipStream_tbEUlT_E_NS1_11comp_targetILNS1_3genE2ELNS1_11target_archE906ELNS1_3gpuE6ELNS1_3repE0EEENS1_30default_config_static_selectorELNS0_4arch9wavefront6targetE1EEEvT1_
	.globl	_ZN7rocprim17ROCPRIM_400000_NS6detail17trampoline_kernelINS0_14default_configENS1_35adjacent_difference_config_selectorILb0EsEEZNS1_24adjacent_difference_implIS3_Lb0ELb0EPsS7_N6thrust23THRUST_200600_302600_NS5minusIsEEEE10hipError_tPvRmT2_T3_mT4_P12ihipStream_tbEUlT_E_NS1_11comp_targetILNS1_3genE2ELNS1_11target_archE906ELNS1_3gpuE6ELNS1_3repE0EEENS1_30default_config_static_selectorELNS0_4arch9wavefront6targetE1EEEvT1_
	.p2align	8
	.type	_ZN7rocprim17ROCPRIM_400000_NS6detail17trampoline_kernelINS0_14default_configENS1_35adjacent_difference_config_selectorILb0EsEEZNS1_24adjacent_difference_implIS3_Lb0ELb0EPsS7_N6thrust23THRUST_200600_302600_NS5minusIsEEEE10hipError_tPvRmT2_T3_mT4_P12ihipStream_tbEUlT_E_NS1_11comp_targetILNS1_3genE2ELNS1_11target_archE906ELNS1_3gpuE6ELNS1_3repE0EEENS1_30default_config_static_selectorELNS0_4arch9wavefront6targetE1EEEvT1_,@function
_ZN7rocprim17ROCPRIM_400000_NS6detail17trampoline_kernelINS0_14default_configENS1_35adjacent_difference_config_selectorILb0EsEEZNS1_24adjacent_difference_implIS3_Lb0ELb0EPsS7_N6thrust23THRUST_200600_302600_NS5minusIsEEEE10hipError_tPvRmT2_T3_mT4_P12ihipStream_tbEUlT_E_NS1_11comp_targetILNS1_3genE2ELNS1_11target_archE906ELNS1_3gpuE6ELNS1_3repE0EEENS1_30default_config_static_selectorELNS0_4arch9wavefront6targetE1EEEvT1_: ; @_ZN7rocprim17ROCPRIM_400000_NS6detail17trampoline_kernelINS0_14default_configENS1_35adjacent_difference_config_selectorILb0EsEEZNS1_24adjacent_difference_implIS3_Lb0ELb0EPsS7_N6thrust23THRUST_200600_302600_NS5minusIsEEEE10hipError_tPvRmT2_T3_mT4_P12ihipStream_tbEUlT_E_NS1_11comp_targetILNS1_3genE2ELNS1_11target_archE906ELNS1_3gpuE6ELNS1_3repE0EEENS1_30default_config_static_selectorELNS0_4arch9wavefront6targetE1EEEvT1_
; %bb.0:
	.section	.rodata,"a",@progbits
	.p2align	6, 0x0
	.amdhsa_kernel _ZN7rocprim17ROCPRIM_400000_NS6detail17trampoline_kernelINS0_14default_configENS1_35adjacent_difference_config_selectorILb0EsEEZNS1_24adjacent_difference_implIS3_Lb0ELb0EPsS7_N6thrust23THRUST_200600_302600_NS5minusIsEEEE10hipError_tPvRmT2_T3_mT4_P12ihipStream_tbEUlT_E_NS1_11comp_targetILNS1_3genE2ELNS1_11target_archE906ELNS1_3gpuE6ELNS1_3repE0EEENS1_30default_config_static_selectorELNS0_4arch9wavefront6targetE1EEEvT1_
		.amdhsa_group_segment_fixed_size 0
		.amdhsa_private_segment_fixed_size 0
		.amdhsa_kernarg_size 56
		.amdhsa_user_sgpr_count 6
		.amdhsa_user_sgpr_private_segment_buffer 1
		.amdhsa_user_sgpr_dispatch_ptr 0
		.amdhsa_user_sgpr_queue_ptr 0
		.amdhsa_user_sgpr_kernarg_segment_ptr 1
		.amdhsa_user_sgpr_dispatch_id 0
		.amdhsa_user_sgpr_flat_scratch_init 0
		.amdhsa_user_sgpr_kernarg_preload_length 0
		.amdhsa_user_sgpr_kernarg_preload_offset 0
		.amdhsa_user_sgpr_private_segment_size 0
		.amdhsa_uses_dynamic_stack 0
		.amdhsa_system_sgpr_private_segment_wavefront_offset 0
		.amdhsa_system_sgpr_workgroup_id_x 1
		.amdhsa_system_sgpr_workgroup_id_y 0
		.amdhsa_system_sgpr_workgroup_id_z 0
		.amdhsa_system_sgpr_workgroup_info 0
		.amdhsa_system_vgpr_workitem_id 0
		.amdhsa_next_free_vgpr 1
		.amdhsa_next_free_sgpr 0
		.amdhsa_accum_offset 4
		.amdhsa_reserve_vcc 0
		.amdhsa_reserve_flat_scratch 0
		.amdhsa_float_round_mode_32 0
		.amdhsa_float_round_mode_16_64 0
		.amdhsa_float_denorm_mode_32 3
		.amdhsa_float_denorm_mode_16_64 3
		.amdhsa_dx10_clamp 1
		.amdhsa_ieee_mode 1
		.amdhsa_fp16_overflow 0
		.amdhsa_tg_split 0
		.amdhsa_exception_fp_ieee_invalid_op 0
		.amdhsa_exception_fp_denorm_src 0
		.amdhsa_exception_fp_ieee_div_zero 0
		.amdhsa_exception_fp_ieee_overflow 0
		.amdhsa_exception_fp_ieee_underflow 0
		.amdhsa_exception_fp_ieee_inexact 0
		.amdhsa_exception_int_div_zero 0
	.end_amdhsa_kernel
	.section	.text._ZN7rocprim17ROCPRIM_400000_NS6detail17trampoline_kernelINS0_14default_configENS1_35adjacent_difference_config_selectorILb0EsEEZNS1_24adjacent_difference_implIS3_Lb0ELb0EPsS7_N6thrust23THRUST_200600_302600_NS5minusIsEEEE10hipError_tPvRmT2_T3_mT4_P12ihipStream_tbEUlT_E_NS1_11comp_targetILNS1_3genE2ELNS1_11target_archE906ELNS1_3gpuE6ELNS1_3repE0EEENS1_30default_config_static_selectorELNS0_4arch9wavefront6targetE1EEEvT1_,"axG",@progbits,_ZN7rocprim17ROCPRIM_400000_NS6detail17trampoline_kernelINS0_14default_configENS1_35adjacent_difference_config_selectorILb0EsEEZNS1_24adjacent_difference_implIS3_Lb0ELb0EPsS7_N6thrust23THRUST_200600_302600_NS5minusIsEEEE10hipError_tPvRmT2_T3_mT4_P12ihipStream_tbEUlT_E_NS1_11comp_targetILNS1_3genE2ELNS1_11target_archE906ELNS1_3gpuE6ELNS1_3repE0EEENS1_30default_config_static_selectorELNS0_4arch9wavefront6targetE1EEEvT1_,comdat
.Lfunc_end57:
	.size	_ZN7rocprim17ROCPRIM_400000_NS6detail17trampoline_kernelINS0_14default_configENS1_35adjacent_difference_config_selectorILb0EsEEZNS1_24adjacent_difference_implIS3_Lb0ELb0EPsS7_N6thrust23THRUST_200600_302600_NS5minusIsEEEE10hipError_tPvRmT2_T3_mT4_P12ihipStream_tbEUlT_E_NS1_11comp_targetILNS1_3genE2ELNS1_11target_archE906ELNS1_3gpuE6ELNS1_3repE0EEENS1_30default_config_static_selectorELNS0_4arch9wavefront6targetE1EEEvT1_, .Lfunc_end57-_ZN7rocprim17ROCPRIM_400000_NS6detail17trampoline_kernelINS0_14default_configENS1_35adjacent_difference_config_selectorILb0EsEEZNS1_24adjacent_difference_implIS3_Lb0ELb0EPsS7_N6thrust23THRUST_200600_302600_NS5minusIsEEEE10hipError_tPvRmT2_T3_mT4_P12ihipStream_tbEUlT_E_NS1_11comp_targetILNS1_3genE2ELNS1_11target_archE906ELNS1_3gpuE6ELNS1_3repE0EEENS1_30default_config_static_selectorELNS0_4arch9wavefront6targetE1EEEvT1_
                                        ; -- End function
	.section	.AMDGPU.csdata,"",@progbits
; Kernel info:
; codeLenInByte = 0
; NumSgprs: 4
; NumVgprs: 0
; NumAgprs: 0
; TotalNumVgprs: 0
; ScratchSize: 0
; MemoryBound: 0
; FloatMode: 240
; IeeeMode: 1
; LDSByteSize: 0 bytes/workgroup (compile time only)
; SGPRBlocks: 0
; VGPRBlocks: 0
; NumSGPRsForWavesPerEU: 4
; NumVGPRsForWavesPerEU: 1
; AccumOffset: 4
; Occupancy: 8
; WaveLimiterHint : 0
; COMPUTE_PGM_RSRC2:SCRATCH_EN: 0
; COMPUTE_PGM_RSRC2:USER_SGPR: 6
; COMPUTE_PGM_RSRC2:TRAP_HANDLER: 0
; COMPUTE_PGM_RSRC2:TGID_X_EN: 1
; COMPUTE_PGM_RSRC2:TGID_Y_EN: 0
; COMPUTE_PGM_RSRC2:TGID_Z_EN: 0
; COMPUTE_PGM_RSRC2:TIDIG_COMP_CNT: 0
; COMPUTE_PGM_RSRC3_GFX90A:ACCUM_OFFSET: 0
; COMPUTE_PGM_RSRC3_GFX90A:TG_SPLIT: 0
	.section	.text._ZN7rocprim17ROCPRIM_400000_NS6detail17trampoline_kernelINS0_14default_configENS1_35adjacent_difference_config_selectorILb0EsEEZNS1_24adjacent_difference_implIS3_Lb0ELb0EPsS7_N6thrust23THRUST_200600_302600_NS5minusIsEEEE10hipError_tPvRmT2_T3_mT4_P12ihipStream_tbEUlT_E_NS1_11comp_targetILNS1_3genE9ELNS1_11target_archE1100ELNS1_3gpuE3ELNS1_3repE0EEENS1_30default_config_static_selectorELNS0_4arch9wavefront6targetE1EEEvT1_,"axG",@progbits,_ZN7rocprim17ROCPRIM_400000_NS6detail17trampoline_kernelINS0_14default_configENS1_35adjacent_difference_config_selectorILb0EsEEZNS1_24adjacent_difference_implIS3_Lb0ELb0EPsS7_N6thrust23THRUST_200600_302600_NS5minusIsEEEE10hipError_tPvRmT2_T3_mT4_P12ihipStream_tbEUlT_E_NS1_11comp_targetILNS1_3genE9ELNS1_11target_archE1100ELNS1_3gpuE3ELNS1_3repE0EEENS1_30default_config_static_selectorELNS0_4arch9wavefront6targetE1EEEvT1_,comdat
	.protected	_ZN7rocprim17ROCPRIM_400000_NS6detail17trampoline_kernelINS0_14default_configENS1_35adjacent_difference_config_selectorILb0EsEEZNS1_24adjacent_difference_implIS3_Lb0ELb0EPsS7_N6thrust23THRUST_200600_302600_NS5minusIsEEEE10hipError_tPvRmT2_T3_mT4_P12ihipStream_tbEUlT_E_NS1_11comp_targetILNS1_3genE9ELNS1_11target_archE1100ELNS1_3gpuE3ELNS1_3repE0EEENS1_30default_config_static_selectorELNS0_4arch9wavefront6targetE1EEEvT1_ ; -- Begin function _ZN7rocprim17ROCPRIM_400000_NS6detail17trampoline_kernelINS0_14default_configENS1_35adjacent_difference_config_selectorILb0EsEEZNS1_24adjacent_difference_implIS3_Lb0ELb0EPsS7_N6thrust23THRUST_200600_302600_NS5minusIsEEEE10hipError_tPvRmT2_T3_mT4_P12ihipStream_tbEUlT_E_NS1_11comp_targetILNS1_3genE9ELNS1_11target_archE1100ELNS1_3gpuE3ELNS1_3repE0EEENS1_30default_config_static_selectorELNS0_4arch9wavefront6targetE1EEEvT1_
	.globl	_ZN7rocprim17ROCPRIM_400000_NS6detail17trampoline_kernelINS0_14default_configENS1_35adjacent_difference_config_selectorILb0EsEEZNS1_24adjacent_difference_implIS3_Lb0ELb0EPsS7_N6thrust23THRUST_200600_302600_NS5minusIsEEEE10hipError_tPvRmT2_T3_mT4_P12ihipStream_tbEUlT_E_NS1_11comp_targetILNS1_3genE9ELNS1_11target_archE1100ELNS1_3gpuE3ELNS1_3repE0EEENS1_30default_config_static_selectorELNS0_4arch9wavefront6targetE1EEEvT1_
	.p2align	8
	.type	_ZN7rocprim17ROCPRIM_400000_NS6detail17trampoline_kernelINS0_14default_configENS1_35adjacent_difference_config_selectorILb0EsEEZNS1_24adjacent_difference_implIS3_Lb0ELb0EPsS7_N6thrust23THRUST_200600_302600_NS5minusIsEEEE10hipError_tPvRmT2_T3_mT4_P12ihipStream_tbEUlT_E_NS1_11comp_targetILNS1_3genE9ELNS1_11target_archE1100ELNS1_3gpuE3ELNS1_3repE0EEENS1_30default_config_static_selectorELNS0_4arch9wavefront6targetE1EEEvT1_,@function
_ZN7rocprim17ROCPRIM_400000_NS6detail17trampoline_kernelINS0_14default_configENS1_35adjacent_difference_config_selectorILb0EsEEZNS1_24adjacent_difference_implIS3_Lb0ELb0EPsS7_N6thrust23THRUST_200600_302600_NS5minusIsEEEE10hipError_tPvRmT2_T3_mT4_P12ihipStream_tbEUlT_E_NS1_11comp_targetILNS1_3genE9ELNS1_11target_archE1100ELNS1_3gpuE3ELNS1_3repE0EEENS1_30default_config_static_selectorELNS0_4arch9wavefront6targetE1EEEvT1_: ; @_ZN7rocprim17ROCPRIM_400000_NS6detail17trampoline_kernelINS0_14default_configENS1_35adjacent_difference_config_selectorILb0EsEEZNS1_24adjacent_difference_implIS3_Lb0ELb0EPsS7_N6thrust23THRUST_200600_302600_NS5minusIsEEEE10hipError_tPvRmT2_T3_mT4_P12ihipStream_tbEUlT_E_NS1_11comp_targetILNS1_3genE9ELNS1_11target_archE1100ELNS1_3gpuE3ELNS1_3repE0EEENS1_30default_config_static_selectorELNS0_4arch9wavefront6targetE1EEEvT1_
; %bb.0:
	.section	.rodata,"a",@progbits
	.p2align	6, 0x0
	.amdhsa_kernel _ZN7rocprim17ROCPRIM_400000_NS6detail17trampoline_kernelINS0_14default_configENS1_35adjacent_difference_config_selectorILb0EsEEZNS1_24adjacent_difference_implIS3_Lb0ELb0EPsS7_N6thrust23THRUST_200600_302600_NS5minusIsEEEE10hipError_tPvRmT2_T3_mT4_P12ihipStream_tbEUlT_E_NS1_11comp_targetILNS1_3genE9ELNS1_11target_archE1100ELNS1_3gpuE3ELNS1_3repE0EEENS1_30default_config_static_selectorELNS0_4arch9wavefront6targetE1EEEvT1_
		.amdhsa_group_segment_fixed_size 0
		.amdhsa_private_segment_fixed_size 0
		.amdhsa_kernarg_size 56
		.amdhsa_user_sgpr_count 6
		.amdhsa_user_sgpr_private_segment_buffer 1
		.amdhsa_user_sgpr_dispatch_ptr 0
		.amdhsa_user_sgpr_queue_ptr 0
		.amdhsa_user_sgpr_kernarg_segment_ptr 1
		.amdhsa_user_sgpr_dispatch_id 0
		.amdhsa_user_sgpr_flat_scratch_init 0
		.amdhsa_user_sgpr_kernarg_preload_length 0
		.amdhsa_user_sgpr_kernarg_preload_offset 0
		.amdhsa_user_sgpr_private_segment_size 0
		.amdhsa_uses_dynamic_stack 0
		.amdhsa_system_sgpr_private_segment_wavefront_offset 0
		.amdhsa_system_sgpr_workgroup_id_x 1
		.amdhsa_system_sgpr_workgroup_id_y 0
		.amdhsa_system_sgpr_workgroup_id_z 0
		.amdhsa_system_sgpr_workgroup_info 0
		.amdhsa_system_vgpr_workitem_id 0
		.amdhsa_next_free_vgpr 1
		.amdhsa_next_free_sgpr 0
		.amdhsa_accum_offset 4
		.amdhsa_reserve_vcc 0
		.amdhsa_reserve_flat_scratch 0
		.amdhsa_float_round_mode_32 0
		.amdhsa_float_round_mode_16_64 0
		.amdhsa_float_denorm_mode_32 3
		.amdhsa_float_denorm_mode_16_64 3
		.amdhsa_dx10_clamp 1
		.amdhsa_ieee_mode 1
		.amdhsa_fp16_overflow 0
		.amdhsa_tg_split 0
		.amdhsa_exception_fp_ieee_invalid_op 0
		.amdhsa_exception_fp_denorm_src 0
		.amdhsa_exception_fp_ieee_div_zero 0
		.amdhsa_exception_fp_ieee_overflow 0
		.amdhsa_exception_fp_ieee_underflow 0
		.amdhsa_exception_fp_ieee_inexact 0
		.amdhsa_exception_int_div_zero 0
	.end_amdhsa_kernel
	.section	.text._ZN7rocprim17ROCPRIM_400000_NS6detail17trampoline_kernelINS0_14default_configENS1_35adjacent_difference_config_selectorILb0EsEEZNS1_24adjacent_difference_implIS3_Lb0ELb0EPsS7_N6thrust23THRUST_200600_302600_NS5minusIsEEEE10hipError_tPvRmT2_T3_mT4_P12ihipStream_tbEUlT_E_NS1_11comp_targetILNS1_3genE9ELNS1_11target_archE1100ELNS1_3gpuE3ELNS1_3repE0EEENS1_30default_config_static_selectorELNS0_4arch9wavefront6targetE1EEEvT1_,"axG",@progbits,_ZN7rocprim17ROCPRIM_400000_NS6detail17trampoline_kernelINS0_14default_configENS1_35adjacent_difference_config_selectorILb0EsEEZNS1_24adjacent_difference_implIS3_Lb0ELb0EPsS7_N6thrust23THRUST_200600_302600_NS5minusIsEEEE10hipError_tPvRmT2_T3_mT4_P12ihipStream_tbEUlT_E_NS1_11comp_targetILNS1_3genE9ELNS1_11target_archE1100ELNS1_3gpuE3ELNS1_3repE0EEENS1_30default_config_static_selectorELNS0_4arch9wavefront6targetE1EEEvT1_,comdat
.Lfunc_end58:
	.size	_ZN7rocprim17ROCPRIM_400000_NS6detail17trampoline_kernelINS0_14default_configENS1_35adjacent_difference_config_selectorILb0EsEEZNS1_24adjacent_difference_implIS3_Lb0ELb0EPsS7_N6thrust23THRUST_200600_302600_NS5minusIsEEEE10hipError_tPvRmT2_T3_mT4_P12ihipStream_tbEUlT_E_NS1_11comp_targetILNS1_3genE9ELNS1_11target_archE1100ELNS1_3gpuE3ELNS1_3repE0EEENS1_30default_config_static_selectorELNS0_4arch9wavefront6targetE1EEEvT1_, .Lfunc_end58-_ZN7rocprim17ROCPRIM_400000_NS6detail17trampoline_kernelINS0_14default_configENS1_35adjacent_difference_config_selectorILb0EsEEZNS1_24adjacent_difference_implIS3_Lb0ELb0EPsS7_N6thrust23THRUST_200600_302600_NS5minusIsEEEE10hipError_tPvRmT2_T3_mT4_P12ihipStream_tbEUlT_E_NS1_11comp_targetILNS1_3genE9ELNS1_11target_archE1100ELNS1_3gpuE3ELNS1_3repE0EEENS1_30default_config_static_selectorELNS0_4arch9wavefront6targetE1EEEvT1_
                                        ; -- End function
	.section	.AMDGPU.csdata,"",@progbits
; Kernel info:
; codeLenInByte = 0
; NumSgprs: 4
; NumVgprs: 0
; NumAgprs: 0
; TotalNumVgprs: 0
; ScratchSize: 0
; MemoryBound: 0
; FloatMode: 240
; IeeeMode: 1
; LDSByteSize: 0 bytes/workgroup (compile time only)
; SGPRBlocks: 0
; VGPRBlocks: 0
; NumSGPRsForWavesPerEU: 4
; NumVGPRsForWavesPerEU: 1
; AccumOffset: 4
; Occupancy: 8
; WaveLimiterHint : 0
; COMPUTE_PGM_RSRC2:SCRATCH_EN: 0
; COMPUTE_PGM_RSRC2:USER_SGPR: 6
; COMPUTE_PGM_RSRC2:TRAP_HANDLER: 0
; COMPUTE_PGM_RSRC2:TGID_X_EN: 1
; COMPUTE_PGM_RSRC2:TGID_Y_EN: 0
; COMPUTE_PGM_RSRC2:TGID_Z_EN: 0
; COMPUTE_PGM_RSRC2:TIDIG_COMP_CNT: 0
; COMPUTE_PGM_RSRC3_GFX90A:ACCUM_OFFSET: 0
; COMPUTE_PGM_RSRC3_GFX90A:TG_SPLIT: 0
	.section	.text._ZN7rocprim17ROCPRIM_400000_NS6detail17trampoline_kernelINS0_14default_configENS1_35adjacent_difference_config_selectorILb0EsEEZNS1_24adjacent_difference_implIS3_Lb0ELb0EPsS7_N6thrust23THRUST_200600_302600_NS5minusIsEEEE10hipError_tPvRmT2_T3_mT4_P12ihipStream_tbEUlT_E_NS1_11comp_targetILNS1_3genE8ELNS1_11target_archE1030ELNS1_3gpuE2ELNS1_3repE0EEENS1_30default_config_static_selectorELNS0_4arch9wavefront6targetE1EEEvT1_,"axG",@progbits,_ZN7rocprim17ROCPRIM_400000_NS6detail17trampoline_kernelINS0_14default_configENS1_35adjacent_difference_config_selectorILb0EsEEZNS1_24adjacent_difference_implIS3_Lb0ELb0EPsS7_N6thrust23THRUST_200600_302600_NS5minusIsEEEE10hipError_tPvRmT2_T3_mT4_P12ihipStream_tbEUlT_E_NS1_11comp_targetILNS1_3genE8ELNS1_11target_archE1030ELNS1_3gpuE2ELNS1_3repE0EEENS1_30default_config_static_selectorELNS0_4arch9wavefront6targetE1EEEvT1_,comdat
	.protected	_ZN7rocprim17ROCPRIM_400000_NS6detail17trampoline_kernelINS0_14default_configENS1_35adjacent_difference_config_selectorILb0EsEEZNS1_24adjacent_difference_implIS3_Lb0ELb0EPsS7_N6thrust23THRUST_200600_302600_NS5minusIsEEEE10hipError_tPvRmT2_T3_mT4_P12ihipStream_tbEUlT_E_NS1_11comp_targetILNS1_3genE8ELNS1_11target_archE1030ELNS1_3gpuE2ELNS1_3repE0EEENS1_30default_config_static_selectorELNS0_4arch9wavefront6targetE1EEEvT1_ ; -- Begin function _ZN7rocprim17ROCPRIM_400000_NS6detail17trampoline_kernelINS0_14default_configENS1_35adjacent_difference_config_selectorILb0EsEEZNS1_24adjacent_difference_implIS3_Lb0ELb0EPsS7_N6thrust23THRUST_200600_302600_NS5minusIsEEEE10hipError_tPvRmT2_T3_mT4_P12ihipStream_tbEUlT_E_NS1_11comp_targetILNS1_3genE8ELNS1_11target_archE1030ELNS1_3gpuE2ELNS1_3repE0EEENS1_30default_config_static_selectorELNS0_4arch9wavefront6targetE1EEEvT1_
	.globl	_ZN7rocprim17ROCPRIM_400000_NS6detail17trampoline_kernelINS0_14default_configENS1_35adjacent_difference_config_selectorILb0EsEEZNS1_24adjacent_difference_implIS3_Lb0ELb0EPsS7_N6thrust23THRUST_200600_302600_NS5minusIsEEEE10hipError_tPvRmT2_T3_mT4_P12ihipStream_tbEUlT_E_NS1_11comp_targetILNS1_3genE8ELNS1_11target_archE1030ELNS1_3gpuE2ELNS1_3repE0EEENS1_30default_config_static_selectorELNS0_4arch9wavefront6targetE1EEEvT1_
	.p2align	8
	.type	_ZN7rocprim17ROCPRIM_400000_NS6detail17trampoline_kernelINS0_14default_configENS1_35adjacent_difference_config_selectorILb0EsEEZNS1_24adjacent_difference_implIS3_Lb0ELb0EPsS7_N6thrust23THRUST_200600_302600_NS5minusIsEEEE10hipError_tPvRmT2_T3_mT4_P12ihipStream_tbEUlT_E_NS1_11comp_targetILNS1_3genE8ELNS1_11target_archE1030ELNS1_3gpuE2ELNS1_3repE0EEENS1_30default_config_static_selectorELNS0_4arch9wavefront6targetE1EEEvT1_,@function
_ZN7rocprim17ROCPRIM_400000_NS6detail17trampoline_kernelINS0_14default_configENS1_35adjacent_difference_config_selectorILb0EsEEZNS1_24adjacent_difference_implIS3_Lb0ELb0EPsS7_N6thrust23THRUST_200600_302600_NS5minusIsEEEE10hipError_tPvRmT2_T3_mT4_P12ihipStream_tbEUlT_E_NS1_11comp_targetILNS1_3genE8ELNS1_11target_archE1030ELNS1_3gpuE2ELNS1_3repE0EEENS1_30default_config_static_selectorELNS0_4arch9wavefront6targetE1EEEvT1_: ; @_ZN7rocprim17ROCPRIM_400000_NS6detail17trampoline_kernelINS0_14default_configENS1_35adjacent_difference_config_selectorILb0EsEEZNS1_24adjacent_difference_implIS3_Lb0ELb0EPsS7_N6thrust23THRUST_200600_302600_NS5minusIsEEEE10hipError_tPvRmT2_T3_mT4_P12ihipStream_tbEUlT_E_NS1_11comp_targetILNS1_3genE8ELNS1_11target_archE1030ELNS1_3gpuE2ELNS1_3repE0EEENS1_30default_config_static_selectorELNS0_4arch9wavefront6targetE1EEEvT1_
; %bb.0:
	.section	.rodata,"a",@progbits
	.p2align	6, 0x0
	.amdhsa_kernel _ZN7rocprim17ROCPRIM_400000_NS6detail17trampoline_kernelINS0_14default_configENS1_35adjacent_difference_config_selectorILb0EsEEZNS1_24adjacent_difference_implIS3_Lb0ELb0EPsS7_N6thrust23THRUST_200600_302600_NS5minusIsEEEE10hipError_tPvRmT2_T3_mT4_P12ihipStream_tbEUlT_E_NS1_11comp_targetILNS1_3genE8ELNS1_11target_archE1030ELNS1_3gpuE2ELNS1_3repE0EEENS1_30default_config_static_selectorELNS0_4arch9wavefront6targetE1EEEvT1_
		.amdhsa_group_segment_fixed_size 0
		.amdhsa_private_segment_fixed_size 0
		.amdhsa_kernarg_size 56
		.amdhsa_user_sgpr_count 6
		.amdhsa_user_sgpr_private_segment_buffer 1
		.amdhsa_user_sgpr_dispatch_ptr 0
		.amdhsa_user_sgpr_queue_ptr 0
		.amdhsa_user_sgpr_kernarg_segment_ptr 1
		.amdhsa_user_sgpr_dispatch_id 0
		.amdhsa_user_sgpr_flat_scratch_init 0
		.amdhsa_user_sgpr_kernarg_preload_length 0
		.amdhsa_user_sgpr_kernarg_preload_offset 0
		.amdhsa_user_sgpr_private_segment_size 0
		.amdhsa_uses_dynamic_stack 0
		.amdhsa_system_sgpr_private_segment_wavefront_offset 0
		.amdhsa_system_sgpr_workgroup_id_x 1
		.amdhsa_system_sgpr_workgroup_id_y 0
		.amdhsa_system_sgpr_workgroup_id_z 0
		.amdhsa_system_sgpr_workgroup_info 0
		.amdhsa_system_vgpr_workitem_id 0
		.amdhsa_next_free_vgpr 1
		.amdhsa_next_free_sgpr 0
		.amdhsa_accum_offset 4
		.amdhsa_reserve_vcc 0
		.amdhsa_reserve_flat_scratch 0
		.amdhsa_float_round_mode_32 0
		.amdhsa_float_round_mode_16_64 0
		.amdhsa_float_denorm_mode_32 3
		.amdhsa_float_denorm_mode_16_64 3
		.amdhsa_dx10_clamp 1
		.amdhsa_ieee_mode 1
		.amdhsa_fp16_overflow 0
		.amdhsa_tg_split 0
		.amdhsa_exception_fp_ieee_invalid_op 0
		.amdhsa_exception_fp_denorm_src 0
		.amdhsa_exception_fp_ieee_div_zero 0
		.amdhsa_exception_fp_ieee_overflow 0
		.amdhsa_exception_fp_ieee_underflow 0
		.amdhsa_exception_fp_ieee_inexact 0
		.amdhsa_exception_int_div_zero 0
	.end_amdhsa_kernel
	.section	.text._ZN7rocprim17ROCPRIM_400000_NS6detail17trampoline_kernelINS0_14default_configENS1_35adjacent_difference_config_selectorILb0EsEEZNS1_24adjacent_difference_implIS3_Lb0ELb0EPsS7_N6thrust23THRUST_200600_302600_NS5minusIsEEEE10hipError_tPvRmT2_T3_mT4_P12ihipStream_tbEUlT_E_NS1_11comp_targetILNS1_3genE8ELNS1_11target_archE1030ELNS1_3gpuE2ELNS1_3repE0EEENS1_30default_config_static_selectorELNS0_4arch9wavefront6targetE1EEEvT1_,"axG",@progbits,_ZN7rocprim17ROCPRIM_400000_NS6detail17trampoline_kernelINS0_14default_configENS1_35adjacent_difference_config_selectorILb0EsEEZNS1_24adjacent_difference_implIS3_Lb0ELb0EPsS7_N6thrust23THRUST_200600_302600_NS5minusIsEEEE10hipError_tPvRmT2_T3_mT4_P12ihipStream_tbEUlT_E_NS1_11comp_targetILNS1_3genE8ELNS1_11target_archE1030ELNS1_3gpuE2ELNS1_3repE0EEENS1_30default_config_static_selectorELNS0_4arch9wavefront6targetE1EEEvT1_,comdat
.Lfunc_end59:
	.size	_ZN7rocprim17ROCPRIM_400000_NS6detail17trampoline_kernelINS0_14default_configENS1_35adjacent_difference_config_selectorILb0EsEEZNS1_24adjacent_difference_implIS3_Lb0ELb0EPsS7_N6thrust23THRUST_200600_302600_NS5minusIsEEEE10hipError_tPvRmT2_T3_mT4_P12ihipStream_tbEUlT_E_NS1_11comp_targetILNS1_3genE8ELNS1_11target_archE1030ELNS1_3gpuE2ELNS1_3repE0EEENS1_30default_config_static_selectorELNS0_4arch9wavefront6targetE1EEEvT1_, .Lfunc_end59-_ZN7rocprim17ROCPRIM_400000_NS6detail17trampoline_kernelINS0_14default_configENS1_35adjacent_difference_config_selectorILb0EsEEZNS1_24adjacent_difference_implIS3_Lb0ELb0EPsS7_N6thrust23THRUST_200600_302600_NS5minusIsEEEE10hipError_tPvRmT2_T3_mT4_P12ihipStream_tbEUlT_E_NS1_11comp_targetILNS1_3genE8ELNS1_11target_archE1030ELNS1_3gpuE2ELNS1_3repE0EEENS1_30default_config_static_selectorELNS0_4arch9wavefront6targetE1EEEvT1_
                                        ; -- End function
	.section	.AMDGPU.csdata,"",@progbits
; Kernel info:
; codeLenInByte = 0
; NumSgprs: 4
; NumVgprs: 0
; NumAgprs: 0
; TotalNumVgprs: 0
; ScratchSize: 0
; MemoryBound: 0
; FloatMode: 240
; IeeeMode: 1
; LDSByteSize: 0 bytes/workgroup (compile time only)
; SGPRBlocks: 0
; VGPRBlocks: 0
; NumSGPRsForWavesPerEU: 4
; NumVGPRsForWavesPerEU: 1
; AccumOffset: 4
; Occupancy: 8
; WaveLimiterHint : 0
; COMPUTE_PGM_RSRC2:SCRATCH_EN: 0
; COMPUTE_PGM_RSRC2:USER_SGPR: 6
; COMPUTE_PGM_RSRC2:TRAP_HANDLER: 0
; COMPUTE_PGM_RSRC2:TGID_X_EN: 1
; COMPUTE_PGM_RSRC2:TGID_Y_EN: 0
; COMPUTE_PGM_RSRC2:TGID_Z_EN: 0
; COMPUTE_PGM_RSRC2:TIDIG_COMP_CNT: 0
; COMPUTE_PGM_RSRC3_GFX90A:ACCUM_OFFSET: 0
; COMPUTE_PGM_RSRC3_GFX90A:TG_SPLIT: 0
	.section	.text._ZN7rocprim17ROCPRIM_400000_NS6detail17trampoline_kernelINS0_14default_configENS1_25transform_config_selectorIsLb0EEEZNS1_14transform_implILb0ES3_S5_NS0_18transform_iteratorINS0_17counting_iteratorImlEEZNS1_24adjacent_difference_implIS3_Lb1ELb0EPsSB_N6thrust23THRUST_200600_302600_NS5minusIsEEEE10hipError_tPvRmT2_T3_mT4_P12ihipStream_tbEUlmE_sEESB_NS0_8identityIvEEEESG_SJ_SK_mSL_SN_bEUlT_E_NS1_11comp_targetILNS1_3genE0ELNS1_11target_archE4294967295ELNS1_3gpuE0ELNS1_3repE0EEENS1_30default_config_static_selectorELNS0_4arch9wavefront6targetE1EEEvT1_,"axG",@progbits,_ZN7rocprim17ROCPRIM_400000_NS6detail17trampoline_kernelINS0_14default_configENS1_25transform_config_selectorIsLb0EEEZNS1_14transform_implILb0ES3_S5_NS0_18transform_iteratorINS0_17counting_iteratorImlEEZNS1_24adjacent_difference_implIS3_Lb1ELb0EPsSB_N6thrust23THRUST_200600_302600_NS5minusIsEEEE10hipError_tPvRmT2_T3_mT4_P12ihipStream_tbEUlmE_sEESB_NS0_8identityIvEEEESG_SJ_SK_mSL_SN_bEUlT_E_NS1_11comp_targetILNS1_3genE0ELNS1_11target_archE4294967295ELNS1_3gpuE0ELNS1_3repE0EEENS1_30default_config_static_selectorELNS0_4arch9wavefront6targetE1EEEvT1_,comdat
	.protected	_ZN7rocprim17ROCPRIM_400000_NS6detail17trampoline_kernelINS0_14default_configENS1_25transform_config_selectorIsLb0EEEZNS1_14transform_implILb0ES3_S5_NS0_18transform_iteratorINS0_17counting_iteratorImlEEZNS1_24adjacent_difference_implIS3_Lb1ELb0EPsSB_N6thrust23THRUST_200600_302600_NS5minusIsEEEE10hipError_tPvRmT2_T3_mT4_P12ihipStream_tbEUlmE_sEESB_NS0_8identityIvEEEESG_SJ_SK_mSL_SN_bEUlT_E_NS1_11comp_targetILNS1_3genE0ELNS1_11target_archE4294967295ELNS1_3gpuE0ELNS1_3repE0EEENS1_30default_config_static_selectorELNS0_4arch9wavefront6targetE1EEEvT1_ ; -- Begin function _ZN7rocprim17ROCPRIM_400000_NS6detail17trampoline_kernelINS0_14default_configENS1_25transform_config_selectorIsLb0EEEZNS1_14transform_implILb0ES3_S5_NS0_18transform_iteratorINS0_17counting_iteratorImlEEZNS1_24adjacent_difference_implIS3_Lb1ELb0EPsSB_N6thrust23THRUST_200600_302600_NS5minusIsEEEE10hipError_tPvRmT2_T3_mT4_P12ihipStream_tbEUlmE_sEESB_NS0_8identityIvEEEESG_SJ_SK_mSL_SN_bEUlT_E_NS1_11comp_targetILNS1_3genE0ELNS1_11target_archE4294967295ELNS1_3gpuE0ELNS1_3repE0EEENS1_30default_config_static_selectorELNS0_4arch9wavefront6targetE1EEEvT1_
	.globl	_ZN7rocprim17ROCPRIM_400000_NS6detail17trampoline_kernelINS0_14default_configENS1_25transform_config_selectorIsLb0EEEZNS1_14transform_implILb0ES3_S5_NS0_18transform_iteratorINS0_17counting_iteratorImlEEZNS1_24adjacent_difference_implIS3_Lb1ELb0EPsSB_N6thrust23THRUST_200600_302600_NS5minusIsEEEE10hipError_tPvRmT2_T3_mT4_P12ihipStream_tbEUlmE_sEESB_NS0_8identityIvEEEESG_SJ_SK_mSL_SN_bEUlT_E_NS1_11comp_targetILNS1_3genE0ELNS1_11target_archE4294967295ELNS1_3gpuE0ELNS1_3repE0EEENS1_30default_config_static_selectorELNS0_4arch9wavefront6targetE1EEEvT1_
	.p2align	8
	.type	_ZN7rocprim17ROCPRIM_400000_NS6detail17trampoline_kernelINS0_14default_configENS1_25transform_config_selectorIsLb0EEEZNS1_14transform_implILb0ES3_S5_NS0_18transform_iteratorINS0_17counting_iteratorImlEEZNS1_24adjacent_difference_implIS3_Lb1ELb0EPsSB_N6thrust23THRUST_200600_302600_NS5minusIsEEEE10hipError_tPvRmT2_T3_mT4_P12ihipStream_tbEUlmE_sEESB_NS0_8identityIvEEEESG_SJ_SK_mSL_SN_bEUlT_E_NS1_11comp_targetILNS1_3genE0ELNS1_11target_archE4294967295ELNS1_3gpuE0ELNS1_3repE0EEENS1_30default_config_static_selectorELNS0_4arch9wavefront6targetE1EEEvT1_,@function
_ZN7rocprim17ROCPRIM_400000_NS6detail17trampoline_kernelINS0_14default_configENS1_25transform_config_selectorIsLb0EEEZNS1_14transform_implILb0ES3_S5_NS0_18transform_iteratorINS0_17counting_iteratorImlEEZNS1_24adjacent_difference_implIS3_Lb1ELb0EPsSB_N6thrust23THRUST_200600_302600_NS5minusIsEEEE10hipError_tPvRmT2_T3_mT4_P12ihipStream_tbEUlmE_sEESB_NS0_8identityIvEEEESG_SJ_SK_mSL_SN_bEUlT_E_NS1_11comp_targetILNS1_3genE0ELNS1_11target_archE4294967295ELNS1_3gpuE0ELNS1_3repE0EEENS1_30default_config_static_selectorELNS0_4arch9wavefront6targetE1EEEvT1_: ; @_ZN7rocprim17ROCPRIM_400000_NS6detail17trampoline_kernelINS0_14default_configENS1_25transform_config_selectorIsLb0EEEZNS1_14transform_implILb0ES3_S5_NS0_18transform_iteratorINS0_17counting_iteratorImlEEZNS1_24adjacent_difference_implIS3_Lb1ELb0EPsSB_N6thrust23THRUST_200600_302600_NS5minusIsEEEE10hipError_tPvRmT2_T3_mT4_P12ihipStream_tbEUlmE_sEESB_NS0_8identityIvEEEESG_SJ_SK_mSL_SN_bEUlT_E_NS1_11comp_targetILNS1_3genE0ELNS1_11target_archE4294967295ELNS1_3gpuE0ELNS1_3repE0EEENS1_30default_config_static_selectorELNS0_4arch9wavefront6targetE1EEEvT1_
; %bb.0:
	.section	.rodata,"a",@progbits
	.p2align	6, 0x0
	.amdhsa_kernel _ZN7rocprim17ROCPRIM_400000_NS6detail17trampoline_kernelINS0_14default_configENS1_25transform_config_selectorIsLb0EEEZNS1_14transform_implILb0ES3_S5_NS0_18transform_iteratorINS0_17counting_iteratorImlEEZNS1_24adjacent_difference_implIS3_Lb1ELb0EPsSB_N6thrust23THRUST_200600_302600_NS5minusIsEEEE10hipError_tPvRmT2_T3_mT4_P12ihipStream_tbEUlmE_sEESB_NS0_8identityIvEEEESG_SJ_SK_mSL_SN_bEUlT_E_NS1_11comp_targetILNS1_3genE0ELNS1_11target_archE4294967295ELNS1_3gpuE0ELNS1_3repE0EEENS1_30default_config_static_selectorELNS0_4arch9wavefront6targetE1EEEvT1_
		.amdhsa_group_segment_fixed_size 0
		.amdhsa_private_segment_fixed_size 0
		.amdhsa_kernarg_size 56
		.amdhsa_user_sgpr_count 6
		.amdhsa_user_sgpr_private_segment_buffer 1
		.amdhsa_user_sgpr_dispatch_ptr 0
		.amdhsa_user_sgpr_queue_ptr 0
		.amdhsa_user_sgpr_kernarg_segment_ptr 1
		.amdhsa_user_sgpr_dispatch_id 0
		.amdhsa_user_sgpr_flat_scratch_init 0
		.amdhsa_user_sgpr_kernarg_preload_length 0
		.amdhsa_user_sgpr_kernarg_preload_offset 0
		.amdhsa_user_sgpr_private_segment_size 0
		.amdhsa_uses_dynamic_stack 0
		.amdhsa_system_sgpr_private_segment_wavefront_offset 0
		.amdhsa_system_sgpr_workgroup_id_x 1
		.amdhsa_system_sgpr_workgroup_id_y 0
		.amdhsa_system_sgpr_workgroup_id_z 0
		.amdhsa_system_sgpr_workgroup_info 0
		.amdhsa_system_vgpr_workitem_id 0
		.amdhsa_next_free_vgpr 1
		.amdhsa_next_free_sgpr 0
		.amdhsa_accum_offset 4
		.amdhsa_reserve_vcc 0
		.amdhsa_reserve_flat_scratch 0
		.amdhsa_float_round_mode_32 0
		.amdhsa_float_round_mode_16_64 0
		.amdhsa_float_denorm_mode_32 3
		.amdhsa_float_denorm_mode_16_64 3
		.amdhsa_dx10_clamp 1
		.amdhsa_ieee_mode 1
		.amdhsa_fp16_overflow 0
		.amdhsa_tg_split 0
		.amdhsa_exception_fp_ieee_invalid_op 0
		.amdhsa_exception_fp_denorm_src 0
		.amdhsa_exception_fp_ieee_div_zero 0
		.amdhsa_exception_fp_ieee_overflow 0
		.amdhsa_exception_fp_ieee_underflow 0
		.amdhsa_exception_fp_ieee_inexact 0
		.amdhsa_exception_int_div_zero 0
	.end_amdhsa_kernel
	.section	.text._ZN7rocprim17ROCPRIM_400000_NS6detail17trampoline_kernelINS0_14default_configENS1_25transform_config_selectorIsLb0EEEZNS1_14transform_implILb0ES3_S5_NS0_18transform_iteratorINS0_17counting_iteratorImlEEZNS1_24adjacent_difference_implIS3_Lb1ELb0EPsSB_N6thrust23THRUST_200600_302600_NS5minusIsEEEE10hipError_tPvRmT2_T3_mT4_P12ihipStream_tbEUlmE_sEESB_NS0_8identityIvEEEESG_SJ_SK_mSL_SN_bEUlT_E_NS1_11comp_targetILNS1_3genE0ELNS1_11target_archE4294967295ELNS1_3gpuE0ELNS1_3repE0EEENS1_30default_config_static_selectorELNS0_4arch9wavefront6targetE1EEEvT1_,"axG",@progbits,_ZN7rocprim17ROCPRIM_400000_NS6detail17trampoline_kernelINS0_14default_configENS1_25transform_config_selectorIsLb0EEEZNS1_14transform_implILb0ES3_S5_NS0_18transform_iteratorINS0_17counting_iteratorImlEEZNS1_24adjacent_difference_implIS3_Lb1ELb0EPsSB_N6thrust23THRUST_200600_302600_NS5minusIsEEEE10hipError_tPvRmT2_T3_mT4_P12ihipStream_tbEUlmE_sEESB_NS0_8identityIvEEEESG_SJ_SK_mSL_SN_bEUlT_E_NS1_11comp_targetILNS1_3genE0ELNS1_11target_archE4294967295ELNS1_3gpuE0ELNS1_3repE0EEENS1_30default_config_static_selectorELNS0_4arch9wavefront6targetE1EEEvT1_,comdat
.Lfunc_end60:
	.size	_ZN7rocprim17ROCPRIM_400000_NS6detail17trampoline_kernelINS0_14default_configENS1_25transform_config_selectorIsLb0EEEZNS1_14transform_implILb0ES3_S5_NS0_18transform_iteratorINS0_17counting_iteratorImlEEZNS1_24adjacent_difference_implIS3_Lb1ELb0EPsSB_N6thrust23THRUST_200600_302600_NS5minusIsEEEE10hipError_tPvRmT2_T3_mT4_P12ihipStream_tbEUlmE_sEESB_NS0_8identityIvEEEESG_SJ_SK_mSL_SN_bEUlT_E_NS1_11comp_targetILNS1_3genE0ELNS1_11target_archE4294967295ELNS1_3gpuE0ELNS1_3repE0EEENS1_30default_config_static_selectorELNS0_4arch9wavefront6targetE1EEEvT1_, .Lfunc_end60-_ZN7rocprim17ROCPRIM_400000_NS6detail17trampoline_kernelINS0_14default_configENS1_25transform_config_selectorIsLb0EEEZNS1_14transform_implILb0ES3_S5_NS0_18transform_iteratorINS0_17counting_iteratorImlEEZNS1_24adjacent_difference_implIS3_Lb1ELb0EPsSB_N6thrust23THRUST_200600_302600_NS5minusIsEEEE10hipError_tPvRmT2_T3_mT4_P12ihipStream_tbEUlmE_sEESB_NS0_8identityIvEEEESG_SJ_SK_mSL_SN_bEUlT_E_NS1_11comp_targetILNS1_3genE0ELNS1_11target_archE4294967295ELNS1_3gpuE0ELNS1_3repE0EEENS1_30default_config_static_selectorELNS0_4arch9wavefront6targetE1EEEvT1_
                                        ; -- End function
	.section	.AMDGPU.csdata,"",@progbits
; Kernel info:
; codeLenInByte = 0
; NumSgprs: 4
; NumVgprs: 0
; NumAgprs: 0
; TotalNumVgprs: 0
; ScratchSize: 0
; MemoryBound: 0
; FloatMode: 240
; IeeeMode: 1
; LDSByteSize: 0 bytes/workgroup (compile time only)
; SGPRBlocks: 0
; VGPRBlocks: 0
; NumSGPRsForWavesPerEU: 4
; NumVGPRsForWavesPerEU: 1
; AccumOffset: 4
; Occupancy: 8
; WaveLimiterHint : 0
; COMPUTE_PGM_RSRC2:SCRATCH_EN: 0
; COMPUTE_PGM_RSRC2:USER_SGPR: 6
; COMPUTE_PGM_RSRC2:TRAP_HANDLER: 0
; COMPUTE_PGM_RSRC2:TGID_X_EN: 1
; COMPUTE_PGM_RSRC2:TGID_Y_EN: 0
; COMPUTE_PGM_RSRC2:TGID_Z_EN: 0
; COMPUTE_PGM_RSRC2:TIDIG_COMP_CNT: 0
; COMPUTE_PGM_RSRC3_GFX90A:ACCUM_OFFSET: 0
; COMPUTE_PGM_RSRC3_GFX90A:TG_SPLIT: 0
	.section	.text._ZN7rocprim17ROCPRIM_400000_NS6detail17trampoline_kernelINS0_14default_configENS1_25transform_config_selectorIsLb0EEEZNS1_14transform_implILb0ES3_S5_NS0_18transform_iteratorINS0_17counting_iteratorImlEEZNS1_24adjacent_difference_implIS3_Lb1ELb0EPsSB_N6thrust23THRUST_200600_302600_NS5minusIsEEEE10hipError_tPvRmT2_T3_mT4_P12ihipStream_tbEUlmE_sEESB_NS0_8identityIvEEEESG_SJ_SK_mSL_SN_bEUlT_E_NS1_11comp_targetILNS1_3genE5ELNS1_11target_archE942ELNS1_3gpuE9ELNS1_3repE0EEENS1_30default_config_static_selectorELNS0_4arch9wavefront6targetE1EEEvT1_,"axG",@progbits,_ZN7rocprim17ROCPRIM_400000_NS6detail17trampoline_kernelINS0_14default_configENS1_25transform_config_selectorIsLb0EEEZNS1_14transform_implILb0ES3_S5_NS0_18transform_iteratorINS0_17counting_iteratorImlEEZNS1_24adjacent_difference_implIS3_Lb1ELb0EPsSB_N6thrust23THRUST_200600_302600_NS5minusIsEEEE10hipError_tPvRmT2_T3_mT4_P12ihipStream_tbEUlmE_sEESB_NS0_8identityIvEEEESG_SJ_SK_mSL_SN_bEUlT_E_NS1_11comp_targetILNS1_3genE5ELNS1_11target_archE942ELNS1_3gpuE9ELNS1_3repE0EEENS1_30default_config_static_selectorELNS0_4arch9wavefront6targetE1EEEvT1_,comdat
	.protected	_ZN7rocprim17ROCPRIM_400000_NS6detail17trampoline_kernelINS0_14default_configENS1_25transform_config_selectorIsLb0EEEZNS1_14transform_implILb0ES3_S5_NS0_18transform_iteratorINS0_17counting_iteratorImlEEZNS1_24adjacent_difference_implIS3_Lb1ELb0EPsSB_N6thrust23THRUST_200600_302600_NS5minusIsEEEE10hipError_tPvRmT2_T3_mT4_P12ihipStream_tbEUlmE_sEESB_NS0_8identityIvEEEESG_SJ_SK_mSL_SN_bEUlT_E_NS1_11comp_targetILNS1_3genE5ELNS1_11target_archE942ELNS1_3gpuE9ELNS1_3repE0EEENS1_30default_config_static_selectorELNS0_4arch9wavefront6targetE1EEEvT1_ ; -- Begin function _ZN7rocprim17ROCPRIM_400000_NS6detail17trampoline_kernelINS0_14default_configENS1_25transform_config_selectorIsLb0EEEZNS1_14transform_implILb0ES3_S5_NS0_18transform_iteratorINS0_17counting_iteratorImlEEZNS1_24adjacent_difference_implIS3_Lb1ELb0EPsSB_N6thrust23THRUST_200600_302600_NS5minusIsEEEE10hipError_tPvRmT2_T3_mT4_P12ihipStream_tbEUlmE_sEESB_NS0_8identityIvEEEESG_SJ_SK_mSL_SN_bEUlT_E_NS1_11comp_targetILNS1_3genE5ELNS1_11target_archE942ELNS1_3gpuE9ELNS1_3repE0EEENS1_30default_config_static_selectorELNS0_4arch9wavefront6targetE1EEEvT1_
	.globl	_ZN7rocprim17ROCPRIM_400000_NS6detail17trampoline_kernelINS0_14default_configENS1_25transform_config_selectorIsLb0EEEZNS1_14transform_implILb0ES3_S5_NS0_18transform_iteratorINS0_17counting_iteratorImlEEZNS1_24adjacent_difference_implIS3_Lb1ELb0EPsSB_N6thrust23THRUST_200600_302600_NS5minusIsEEEE10hipError_tPvRmT2_T3_mT4_P12ihipStream_tbEUlmE_sEESB_NS0_8identityIvEEEESG_SJ_SK_mSL_SN_bEUlT_E_NS1_11comp_targetILNS1_3genE5ELNS1_11target_archE942ELNS1_3gpuE9ELNS1_3repE0EEENS1_30default_config_static_selectorELNS0_4arch9wavefront6targetE1EEEvT1_
	.p2align	8
	.type	_ZN7rocprim17ROCPRIM_400000_NS6detail17trampoline_kernelINS0_14default_configENS1_25transform_config_selectorIsLb0EEEZNS1_14transform_implILb0ES3_S5_NS0_18transform_iteratorINS0_17counting_iteratorImlEEZNS1_24adjacent_difference_implIS3_Lb1ELb0EPsSB_N6thrust23THRUST_200600_302600_NS5minusIsEEEE10hipError_tPvRmT2_T3_mT4_P12ihipStream_tbEUlmE_sEESB_NS0_8identityIvEEEESG_SJ_SK_mSL_SN_bEUlT_E_NS1_11comp_targetILNS1_3genE5ELNS1_11target_archE942ELNS1_3gpuE9ELNS1_3repE0EEENS1_30default_config_static_selectorELNS0_4arch9wavefront6targetE1EEEvT1_,@function
_ZN7rocprim17ROCPRIM_400000_NS6detail17trampoline_kernelINS0_14default_configENS1_25transform_config_selectorIsLb0EEEZNS1_14transform_implILb0ES3_S5_NS0_18transform_iteratorINS0_17counting_iteratorImlEEZNS1_24adjacent_difference_implIS3_Lb1ELb0EPsSB_N6thrust23THRUST_200600_302600_NS5minusIsEEEE10hipError_tPvRmT2_T3_mT4_P12ihipStream_tbEUlmE_sEESB_NS0_8identityIvEEEESG_SJ_SK_mSL_SN_bEUlT_E_NS1_11comp_targetILNS1_3genE5ELNS1_11target_archE942ELNS1_3gpuE9ELNS1_3repE0EEENS1_30default_config_static_selectorELNS0_4arch9wavefront6targetE1EEEvT1_: ; @_ZN7rocprim17ROCPRIM_400000_NS6detail17trampoline_kernelINS0_14default_configENS1_25transform_config_selectorIsLb0EEEZNS1_14transform_implILb0ES3_S5_NS0_18transform_iteratorINS0_17counting_iteratorImlEEZNS1_24adjacent_difference_implIS3_Lb1ELb0EPsSB_N6thrust23THRUST_200600_302600_NS5minusIsEEEE10hipError_tPvRmT2_T3_mT4_P12ihipStream_tbEUlmE_sEESB_NS0_8identityIvEEEESG_SJ_SK_mSL_SN_bEUlT_E_NS1_11comp_targetILNS1_3genE5ELNS1_11target_archE942ELNS1_3gpuE9ELNS1_3repE0EEENS1_30default_config_static_selectorELNS0_4arch9wavefront6targetE1EEEvT1_
; %bb.0:
	.section	.rodata,"a",@progbits
	.p2align	6, 0x0
	.amdhsa_kernel _ZN7rocprim17ROCPRIM_400000_NS6detail17trampoline_kernelINS0_14default_configENS1_25transform_config_selectorIsLb0EEEZNS1_14transform_implILb0ES3_S5_NS0_18transform_iteratorINS0_17counting_iteratorImlEEZNS1_24adjacent_difference_implIS3_Lb1ELb0EPsSB_N6thrust23THRUST_200600_302600_NS5minusIsEEEE10hipError_tPvRmT2_T3_mT4_P12ihipStream_tbEUlmE_sEESB_NS0_8identityIvEEEESG_SJ_SK_mSL_SN_bEUlT_E_NS1_11comp_targetILNS1_3genE5ELNS1_11target_archE942ELNS1_3gpuE9ELNS1_3repE0EEENS1_30default_config_static_selectorELNS0_4arch9wavefront6targetE1EEEvT1_
		.amdhsa_group_segment_fixed_size 0
		.amdhsa_private_segment_fixed_size 0
		.amdhsa_kernarg_size 56
		.amdhsa_user_sgpr_count 6
		.amdhsa_user_sgpr_private_segment_buffer 1
		.amdhsa_user_sgpr_dispatch_ptr 0
		.amdhsa_user_sgpr_queue_ptr 0
		.amdhsa_user_sgpr_kernarg_segment_ptr 1
		.amdhsa_user_sgpr_dispatch_id 0
		.amdhsa_user_sgpr_flat_scratch_init 0
		.amdhsa_user_sgpr_kernarg_preload_length 0
		.amdhsa_user_sgpr_kernarg_preload_offset 0
		.amdhsa_user_sgpr_private_segment_size 0
		.amdhsa_uses_dynamic_stack 0
		.amdhsa_system_sgpr_private_segment_wavefront_offset 0
		.amdhsa_system_sgpr_workgroup_id_x 1
		.amdhsa_system_sgpr_workgroup_id_y 0
		.amdhsa_system_sgpr_workgroup_id_z 0
		.amdhsa_system_sgpr_workgroup_info 0
		.amdhsa_system_vgpr_workitem_id 0
		.amdhsa_next_free_vgpr 1
		.amdhsa_next_free_sgpr 0
		.amdhsa_accum_offset 4
		.amdhsa_reserve_vcc 0
		.amdhsa_reserve_flat_scratch 0
		.amdhsa_float_round_mode_32 0
		.amdhsa_float_round_mode_16_64 0
		.amdhsa_float_denorm_mode_32 3
		.amdhsa_float_denorm_mode_16_64 3
		.amdhsa_dx10_clamp 1
		.amdhsa_ieee_mode 1
		.amdhsa_fp16_overflow 0
		.amdhsa_tg_split 0
		.amdhsa_exception_fp_ieee_invalid_op 0
		.amdhsa_exception_fp_denorm_src 0
		.amdhsa_exception_fp_ieee_div_zero 0
		.amdhsa_exception_fp_ieee_overflow 0
		.amdhsa_exception_fp_ieee_underflow 0
		.amdhsa_exception_fp_ieee_inexact 0
		.amdhsa_exception_int_div_zero 0
	.end_amdhsa_kernel
	.section	.text._ZN7rocprim17ROCPRIM_400000_NS6detail17trampoline_kernelINS0_14default_configENS1_25transform_config_selectorIsLb0EEEZNS1_14transform_implILb0ES3_S5_NS0_18transform_iteratorINS0_17counting_iteratorImlEEZNS1_24adjacent_difference_implIS3_Lb1ELb0EPsSB_N6thrust23THRUST_200600_302600_NS5minusIsEEEE10hipError_tPvRmT2_T3_mT4_P12ihipStream_tbEUlmE_sEESB_NS0_8identityIvEEEESG_SJ_SK_mSL_SN_bEUlT_E_NS1_11comp_targetILNS1_3genE5ELNS1_11target_archE942ELNS1_3gpuE9ELNS1_3repE0EEENS1_30default_config_static_selectorELNS0_4arch9wavefront6targetE1EEEvT1_,"axG",@progbits,_ZN7rocprim17ROCPRIM_400000_NS6detail17trampoline_kernelINS0_14default_configENS1_25transform_config_selectorIsLb0EEEZNS1_14transform_implILb0ES3_S5_NS0_18transform_iteratorINS0_17counting_iteratorImlEEZNS1_24adjacent_difference_implIS3_Lb1ELb0EPsSB_N6thrust23THRUST_200600_302600_NS5minusIsEEEE10hipError_tPvRmT2_T3_mT4_P12ihipStream_tbEUlmE_sEESB_NS0_8identityIvEEEESG_SJ_SK_mSL_SN_bEUlT_E_NS1_11comp_targetILNS1_3genE5ELNS1_11target_archE942ELNS1_3gpuE9ELNS1_3repE0EEENS1_30default_config_static_selectorELNS0_4arch9wavefront6targetE1EEEvT1_,comdat
.Lfunc_end61:
	.size	_ZN7rocprim17ROCPRIM_400000_NS6detail17trampoline_kernelINS0_14default_configENS1_25transform_config_selectorIsLb0EEEZNS1_14transform_implILb0ES3_S5_NS0_18transform_iteratorINS0_17counting_iteratorImlEEZNS1_24adjacent_difference_implIS3_Lb1ELb0EPsSB_N6thrust23THRUST_200600_302600_NS5minusIsEEEE10hipError_tPvRmT2_T3_mT4_P12ihipStream_tbEUlmE_sEESB_NS0_8identityIvEEEESG_SJ_SK_mSL_SN_bEUlT_E_NS1_11comp_targetILNS1_3genE5ELNS1_11target_archE942ELNS1_3gpuE9ELNS1_3repE0EEENS1_30default_config_static_selectorELNS0_4arch9wavefront6targetE1EEEvT1_, .Lfunc_end61-_ZN7rocprim17ROCPRIM_400000_NS6detail17trampoline_kernelINS0_14default_configENS1_25transform_config_selectorIsLb0EEEZNS1_14transform_implILb0ES3_S5_NS0_18transform_iteratorINS0_17counting_iteratorImlEEZNS1_24adjacent_difference_implIS3_Lb1ELb0EPsSB_N6thrust23THRUST_200600_302600_NS5minusIsEEEE10hipError_tPvRmT2_T3_mT4_P12ihipStream_tbEUlmE_sEESB_NS0_8identityIvEEEESG_SJ_SK_mSL_SN_bEUlT_E_NS1_11comp_targetILNS1_3genE5ELNS1_11target_archE942ELNS1_3gpuE9ELNS1_3repE0EEENS1_30default_config_static_selectorELNS0_4arch9wavefront6targetE1EEEvT1_
                                        ; -- End function
	.section	.AMDGPU.csdata,"",@progbits
; Kernel info:
; codeLenInByte = 0
; NumSgprs: 4
; NumVgprs: 0
; NumAgprs: 0
; TotalNumVgprs: 0
; ScratchSize: 0
; MemoryBound: 0
; FloatMode: 240
; IeeeMode: 1
; LDSByteSize: 0 bytes/workgroup (compile time only)
; SGPRBlocks: 0
; VGPRBlocks: 0
; NumSGPRsForWavesPerEU: 4
; NumVGPRsForWavesPerEU: 1
; AccumOffset: 4
; Occupancy: 8
; WaveLimiterHint : 0
; COMPUTE_PGM_RSRC2:SCRATCH_EN: 0
; COMPUTE_PGM_RSRC2:USER_SGPR: 6
; COMPUTE_PGM_RSRC2:TRAP_HANDLER: 0
; COMPUTE_PGM_RSRC2:TGID_X_EN: 1
; COMPUTE_PGM_RSRC2:TGID_Y_EN: 0
; COMPUTE_PGM_RSRC2:TGID_Z_EN: 0
; COMPUTE_PGM_RSRC2:TIDIG_COMP_CNT: 0
; COMPUTE_PGM_RSRC3_GFX90A:ACCUM_OFFSET: 0
; COMPUTE_PGM_RSRC3_GFX90A:TG_SPLIT: 0
	.section	.text._ZN7rocprim17ROCPRIM_400000_NS6detail17trampoline_kernelINS0_14default_configENS1_25transform_config_selectorIsLb0EEEZNS1_14transform_implILb0ES3_S5_NS0_18transform_iteratorINS0_17counting_iteratorImlEEZNS1_24adjacent_difference_implIS3_Lb1ELb0EPsSB_N6thrust23THRUST_200600_302600_NS5minusIsEEEE10hipError_tPvRmT2_T3_mT4_P12ihipStream_tbEUlmE_sEESB_NS0_8identityIvEEEESG_SJ_SK_mSL_SN_bEUlT_E_NS1_11comp_targetILNS1_3genE4ELNS1_11target_archE910ELNS1_3gpuE8ELNS1_3repE0EEENS1_30default_config_static_selectorELNS0_4arch9wavefront6targetE1EEEvT1_,"axG",@progbits,_ZN7rocprim17ROCPRIM_400000_NS6detail17trampoline_kernelINS0_14default_configENS1_25transform_config_selectorIsLb0EEEZNS1_14transform_implILb0ES3_S5_NS0_18transform_iteratorINS0_17counting_iteratorImlEEZNS1_24adjacent_difference_implIS3_Lb1ELb0EPsSB_N6thrust23THRUST_200600_302600_NS5minusIsEEEE10hipError_tPvRmT2_T3_mT4_P12ihipStream_tbEUlmE_sEESB_NS0_8identityIvEEEESG_SJ_SK_mSL_SN_bEUlT_E_NS1_11comp_targetILNS1_3genE4ELNS1_11target_archE910ELNS1_3gpuE8ELNS1_3repE0EEENS1_30default_config_static_selectorELNS0_4arch9wavefront6targetE1EEEvT1_,comdat
	.protected	_ZN7rocprim17ROCPRIM_400000_NS6detail17trampoline_kernelINS0_14default_configENS1_25transform_config_selectorIsLb0EEEZNS1_14transform_implILb0ES3_S5_NS0_18transform_iteratorINS0_17counting_iteratorImlEEZNS1_24adjacent_difference_implIS3_Lb1ELb0EPsSB_N6thrust23THRUST_200600_302600_NS5minusIsEEEE10hipError_tPvRmT2_T3_mT4_P12ihipStream_tbEUlmE_sEESB_NS0_8identityIvEEEESG_SJ_SK_mSL_SN_bEUlT_E_NS1_11comp_targetILNS1_3genE4ELNS1_11target_archE910ELNS1_3gpuE8ELNS1_3repE0EEENS1_30default_config_static_selectorELNS0_4arch9wavefront6targetE1EEEvT1_ ; -- Begin function _ZN7rocprim17ROCPRIM_400000_NS6detail17trampoline_kernelINS0_14default_configENS1_25transform_config_selectorIsLb0EEEZNS1_14transform_implILb0ES3_S5_NS0_18transform_iteratorINS0_17counting_iteratorImlEEZNS1_24adjacent_difference_implIS3_Lb1ELb0EPsSB_N6thrust23THRUST_200600_302600_NS5minusIsEEEE10hipError_tPvRmT2_T3_mT4_P12ihipStream_tbEUlmE_sEESB_NS0_8identityIvEEEESG_SJ_SK_mSL_SN_bEUlT_E_NS1_11comp_targetILNS1_3genE4ELNS1_11target_archE910ELNS1_3gpuE8ELNS1_3repE0EEENS1_30default_config_static_selectorELNS0_4arch9wavefront6targetE1EEEvT1_
	.globl	_ZN7rocprim17ROCPRIM_400000_NS6detail17trampoline_kernelINS0_14default_configENS1_25transform_config_selectorIsLb0EEEZNS1_14transform_implILb0ES3_S5_NS0_18transform_iteratorINS0_17counting_iteratorImlEEZNS1_24adjacent_difference_implIS3_Lb1ELb0EPsSB_N6thrust23THRUST_200600_302600_NS5minusIsEEEE10hipError_tPvRmT2_T3_mT4_P12ihipStream_tbEUlmE_sEESB_NS0_8identityIvEEEESG_SJ_SK_mSL_SN_bEUlT_E_NS1_11comp_targetILNS1_3genE4ELNS1_11target_archE910ELNS1_3gpuE8ELNS1_3repE0EEENS1_30default_config_static_selectorELNS0_4arch9wavefront6targetE1EEEvT1_
	.p2align	8
	.type	_ZN7rocprim17ROCPRIM_400000_NS6detail17trampoline_kernelINS0_14default_configENS1_25transform_config_selectorIsLb0EEEZNS1_14transform_implILb0ES3_S5_NS0_18transform_iteratorINS0_17counting_iteratorImlEEZNS1_24adjacent_difference_implIS3_Lb1ELb0EPsSB_N6thrust23THRUST_200600_302600_NS5minusIsEEEE10hipError_tPvRmT2_T3_mT4_P12ihipStream_tbEUlmE_sEESB_NS0_8identityIvEEEESG_SJ_SK_mSL_SN_bEUlT_E_NS1_11comp_targetILNS1_3genE4ELNS1_11target_archE910ELNS1_3gpuE8ELNS1_3repE0EEENS1_30default_config_static_selectorELNS0_4arch9wavefront6targetE1EEEvT1_,@function
_ZN7rocprim17ROCPRIM_400000_NS6detail17trampoline_kernelINS0_14default_configENS1_25transform_config_selectorIsLb0EEEZNS1_14transform_implILb0ES3_S5_NS0_18transform_iteratorINS0_17counting_iteratorImlEEZNS1_24adjacent_difference_implIS3_Lb1ELb0EPsSB_N6thrust23THRUST_200600_302600_NS5minusIsEEEE10hipError_tPvRmT2_T3_mT4_P12ihipStream_tbEUlmE_sEESB_NS0_8identityIvEEEESG_SJ_SK_mSL_SN_bEUlT_E_NS1_11comp_targetILNS1_3genE4ELNS1_11target_archE910ELNS1_3gpuE8ELNS1_3repE0EEENS1_30default_config_static_selectorELNS0_4arch9wavefront6targetE1EEEvT1_: ; @_ZN7rocprim17ROCPRIM_400000_NS6detail17trampoline_kernelINS0_14default_configENS1_25transform_config_selectorIsLb0EEEZNS1_14transform_implILb0ES3_S5_NS0_18transform_iteratorINS0_17counting_iteratorImlEEZNS1_24adjacent_difference_implIS3_Lb1ELb0EPsSB_N6thrust23THRUST_200600_302600_NS5minusIsEEEE10hipError_tPvRmT2_T3_mT4_P12ihipStream_tbEUlmE_sEESB_NS0_8identityIvEEEESG_SJ_SK_mSL_SN_bEUlT_E_NS1_11comp_targetILNS1_3genE4ELNS1_11target_archE910ELNS1_3gpuE8ELNS1_3repE0EEENS1_30default_config_static_selectorELNS0_4arch9wavefront6targetE1EEEvT1_
; %bb.0:
	s_load_dwordx4 s[0:3], s[4:5], 0x18
	s_load_dwordx2 s[8:9], s[4:5], 0x28
	s_load_dwordx4 s[16:19], s[4:5], 0x0
	s_load_dword s22, s[4:5], 0x10
	s_waitcnt lgkmcnt(0)
	s_load_dword s3, s[4:5], 0x38
                                        ; kill: killed $sgpr4_sgpr5
	s_lshl_b64 s[4:5], s[0:1], 1
	s_add_u32 s26, s8, s4
	s_addc_u32 s27, s9, s5
	s_lshl_b32 s20, s6, 9
	s_waitcnt lgkmcnt(0)
	s_add_i32 s3, s3, -1
	s_add_u32 s4, s16, s20
	s_addc_u32 s5, s17, 0
	s_add_u32 s28, s4, s0
	s_addc_u32 s29, s5, s1
	s_mov_b32 s21, 0
	s_cmp_lg_u32 s6, s3
	v_lshlrev_b32_e32 v1, 1, v0
	s_cbranch_scc0 .LBB62_2
; %bb.1:
	v_mov_b32_e32 v2, s29
	v_add_co_u32_e32 v3, vcc, s28, v0
	v_addc_co_u32_e32 v5, vcc, 0, v2, vcc
	v_mad_u64_u32 v[2:3], s[0:1], v3, s22, 0
	v_mov_b32_e32 v4, v3
	v_mad_u64_u32 v[4:5], s[0:1], v5, s22, v[4:5]
	v_mov_b32_e32 v3, v4
	v_lshlrev_b64 v[2:3], 1, v[2:3]
	s_mov_b32 s23, s21
	v_mov_b32_e32 v4, s19
	v_add_co_u32_e32 v2, vcc, s18, v2
	v_addc_co_u32_e32 v3, vcc, v4, v3, vcc
	s_lshl_b64 s[0:1], s[22:23], 7
	v_mov_b32_e32 v12, s1
	v_add_co_u32_e32 v4, vcc, s0, v2
	v_addc_co_u32_e32 v5, vcc, v3, v12, vcc
	v_add_co_u32_e32 v6, vcc, s0, v4
	v_addc_co_u32_e32 v7, vcc, v5, v12, vcc
	;; [unrolled: 2-line block ×4, first 2 shown]
	global_load_ushort v13, v[2:3], off
	global_load_ushort v14, v[4:5], off
	;; [unrolled: 1-line block ×5, first 2 shown]
	v_add_co_u32_e32 v2, vcc, s0, v10
	v_addc_co_u32_e32 v3, vcc, v11, v12, vcc
	global_load_ushort v4, v[2:3], off
	v_add_co_u32_e32 v2, vcc, s0, v2
	v_addc_co_u32_e32 v3, vcc, v3, v12, vcc
	global_load_ushort v5, v[2:3], off
	;; [unrolled: 3-line block ×3, first 2 shown]
	s_lshl_b64 s[4:5], s[20:21], 1
	s_add_u32 s4, s26, s4
	s_addc_u32 s5, s27, s5
	v_mov_b32_e32 v3, s5
	v_add_co_u32_e32 v6, vcc, s4, v1
	v_addc_co_u32_e32 v7, vcc, 0, v3, vcc
	s_mov_b64 s[16:17], -1
	s_waitcnt vmcnt(7)
	global_store_short v1, v13, s[4:5]
	s_waitcnt vmcnt(7)
	global_store_short v1, v14, s[4:5] offset:128
	s_waitcnt vmcnt(7)
	global_store_short v1, v15, s[4:5] offset:256
	;; [unrolled: 2-line block ×6, first 2 shown]
	s_cbranch_execz .LBB62_3
	s_branch .LBB62_32
.LBB62_2:
	s_mov_b64 s[16:17], 0
                                        ; implicit-def: $vgpr2
                                        ; implicit-def: $vgpr6_vgpr7
.LBB62_3:
	s_sub_i32 s23, s2, s20
	v_cmp_gt_u32_e32 vcc, s23, v0
                                        ; implicit-def: $vgpr2_vgpr3_vgpr4_vgpr5
	s_and_saveexec_b64 s[2:3], vcc
	s_cbranch_execz .LBB62_5
; %bb.4:
	s_waitcnt vmcnt(7)
	v_mov_b32_e32 v2, s29
	v_add_co_u32_e64 v3, s[0:1], s28, v0
	v_addc_co_u32_e64 v5, s[0:1], 0, v2, s[0:1]
	v_mad_u64_u32 v[2:3], s[0:1], v3, s22, 0
	v_mov_b32_e32 v4, v3
	v_mad_u64_u32 v[4:5], s[0:1], v5, s22, v[4:5]
	v_mov_b32_e32 v3, v4
	v_lshlrev_b64 v[2:3], 1, v[2:3]
	v_mov_b32_e32 v4, s19
	v_add_co_u32_e64 v2, s[0:1], s18, v2
	v_addc_co_u32_e64 v3, s[0:1], v4, v3, s[0:1]
	global_load_ushort v2, v[2:3], off
.LBB62_5:
	s_or_b64 exec, exec, s[2:3]
	v_or_b32_e32 v6, 64, v0
	v_cmp_gt_u32_e64 s[0:1], s23, v6
	s_and_saveexec_b64 s[4:5], s[0:1]
	s_cbranch_execz .LBB62_7
; %bb.6:
	v_mov_b32_e32 v7, s29
	v_add_co_u32_e64 v6, s[2:3], s28, v6
	v_addc_co_u32_e64 v9, s[2:3], 0, v7, s[2:3]
	v_mad_u64_u32 v[6:7], s[2:3], v6, s22, 0
	v_mov_b32_e32 v8, v7
	v_mad_u64_u32 v[8:9], s[2:3], v9, s22, v[8:9]
	v_mov_b32_e32 v7, v8
	v_lshlrev_b64 v[6:7], 1, v[6:7]
	v_mov_b32_e32 v8, s19
	v_add_co_u32_e64 v6, s[2:3], s18, v6
	v_addc_co_u32_e64 v7, s[2:3], v8, v7, s[2:3]
	global_load_ushort v6, v[6:7], off
	s_mov_b32 s2, 0x5040100
	s_waitcnt vmcnt(0)
	v_perm_b32 v2, v6, v2, s2
.LBB62_7:
	s_or_b64 exec, exec, s[4:5]
	v_or_b32_e32 v6, 0x80, v0
	v_cmp_gt_u32_e64 s[2:3], s23, v6
	s_and_saveexec_b64 s[6:7], s[2:3]
	s_cbranch_execz .LBB62_9
; %bb.8:
	v_mov_b32_e32 v7, s29
	v_add_co_u32_e64 v6, s[4:5], s28, v6
	v_addc_co_u32_e64 v9, s[4:5], 0, v7, s[4:5]
	v_mad_u64_u32 v[6:7], s[4:5], v6, s22, 0
	v_mov_b32_e32 v8, v7
	v_mad_u64_u32 v[8:9], s[4:5], v9, s22, v[8:9]
	v_mov_b32_e32 v7, v8
	v_lshlrev_b64 v[6:7], 1, v[6:7]
	v_mov_b32_e32 v8, s19
	v_add_co_u32_e64 v6, s[4:5], s18, v6
	v_addc_co_u32_e64 v7, s[4:5], v8, v7, s[4:5]
	global_load_ushort v6, v[6:7], off
	s_mov_b32 s4, 0xffff
	s_waitcnt vmcnt(0)
	v_bfi_b32 v3, s4, v6, v3
.LBB62_9:
	s_or_b64 exec, exec, s[6:7]
	v_or_b32_e32 v6, 0xc0, v0
	v_cmp_gt_u32_e64 s[4:5], s23, v6
	s_and_saveexec_b64 s[8:9], s[4:5]
	s_cbranch_execz .LBB62_11
; %bb.10:
	v_mov_b32_e32 v7, s29
	v_add_co_u32_e64 v6, s[6:7], s28, v6
	v_addc_co_u32_e64 v9, s[6:7], 0, v7, s[6:7]
	v_mad_u64_u32 v[6:7], s[6:7], v6, s22, 0
	v_mov_b32_e32 v8, v7
	v_mad_u64_u32 v[8:9], s[6:7], v9, s22, v[8:9]
	v_mov_b32_e32 v7, v8
	v_lshlrev_b64 v[6:7], 1, v[6:7]
	v_mov_b32_e32 v8, s19
	v_add_co_u32_e64 v6, s[6:7], s18, v6
	v_addc_co_u32_e64 v7, s[6:7], v8, v7, s[6:7]
	global_load_ushort v6, v[6:7], off
	s_mov_b32 s6, 0x5040100
	s_waitcnt vmcnt(0)
	v_perm_b32 v3, v6, v3, s6
.LBB62_11:
	s_or_b64 exec, exec, s[8:9]
	v_or_b32_e32 v6, 0x100, v0
	v_cmp_gt_u32_e64 s[6:7], s23, v6
	s_and_saveexec_b64 s[10:11], s[6:7]
	s_cbranch_execz .LBB62_13
; %bb.12:
	v_mov_b32_e32 v7, s29
	v_add_co_u32_e64 v6, s[8:9], s28, v6
	v_addc_co_u32_e64 v9, s[8:9], 0, v7, s[8:9]
	v_mad_u64_u32 v[6:7], s[8:9], v6, s22, 0
	v_mov_b32_e32 v8, v7
	v_mad_u64_u32 v[8:9], s[8:9], v9, s22, v[8:9]
	v_mov_b32_e32 v7, v8
	v_lshlrev_b64 v[6:7], 1, v[6:7]
	v_mov_b32_e32 v8, s19
	v_add_co_u32_e64 v6, s[8:9], s18, v6
	v_addc_co_u32_e64 v7, s[8:9], v8, v7, s[8:9]
	global_load_ushort v6, v[6:7], off
	s_mov_b32 s8, 0xffff
	s_waitcnt vmcnt(0)
	v_bfi_b32 v4, s8, v6, v4
.LBB62_13:
	;; [unrolled: 44-line block ×3, first 2 shown]
	s_or_b64 exec, exec, s[14:15]
	v_or_b32_e32 v0, 0x1c0, v0
	v_cmp_gt_u32_e64 s[12:13], s23, v0
	s_and_saveexec_b64 s[24:25], s[12:13]
	s_cbranch_execz .LBB62_19
; %bb.18:
	v_mov_b32_e32 v6, s29
	v_add_co_u32_e64 v0, s[14:15], s28, v0
	v_addc_co_u32_e64 v8, s[14:15], 0, v6, s[14:15]
	v_mad_u64_u32 v[6:7], s[14:15], v0, s22, 0
	v_mov_b32_e32 v0, v7
	v_mad_u64_u32 v[8:9], s[14:15], v8, s22, v[0:1]
	v_mov_b32_e32 v7, v8
	v_lshlrev_b64 v[6:7], 1, v[6:7]
	v_mov_b32_e32 v0, s19
	v_add_co_u32_e64 v6, s[14:15], s18, v6
	v_addc_co_u32_e64 v7, s[14:15], v0, v7, s[14:15]
	global_load_ushort v0, v[6:7], off
	s_mov_b32 s14, 0x5040100
	s_waitcnt vmcnt(0)
	v_perm_b32 v5, v0, v5, s14
.LBB62_19:
	s_or_b64 exec, exec, s[24:25]
	s_lshl_b64 s[14:15], s[20:21], 1
	s_add_u32 s14, s26, s14
	s_addc_u32 s15, s27, s15
	v_mov_b32_e32 v0, s15
	v_add_co_u32_e64 v6, s[14:15], s14, v1
	v_addc_co_u32_e64 v7, s[14:15], 0, v0, s[14:15]
	s_and_saveexec_b64 s[14:15], vcc
	s_cbranch_execnz .LBB62_35
; %bb.20:
	s_or_b64 exec, exec, s[14:15]
	s_and_saveexec_b64 s[14:15], s[0:1]
	s_cbranch_execnz .LBB62_36
.LBB62_21:
	s_or_b64 exec, exec, s[14:15]
	s_mov_b32 s14, 0xffff
	s_and_saveexec_b64 s[0:1], s[2:3]
	s_cbranch_execz .LBB62_23
.LBB62_22:
	global_store_short v[6:7], v3, off offset:256
.LBB62_23:
	s_or_b64 exec, exec, s[0:1]
	v_bfi_b32 v0, s14, v3, v3
	v_cndmask_b32_e64 v0, v0, v3, s[4:5]
	s_and_saveexec_b64 s[0:1], s[4:5]
	s_cbranch_execz .LBB62_25
; %bb.24:
	global_store_short_d16_hi v[6:7], v0, off offset:384
.LBB62_25:
	s_or_b64 exec, exec, s[0:1]
	s_mov_b32 s2, 0xffff
	v_cndmask_b32_e64 v0, v4, v4, s[6:7]
	s_and_saveexec_b64 s[0:1], s[6:7]
	s_cbranch_execz .LBB62_27
; %bb.26:
	global_store_short v[6:7], v0, off offset:512
.LBB62_27:
	s_or_b64 exec, exec, s[0:1]
	v_bfi_b32 v0, s2, v0, v4
	v_cndmask_b32_e64 v0, v0, v4, s[8:9]
	s_and_saveexec_b64 s[0:1], s[8:9]
	s_cbranch_execnz .LBB62_37
; %bb.28:
	s_or_b64 exec, exec, s[0:1]
	s_and_saveexec_b64 s[0:1], s[10:11]
	s_cbranch_execnz .LBB62_38
.LBB62_29:
	s_or_b64 exec, exec, s[0:1]
                                        ; implicit-def: $vgpr2
	s_and_saveexec_b64 s[0:1], s[12:13]
	s_cbranch_execz .LBB62_31
.LBB62_30:
	v_cndmask_b32_e64 v0, v5, v5, s[12:13]
	s_waitcnt vmcnt(0)
	v_lshrrev_b32_e32 v2, 16, v0
	s_or_b64 s[16:17], s[16:17], exec
.LBB62_31:
	s_or_b64 exec, exec, s[0:1]
.LBB62_32:
	s_and_saveexec_b64 s[0:1], s[16:17]
	s_cbranch_execnz .LBB62_34
; %bb.33:
	s_endpgm
.LBB62_34:
	s_waitcnt vmcnt(0)
	global_store_short v[6:7], v2, off offset:896
	s_endpgm
.LBB62_35:
	s_waitcnt vmcnt(0)
	global_store_short v[6:7], v2, off
	s_or_b64 exec, exec, s[14:15]
	s_and_saveexec_b64 s[14:15], s[0:1]
	s_cbranch_execz .LBB62_21
.LBB62_36:
	s_waitcnt vmcnt(0)
	global_store_short_d16_hi v[6:7], v2, off offset:128
	s_or_b64 exec, exec, s[14:15]
	s_mov_b32 s14, 0xffff
	s_and_saveexec_b64 s[0:1], s[2:3]
	s_cbranch_execnz .LBB62_22
	s_branch .LBB62_23
.LBB62_37:
	global_store_short_d16_hi v[6:7], v0, off offset:640
	s_or_b64 exec, exec, s[0:1]
	s_and_saveexec_b64 s[0:1], s[10:11]
	s_cbranch_execz .LBB62_29
.LBB62_38:
	v_cndmask_b32_e64 v0, v5, v5, s[10:11]
	global_store_short v[6:7], v0, off offset:768
	s_or_b64 exec, exec, s[0:1]
                                        ; implicit-def: $vgpr2
	s_and_saveexec_b64 s[0:1], s[12:13]
	s_cbranch_execnz .LBB62_30
	s_branch .LBB62_31
	.section	.rodata,"a",@progbits
	.p2align	6, 0x0
	.amdhsa_kernel _ZN7rocprim17ROCPRIM_400000_NS6detail17trampoline_kernelINS0_14default_configENS1_25transform_config_selectorIsLb0EEEZNS1_14transform_implILb0ES3_S5_NS0_18transform_iteratorINS0_17counting_iteratorImlEEZNS1_24adjacent_difference_implIS3_Lb1ELb0EPsSB_N6thrust23THRUST_200600_302600_NS5minusIsEEEE10hipError_tPvRmT2_T3_mT4_P12ihipStream_tbEUlmE_sEESB_NS0_8identityIvEEEESG_SJ_SK_mSL_SN_bEUlT_E_NS1_11comp_targetILNS1_3genE4ELNS1_11target_archE910ELNS1_3gpuE8ELNS1_3repE0EEENS1_30default_config_static_selectorELNS0_4arch9wavefront6targetE1EEEvT1_
		.amdhsa_group_segment_fixed_size 0
		.amdhsa_private_segment_fixed_size 0
		.amdhsa_kernarg_size 312
		.amdhsa_user_sgpr_count 6
		.amdhsa_user_sgpr_private_segment_buffer 1
		.amdhsa_user_sgpr_dispatch_ptr 0
		.amdhsa_user_sgpr_queue_ptr 0
		.amdhsa_user_sgpr_kernarg_segment_ptr 1
		.amdhsa_user_sgpr_dispatch_id 0
		.amdhsa_user_sgpr_flat_scratch_init 0
		.amdhsa_user_sgpr_kernarg_preload_length 0
		.amdhsa_user_sgpr_kernarg_preload_offset 0
		.amdhsa_user_sgpr_private_segment_size 0
		.amdhsa_uses_dynamic_stack 0
		.amdhsa_system_sgpr_private_segment_wavefront_offset 0
		.amdhsa_system_sgpr_workgroup_id_x 1
		.amdhsa_system_sgpr_workgroup_id_y 0
		.amdhsa_system_sgpr_workgroup_id_z 0
		.amdhsa_system_sgpr_workgroup_info 0
		.amdhsa_system_vgpr_workitem_id 0
		.amdhsa_next_free_vgpr 18
		.amdhsa_next_free_sgpr 30
		.amdhsa_accum_offset 20
		.amdhsa_reserve_vcc 1
		.amdhsa_reserve_flat_scratch 0
		.amdhsa_float_round_mode_32 0
		.amdhsa_float_round_mode_16_64 0
		.amdhsa_float_denorm_mode_32 3
		.amdhsa_float_denorm_mode_16_64 3
		.amdhsa_dx10_clamp 1
		.amdhsa_ieee_mode 1
		.amdhsa_fp16_overflow 0
		.amdhsa_tg_split 0
		.amdhsa_exception_fp_ieee_invalid_op 0
		.amdhsa_exception_fp_denorm_src 0
		.amdhsa_exception_fp_ieee_div_zero 0
		.amdhsa_exception_fp_ieee_overflow 0
		.amdhsa_exception_fp_ieee_underflow 0
		.amdhsa_exception_fp_ieee_inexact 0
		.amdhsa_exception_int_div_zero 0
	.end_amdhsa_kernel
	.section	.text._ZN7rocprim17ROCPRIM_400000_NS6detail17trampoline_kernelINS0_14default_configENS1_25transform_config_selectorIsLb0EEEZNS1_14transform_implILb0ES3_S5_NS0_18transform_iteratorINS0_17counting_iteratorImlEEZNS1_24adjacent_difference_implIS3_Lb1ELb0EPsSB_N6thrust23THRUST_200600_302600_NS5minusIsEEEE10hipError_tPvRmT2_T3_mT4_P12ihipStream_tbEUlmE_sEESB_NS0_8identityIvEEEESG_SJ_SK_mSL_SN_bEUlT_E_NS1_11comp_targetILNS1_3genE4ELNS1_11target_archE910ELNS1_3gpuE8ELNS1_3repE0EEENS1_30default_config_static_selectorELNS0_4arch9wavefront6targetE1EEEvT1_,"axG",@progbits,_ZN7rocprim17ROCPRIM_400000_NS6detail17trampoline_kernelINS0_14default_configENS1_25transform_config_selectorIsLb0EEEZNS1_14transform_implILb0ES3_S5_NS0_18transform_iteratorINS0_17counting_iteratorImlEEZNS1_24adjacent_difference_implIS3_Lb1ELb0EPsSB_N6thrust23THRUST_200600_302600_NS5minusIsEEEE10hipError_tPvRmT2_T3_mT4_P12ihipStream_tbEUlmE_sEESB_NS0_8identityIvEEEESG_SJ_SK_mSL_SN_bEUlT_E_NS1_11comp_targetILNS1_3genE4ELNS1_11target_archE910ELNS1_3gpuE8ELNS1_3repE0EEENS1_30default_config_static_selectorELNS0_4arch9wavefront6targetE1EEEvT1_,comdat
.Lfunc_end62:
	.size	_ZN7rocprim17ROCPRIM_400000_NS6detail17trampoline_kernelINS0_14default_configENS1_25transform_config_selectorIsLb0EEEZNS1_14transform_implILb0ES3_S5_NS0_18transform_iteratorINS0_17counting_iteratorImlEEZNS1_24adjacent_difference_implIS3_Lb1ELb0EPsSB_N6thrust23THRUST_200600_302600_NS5minusIsEEEE10hipError_tPvRmT2_T3_mT4_P12ihipStream_tbEUlmE_sEESB_NS0_8identityIvEEEESG_SJ_SK_mSL_SN_bEUlT_E_NS1_11comp_targetILNS1_3genE4ELNS1_11target_archE910ELNS1_3gpuE8ELNS1_3repE0EEENS1_30default_config_static_selectorELNS0_4arch9wavefront6targetE1EEEvT1_, .Lfunc_end62-_ZN7rocprim17ROCPRIM_400000_NS6detail17trampoline_kernelINS0_14default_configENS1_25transform_config_selectorIsLb0EEEZNS1_14transform_implILb0ES3_S5_NS0_18transform_iteratorINS0_17counting_iteratorImlEEZNS1_24adjacent_difference_implIS3_Lb1ELb0EPsSB_N6thrust23THRUST_200600_302600_NS5minusIsEEEE10hipError_tPvRmT2_T3_mT4_P12ihipStream_tbEUlmE_sEESB_NS0_8identityIvEEEESG_SJ_SK_mSL_SN_bEUlT_E_NS1_11comp_targetILNS1_3genE4ELNS1_11target_archE910ELNS1_3gpuE8ELNS1_3repE0EEENS1_30default_config_static_selectorELNS0_4arch9wavefront6targetE1EEEvT1_
                                        ; -- End function
	.section	.AMDGPU.csdata,"",@progbits
; Kernel info:
; codeLenInByte = 1776
; NumSgprs: 34
; NumVgprs: 18
; NumAgprs: 0
; TotalNumVgprs: 18
; ScratchSize: 0
; MemoryBound: 0
; FloatMode: 240
; IeeeMode: 1
; LDSByteSize: 0 bytes/workgroup (compile time only)
; SGPRBlocks: 4
; VGPRBlocks: 2
; NumSGPRsForWavesPerEU: 34
; NumVGPRsForWavesPerEU: 18
; AccumOffset: 20
; Occupancy: 8
; WaveLimiterHint : 1
; COMPUTE_PGM_RSRC2:SCRATCH_EN: 0
; COMPUTE_PGM_RSRC2:USER_SGPR: 6
; COMPUTE_PGM_RSRC2:TRAP_HANDLER: 0
; COMPUTE_PGM_RSRC2:TGID_X_EN: 1
; COMPUTE_PGM_RSRC2:TGID_Y_EN: 0
; COMPUTE_PGM_RSRC2:TGID_Z_EN: 0
; COMPUTE_PGM_RSRC2:TIDIG_COMP_CNT: 0
; COMPUTE_PGM_RSRC3_GFX90A:ACCUM_OFFSET: 4
; COMPUTE_PGM_RSRC3_GFX90A:TG_SPLIT: 0
	.section	.text._ZN7rocprim17ROCPRIM_400000_NS6detail17trampoline_kernelINS0_14default_configENS1_25transform_config_selectorIsLb0EEEZNS1_14transform_implILb0ES3_S5_NS0_18transform_iteratorINS0_17counting_iteratorImlEEZNS1_24adjacent_difference_implIS3_Lb1ELb0EPsSB_N6thrust23THRUST_200600_302600_NS5minusIsEEEE10hipError_tPvRmT2_T3_mT4_P12ihipStream_tbEUlmE_sEESB_NS0_8identityIvEEEESG_SJ_SK_mSL_SN_bEUlT_E_NS1_11comp_targetILNS1_3genE3ELNS1_11target_archE908ELNS1_3gpuE7ELNS1_3repE0EEENS1_30default_config_static_selectorELNS0_4arch9wavefront6targetE1EEEvT1_,"axG",@progbits,_ZN7rocprim17ROCPRIM_400000_NS6detail17trampoline_kernelINS0_14default_configENS1_25transform_config_selectorIsLb0EEEZNS1_14transform_implILb0ES3_S5_NS0_18transform_iteratorINS0_17counting_iteratorImlEEZNS1_24adjacent_difference_implIS3_Lb1ELb0EPsSB_N6thrust23THRUST_200600_302600_NS5minusIsEEEE10hipError_tPvRmT2_T3_mT4_P12ihipStream_tbEUlmE_sEESB_NS0_8identityIvEEEESG_SJ_SK_mSL_SN_bEUlT_E_NS1_11comp_targetILNS1_3genE3ELNS1_11target_archE908ELNS1_3gpuE7ELNS1_3repE0EEENS1_30default_config_static_selectorELNS0_4arch9wavefront6targetE1EEEvT1_,comdat
	.protected	_ZN7rocprim17ROCPRIM_400000_NS6detail17trampoline_kernelINS0_14default_configENS1_25transform_config_selectorIsLb0EEEZNS1_14transform_implILb0ES3_S5_NS0_18transform_iteratorINS0_17counting_iteratorImlEEZNS1_24adjacent_difference_implIS3_Lb1ELb0EPsSB_N6thrust23THRUST_200600_302600_NS5minusIsEEEE10hipError_tPvRmT2_T3_mT4_P12ihipStream_tbEUlmE_sEESB_NS0_8identityIvEEEESG_SJ_SK_mSL_SN_bEUlT_E_NS1_11comp_targetILNS1_3genE3ELNS1_11target_archE908ELNS1_3gpuE7ELNS1_3repE0EEENS1_30default_config_static_selectorELNS0_4arch9wavefront6targetE1EEEvT1_ ; -- Begin function _ZN7rocprim17ROCPRIM_400000_NS6detail17trampoline_kernelINS0_14default_configENS1_25transform_config_selectorIsLb0EEEZNS1_14transform_implILb0ES3_S5_NS0_18transform_iteratorINS0_17counting_iteratorImlEEZNS1_24adjacent_difference_implIS3_Lb1ELb0EPsSB_N6thrust23THRUST_200600_302600_NS5minusIsEEEE10hipError_tPvRmT2_T3_mT4_P12ihipStream_tbEUlmE_sEESB_NS0_8identityIvEEEESG_SJ_SK_mSL_SN_bEUlT_E_NS1_11comp_targetILNS1_3genE3ELNS1_11target_archE908ELNS1_3gpuE7ELNS1_3repE0EEENS1_30default_config_static_selectorELNS0_4arch9wavefront6targetE1EEEvT1_
	.globl	_ZN7rocprim17ROCPRIM_400000_NS6detail17trampoline_kernelINS0_14default_configENS1_25transform_config_selectorIsLb0EEEZNS1_14transform_implILb0ES3_S5_NS0_18transform_iteratorINS0_17counting_iteratorImlEEZNS1_24adjacent_difference_implIS3_Lb1ELb0EPsSB_N6thrust23THRUST_200600_302600_NS5minusIsEEEE10hipError_tPvRmT2_T3_mT4_P12ihipStream_tbEUlmE_sEESB_NS0_8identityIvEEEESG_SJ_SK_mSL_SN_bEUlT_E_NS1_11comp_targetILNS1_3genE3ELNS1_11target_archE908ELNS1_3gpuE7ELNS1_3repE0EEENS1_30default_config_static_selectorELNS0_4arch9wavefront6targetE1EEEvT1_
	.p2align	8
	.type	_ZN7rocprim17ROCPRIM_400000_NS6detail17trampoline_kernelINS0_14default_configENS1_25transform_config_selectorIsLb0EEEZNS1_14transform_implILb0ES3_S5_NS0_18transform_iteratorINS0_17counting_iteratorImlEEZNS1_24adjacent_difference_implIS3_Lb1ELb0EPsSB_N6thrust23THRUST_200600_302600_NS5minusIsEEEE10hipError_tPvRmT2_T3_mT4_P12ihipStream_tbEUlmE_sEESB_NS0_8identityIvEEEESG_SJ_SK_mSL_SN_bEUlT_E_NS1_11comp_targetILNS1_3genE3ELNS1_11target_archE908ELNS1_3gpuE7ELNS1_3repE0EEENS1_30default_config_static_selectorELNS0_4arch9wavefront6targetE1EEEvT1_,@function
_ZN7rocprim17ROCPRIM_400000_NS6detail17trampoline_kernelINS0_14default_configENS1_25transform_config_selectorIsLb0EEEZNS1_14transform_implILb0ES3_S5_NS0_18transform_iteratorINS0_17counting_iteratorImlEEZNS1_24adjacent_difference_implIS3_Lb1ELb0EPsSB_N6thrust23THRUST_200600_302600_NS5minusIsEEEE10hipError_tPvRmT2_T3_mT4_P12ihipStream_tbEUlmE_sEESB_NS0_8identityIvEEEESG_SJ_SK_mSL_SN_bEUlT_E_NS1_11comp_targetILNS1_3genE3ELNS1_11target_archE908ELNS1_3gpuE7ELNS1_3repE0EEENS1_30default_config_static_selectorELNS0_4arch9wavefront6targetE1EEEvT1_: ; @_ZN7rocprim17ROCPRIM_400000_NS6detail17trampoline_kernelINS0_14default_configENS1_25transform_config_selectorIsLb0EEEZNS1_14transform_implILb0ES3_S5_NS0_18transform_iteratorINS0_17counting_iteratorImlEEZNS1_24adjacent_difference_implIS3_Lb1ELb0EPsSB_N6thrust23THRUST_200600_302600_NS5minusIsEEEE10hipError_tPvRmT2_T3_mT4_P12ihipStream_tbEUlmE_sEESB_NS0_8identityIvEEEESG_SJ_SK_mSL_SN_bEUlT_E_NS1_11comp_targetILNS1_3genE3ELNS1_11target_archE908ELNS1_3gpuE7ELNS1_3repE0EEENS1_30default_config_static_selectorELNS0_4arch9wavefront6targetE1EEEvT1_
; %bb.0:
	.section	.rodata,"a",@progbits
	.p2align	6, 0x0
	.amdhsa_kernel _ZN7rocprim17ROCPRIM_400000_NS6detail17trampoline_kernelINS0_14default_configENS1_25transform_config_selectorIsLb0EEEZNS1_14transform_implILb0ES3_S5_NS0_18transform_iteratorINS0_17counting_iteratorImlEEZNS1_24adjacent_difference_implIS3_Lb1ELb0EPsSB_N6thrust23THRUST_200600_302600_NS5minusIsEEEE10hipError_tPvRmT2_T3_mT4_P12ihipStream_tbEUlmE_sEESB_NS0_8identityIvEEEESG_SJ_SK_mSL_SN_bEUlT_E_NS1_11comp_targetILNS1_3genE3ELNS1_11target_archE908ELNS1_3gpuE7ELNS1_3repE0EEENS1_30default_config_static_selectorELNS0_4arch9wavefront6targetE1EEEvT1_
		.amdhsa_group_segment_fixed_size 0
		.amdhsa_private_segment_fixed_size 0
		.amdhsa_kernarg_size 56
		.amdhsa_user_sgpr_count 6
		.amdhsa_user_sgpr_private_segment_buffer 1
		.amdhsa_user_sgpr_dispatch_ptr 0
		.amdhsa_user_sgpr_queue_ptr 0
		.amdhsa_user_sgpr_kernarg_segment_ptr 1
		.amdhsa_user_sgpr_dispatch_id 0
		.amdhsa_user_sgpr_flat_scratch_init 0
		.amdhsa_user_sgpr_kernarg_preload_length 0
		.amdhsa_user_sgpr_kernarg_preload_offset 0
		.amdhsa_user_sgpr_private_segment_size 0
		.amdhsa_uses_dynamic_stack 0
		.amdhsa_system_sgpr_private_segment_wavefront_offset 0
		.amdhsa_system_sgpr_workgroup_id_x 1
		.amdhsa_system_sgpr_workgroup_id_y 0
		.amdhsa_system_sgpr_workgroup_id_z 0
		.amdhsa_system_sgpr_workgroup_info 0
		.amdhsa_system_vgpr_workitem_id 0
		.amdhsa_next_free_vgpr 1
		.amdhsa_next_free_sgpr 0
		.amdhsa_accum_offset 4
		.amdhsa_reserve_vcc 0
		.amdhsa_reserve_flat_scratch 0
		.amdhsa_float_round_mode_32 0
		.amdhsa_float_round_mode_16_64 0
		.amdhsa_float_denorm_mode_32 3
		.amdhsa_float_denorm_mode_16_64 3
		.amdhsa_dx10_clamp 1
		.amdhsa_ieee_mode 1
		.amdhsa_fp16_overflow 0
		.amdhsa_tg_split 0
		.amdhsa_exception_fp_ieee_invalid_op 0
		.amdhsa_exception_fp_denorm_src 0
		.amdhsa_exception_fp_ieee_div_zero 0
		.amdhsa_exception_fp_ieee_overflow 0
		.amdhsa_exception_fp_ieee_underflow 0
		.amdhsa_exception_fp_ieee_inexact 0
		.amdhsa_exception_int_div_zero 0
	.end_amdhsa_kernel
	.section	.text._ZN7rocprim17ROCPRIM_400000_NS6detail17trampoline_kernelINS0_14default_configENS1_25transform_config_selectorIsLb0EEEZNS1_14transform_implILb0ES3_S5_NS0_18transform_iteratorINS0_17counting_iteratorImlEEZNS1_24adjacent_difference_implIS3_Lb1ELb0EPsSB_N6thrust23THRUST_200600_302600_NS5minusIsEEEE10hipError_tPvRmT2_T3_mT4_P12ihipStream_tbEUlmE_sEESB_NS0_8identityIvEEEESG_SJ_SK_mSL_SN_bEUlT_E_NS1_11comp_targetILNS1_3genE3ELNS1_11target_archE908ELNS1_3gpuE7ELNS1_3repE0EEENS1_30default_config_static_selectorELNS0_4arch9wavefront6targetE1EEEvT1_,"axG",@progbits,_ZN7rocprim17ROCPRIM_400000_NS6detail17trampoline_kernelINS0_14default_configENS1_25transform_config_selectorIsLb0EEEZNS1_14transform_implILb0ES3_S5_NS0_18transform_iteratorINS0_17counting_iteratorImlEEZNS1_24adjacent_difference_implIS3_Lb1ELb0EPsSB_N6thrust23THRUST_200600_302600_NS5minusIsEEEE10hipError_tPvRmT2_T3_mT4_P12ihipStream_tbEUlmE_sEESB_NS0_8identityIvEEEESG_SJ_SK_mSL_SN_bEUlT_E_NS1_11comp_targetILNS1_3genE3ELNS1_11target_archE908ELNS1_3gpuE7ELNS1_3repE0EEENS1_30default_config_static_selectorELNS0_4arch9wavefront6targetE1EEEvT1_,comdat
.Lfunc_end63:
	.size	_ZN7rocprim17ROCPRIM_400000_NS6detail17trampoline_kernelINS0_14default_configENS1_25transform_config_selectorIsLb0EEEZNS1_14transform_implILb0ES3_S5_NS0_18transform_iteratorINS0_17counting_iteratorImlEEZNS1_24adjacent_difference_implIS3_Lb1ELb0EPsSB_N6thrust23THRUST_200600_302600_NS5minusIsEEEE10hipError_tPvRmT2_T3_mT4_P12ihipStream_tbEUlmE_sEESB_NS0_8identityIvEEEESG_SJ_SK_mSL_SN_bEUlT_E_NS1_11comp_targetILNS1_3genE3ELNS1_11target_archE908ELNS1_3gpuE7ELNS1_3repE0EEENS1_30default_config_static_selectorELNS0_4arch9wavefront6targetE1EEEvT1_, .Lfunc_end63-_ZN7rocprim17ROCPRIM_400000_NS6detail17trampoline_kernelINS0_14default_configENS1_25transform_config_selectorIsLb0EEEZNS1_14transform_implILb0ES3_S5_NS0_18transform_iteratorINS0_17counting_iteratorImlEEZNS1_24adjacent_difference_implIS3_Lb1ELb0EPsSB_N6thrust23THRUST_200600_302600_NS5minusIsEEEE10hipError_tPvRmT2_T3_mT4_P12ihipStream_tbEUlmE_sEESB_NS0_8identityIvEEEESG_SJ_SK_mSL_SN_bEUlT_E_NS1_11comp_targetILNS1_3genE3ELNS1_11target_archE908ELNS1_3gpuE7ELNS1_3repE0EEENS1_30default_config_static_selectorELNS0_4arch9wavefront6targetE1EEEvT1_
                                        ; -- End function
	.section	.AMDGPU.csdata,"",@progbits
; Kernel info:
; codeLenInByte = 0
; NumSgprs: 4
; NumVgprs: 0
; NumAgprs: 0
; TotalNumVgprs: 0
; ScratchSize: 0
; MemoryBound: 0
; FloatMode: 240
; IeeeMode: 1
; LDSByteSize: 0 bytes/workgroup (compile time only)
; SGPRBlocks: 0
; VGPRBlocks: 0
; NumSGPRsForWavesPerEU: 4
; NumVGPRsForWavesPerEU: 1
; AccumOffset: 4
; Occupancy: 8
; WaveLimiterHint : 0
; COMPUTE_PGM_RSRC2:SCRATCH_EN: 0
; COMPUTE_PGM_RSRC2:USER_SGPR: 6
; COMPUTE_PGM_RSRC2:TRAP_HANDLER: 0
; COMPUTE_PGM_RSRC2:TGID_X_EN: 1
; COMPUTE_PGM_RSRC2:TGID_Y_EN: 0
; COMPUTE_PGM_RSRC2:TGID_Z_EN: 0
; COMPUTE_PGM_RSRC2:TIDIG_COMP_CNT: 0
; COMPUTE_PGM_RSRC3_GFX90A:ACCUM_OFFSET: 0
; COMPUTE_PGM_RSRC3_GFX90A:TG_SPLIT: 0
	.section	.text._ZN7rocprim17ROCPRIM_400000_NS6detail17trampoline_kernelINS0_14default_configENS1_25transform_config_selectorIsLb0EEEZNS1_14transform_implILb0ES3_S5_NS0_18transform_iteratorINS0_17counting_iteratorImlEEZNS1_24adjacent_difference_implIS3_Lb1ELb0EPsSB_N6thrust23THRUST_200600_302600_NS5minusIsEEEE10hipError_tPvRmT2_T3_mT4_P12ihipStream_tbEUlmE_sEESB_NS0_8identityIvEEEESG_SJ_SK_mSL_SN_bEUlT_E_NS1_11comp_targetILNS1_3genE2ELNS1_11target_archE906ELNS1_3gpuE6ELNS1_3repE0EEENS1_30default_config_static_selectorELNS0_4arch9wavefront6targetE1EEEvT1_,"axG",@progbits,_ZN7rocprim17ROCPRIM_400000_NS6detail17trampoline_kernelINS0_14default_configENS1_25transform_config_selectorIsLb0EEEZNS1_14transform_implILb0ES3_S5_NS0_18transform_iteratorINS0_17counting_iteratorImlEEZNS1_24adjacent_difference_implIS3_Lb1ELb0EPsSB_N6thrust23THRUST_200600_302600_NS5minusIsEEEE10hipError_tPvRmT2_T3_mT4_P12ihipStream_tbEUlmE_sEESB_NS0_8identityIvEEEESG_SJ_SK_mSL_SN_bEUlT_E_NS1_11comp_targetILNS1_3genE2ELNS1_11target_archE906ELNS1_3gpuE6ELNS1_3repE0EEENS1_30default_config_static_selectorELNS0_4arch9wavefront6targetE1EEEvT1_,comdat
	.protected	_ZN7rocprim17ROCPRIM_400000_NS6detail17trampoline_kernelINS0_14default_configENS1_25transform_config_selectorIsLb0EEEZNS1_14transform_implILb0ES3_S5_NS0_18transform_iteratorINS0_17counting_iteratorImlEEZNS1_24adjacent_difference_implIS3_Lb1ELb0EPsSB_N6thrust23THRUST_200600_302600_NS5minusIsEEEE10hipError_tPvRmT2_T3_mT4_P12ihipStream_tbEUlmE_sEESB_NS0_8identityIvEEEESG_SJ_SK_mSL_SN_bEUlT_E_NS1_11comp_targetILNS1_3genE2ELNS1_11target_archE906ELNS1_3gpuE6ELNS1_3repE0EEENS1_30default_config_static_selectorELNS0_4arch9wavefront6targetE1EEEvT1_ ; -- Begin function _ZN7rocprim17ROCPRIM_400000_NS6detail17trampoline_kernelINS0_14default_configENS1_25transform_config_selectorIsLb0EEEZNS1_14transform_implILb0ES3_S5_NS0_18transform_iteratorINS0_17counting_iteratorImlEEZNS1_24adjacent_difference_implIS3_Lb1ELb0EPsSB_N6thrust23THRUST_200600_302600_NS5minusIsEEEE10hipError_tPvRmT2_T3_mT4_P12ihipStream_tbEUlmE_sEESB_NS0_8identityIvEEEESG_SJ_SK_mSL_SN_bEUlT_E_NS1_11comp_targetILNS1_3genE2ELNS1_11target_archE906ELNS1_3gpuE6ELNS1_3repE0EEENS1_30default_config_static_selectorELNS0_4arch9wavefront6targetE1EEEvT1_
	.globl	_ZN7rocprim17ROCPRIM_400000_NS6detail17trampoline_kernelINS0_14default_configENS1_25transform_config_selectorIsLb0EEEZNS1_14transform_implILb0ES3_S5_NS0_18transform_iteratorINS0_17counting_iteratorImlEEZNS1_24adjacent_difference_implIS3_Lb1ELb0EPsSB_N6thrust23THRUST_200600_302600_NS5minusIsEEEE10hipError_tPvRmT2_T3_mT4_P12ihipStream_tbEUlmE_sEESB_NS0_8identityIvEEEESG_SJ_SK_mSL_SN_bEUlT_E_NS1_11comp_targetILNS1_3genE2ELNS1_11target_archE906ELNS1_3gpuE6ELNS1_3repE0EEENS1_30default_config_static_selectorELNS0_4arch9wavefront6targetE1EEEvT1_
	.p2align	8
	.type	_ZN7rocprim17ROCPRIM_400000_NS6detail17trampoline_kernelINS0_14default_configENS1_25transform_config_selectorIsLb0EEEZNS1_14transform_implILb0ES3_S5_NS0_18transform_iteratorINS0_17counting_iteratorImlEEZNS1_24adjacent_difference_implIS3_Lb1ELb0EPsSB_N6thrust23THRUST_200600_302600_NS5minusIsEEEE10hipError_tPvRmT2_T3_mT4_P12ihipStream_tbEUlmE_sEESB_NS0_8identityIvEEEESG_SJ_SK_mSL_SN_bEUlT_E_NS1_11comp_targetILNS1_3genE2ELNS1_11target_archE906ELNS1_3gpuE6ELNS1_3repE0EEENS1_30default_config_static_selectorELNS0_4arch9wavefront6targetE1EEEvT1_,@function
_ZN7rocprim17ROCPRIM_400000_NS6detail17trampoline_kernelINS0_14default_configENS1_25transform_config_selectorIsLb0EEEZNS1_14transform_implILb0ES3_S5_NS0_18transform_iteratorINS0_17counting_iteratorImlEEZNS1_24adjacent_difference_implIS3_Lb1ELb0EPsSB_N6thrust23THRUST_200600_302600_NS5minusIsEEEE10hipError_tPvRmT2_T3_mT4_P12ihipStream_tbEUlmE_sEESB_NS0_8identityIvEEEESG_SJ_SK_mSL_SN_bEUlT_E_NS1_11comp_targetILNS1_3genE2ELNS1_11target_archE906ELNS1_3gpuE6ELNS1_3repE0EEENS1_30default_config_static_selectorELNS0_4arch9wavefront6targetE1EEEvT1_: ; @_ZN7rocprim17ROCPRIM_400000_NS6detail17trampoline_kernelINS0_14default_configENS1_25transform_config_selectorIsLb0EEEZNS1_14transform_implILb0ES3_S5_NS0_18transform_iteratorINS0_17counting_iteratorImlEEZNS1_24adjacent_difference_implIS3_Lb1ELb0EPsSB_N6thrust23THRUST_200600_302600_NS5minusIsEEEE10hipError_tPvRmT2_T3_mT4_P12ihipStream_tbEUlmE_sEESB_NS0_8identityIvEEEESG_SJ_SK_mSL_SN_bEUlT_E_NS1_11comp_targetILNS1_3genE2ELNS1_11target_archE906ELNS1_3gpuE6ELNS1_3repE0EEENS1_30default_config_static_selectorELNS0_4arch9wavefront6targetE1EEEvT1_
; %bb.0:
	.section	.rodata,"a",@progbits
	.p2align	6, 0x0
	.amdhsa_kernel _ZN7rocprim17ROCPRIM_400000_NS6detail17trampoline_kernelINS0_14default_configENS1_25transform_config_selectorIsLb0EEEZNS1_14transform_implILb0ES3_S5_NS0_18transform_iteratorINS0_17counting_iteratorImlEEZNS1_24adjacent_difference_implIS3_Lb1ELb0EPsSB_N6thrust23THRUST_200600_302600_NS5minusIsEEEE10hipError_tPvRmT2_T3_mT4_P12ihipStream_tbEUlmE_sEESB_NS0_8identityIvEEEESG_SJ_SK_mSL_SN_bEUlT_E_NS1_11comp_targetILNS1_3genE2ELNS1_11target_archE906ELNS1_3gpuE6ELNS1_3repE0EEENS1_30default_config_static_selectorELNS0_4arch9wavefront6targetE1EEEvT1_
		.amdhsa_group_segment_fixed_size 0
		.amdhsa_private_segment_fixed_size 0
		.amdhsa_kernarg_size 56
		.amdhsa_user_sgpr_count 6
		.amdhsa_user_sgpr_private_segment_buffer 1
		.amdhsa_user_sgpr_dispatch_ptr 0
		.amdhsa_user_sgpr_queue_ptr 0
		.amdhsa_user_sgpr_kernarg_segment_ptr 1
		.amdhsa_user_sgpr_dispatch_id 0
		.amdhsa_user_sgpr_flat_scratch_init 0
		.amdhsa_user_sgpr_kernarg_preload_length 0
		.amdhsa_user_sgpr_kernarg_preload_offset 0
		.amdhsa_user_sgpr_private_segment_size 0
		.amdhsa_uses_dynamic_stack 0
		.amdhsa_system_sgpr_private_segment_wavefront_offset 0
		.amdhsa_system_sgpr_workgroup_id_x 1
		.amdhsa_system_sgpr_workgroup_id_y 0
		.amdhsa_system_sgpr_workgroup_id_z 0
		.amdhsa_system_sgpr_workgroup_info 0
		.amdhsa_system_vgpr_workitem_id 0
		.amdhsa_next_free_vgpr 1
		.amdhsa_next_free_sgpr 0
		.amdhsa_accum_offset 4
		.amdhsa_reserve_vcc 0
		.amdhsa_reserve_flat_scratch 0
		.amdhsa_float_round_mode_32 0
		.amdhsa_float_round_mode_16_64 0
		.amdhsa_float_denorm_mode_32 3
		.amdhsa_float_denorm_mode_16_64 3
		.amdhsa_dx10_clamp 1
		.amdhsa_ieee_mode 1
		.amdhsa_fp16_overflow 0
		.amdhsa_tg_split 0
		.amdhsa_exception_fp_ieee_invalid_op 0
		.amdhsa_exception_fp_denorm_src 0
		.amdhsa_exception_fp_ieee_div_zero 0
		.amdhsa_exception_fp_ieee_overflow 0
		.amdhsa_exception_fp_ieee_underflow 0
		.amdhsa_exception_fp_ieee_inexact 0
		.amdhsa_exception_int_div_zero 0
	.end_amdhsa_kernel
	.section	.text._ZN7rocprim17ROCPRIM_400000_NS6detail17trampoline_kernelINS0_14default_configENS1_25transform_config_selectorIsLb0EEEZNS1_14transform_implILb0ES3_S5_NS0_18transform_iteratorINS0_17counting_iteratorImlEEZNS1_24adjacent_difference_implIS3_Lb1ELb0EPsSB_N6thrust23THRUST_200600_302600_NS5minusIsEEEE10hipError_tPvRmT2_T3_mT4_P12ihipStream_tbEUlmE_sEESB_NS0_8identityIvEEEESG_SJ_SK_mSL_SN_bEUlT_E_NS1_11comp_targetILNS1_3genE2ELNS1_11target_archE906ELNS1_3gpuE6ELNS1_3repE0EEENS1_30default_config_static_selectorELNS0_4arch9wavefront6targetE1EEEvT1_,"axG",@progbits,_ZN7rocprim17ROCPRIM_400000_NS6detail17trampoline_kernelINS0_14default_configENS1_25transform_config_selectorIsLb0EEEZNS1_14transform_implILb0ES3_S5_NS0_18transform_iteratorINS0_17counting_iteratorImlEEZNS1_24adjacent_difference_implIS3_Lb1ELb0EPsSB_N6thrust23THRUST_200600_302600_NS5minusIsEEEE10hipError_tPvRmT2_T3_mT4_P12ihipStream_tbEUlmE_sEESB_NS0_8identityIvEEEESG_SJ_SK_mSL_SN_bEUlT_E_NS1_11comp_targetILNS1_3genE2ELNS1_11target_archE906ELNS1_3gpuE6ELNS1_3repE0EEENS1_30default_config_static_selectorELNS0_4arch9wavefront6targetE1EEEvT1_,comdat
.Lfunc_end64:
	.size	_ZN7rocprim17ROCPRIM_400000_NS6detail17trampoline_kernelINS0_14default_configENS1_25transform_config_selectorIsLb0EEEZNS1_14transform_implILb0ES3_S5_NS0_18transform_iteratorINS0_17counting_iteratorImlEEZNS1_24adjacent_difference_implIS3_Lb1ELb0EPsSB_N6thrust23THRUST_200600_302600_NS5minusIsEEEE10hipError_tPvRmT2_T3_mT4_P12ihipStream_tbEUlmE_sEESB_NS0_8identityIvEEEESG_SJ_SK_mSL_SN_bEUlT_E_NS1_11comp_targetILNS1_3genE2ELNS1_11target_archE906ELNS1_3gpuE6ELNS1_3repE0EEENS1_30default_config_static_selectorELNS0_4arch9wavefront6targetE1EEEvT1_, .Lfunc_end64-_ZN7rocprim17ROCPRIM_400000_NS6detail17trampoline_kernelINS0_14default_configENS1_25transform_config_selectorIsLb0EEEZNS1_14transform_implILb0ES3_S5_NS0_18transform_iteratorINS0_17counting_iteratorImlEEZNS1_24adjacent_difference_implIS3_Lb1ELb0EPsSB_N6thrust23THRUST_200600_302600_NS5minusIsEEEE10hipError_tPvRmT2_T3_mT4_P12ihipStream_tbEUlmE_sEESB_NS0_8identityIvEEEESG_SJ_SK_mSL_SN_bEUlT_E_NS1_11comp_targetILNS1_3genE2ELNS1_11target_archE906ELNS1_3gpuE6ELNS1_3repE0EEENS1_30default_config_static_selectorELNS0_4arch9wavefront6targetE1EEEvT1_
                                        ; -- End function
	.section	.AMDGPU.csdata,"",@progbits
; Kernel info:
; codeLenInByte = 0
; NumSgprs: 4
; NumVgprs: 0
; NumAgprs: 0
; TotalNumVgprs: 0
; ScratchSize: 0
; MemoryBound: 0
; FloatMode: 240
; IeeeMode: 1
; LDSByteSize: 0 bytes/workgroup (compile time only)
; SGPRBlocks: 0
; VGPRBlocks: 0
; NumSGPRsForWavesPerEU: 4
; NumVGPRsForWavesPerEU: 1
; AccumOffset: 4
; Occupancy: 8
; WaveLimiterHint : 0
; COMPUTE_PGM_RSRC2:SCRATCH_EN: 0
; COMPUTE_PGM_RSRC2:USER_SGPR: 6
; COMPUTE_PGM_RSRC2:TRAP_HANDLER: 0
; COMPUTE_PGM_RSRC2:TGID_X_EN: 1
; COMPUTE_PGM_RSRC2:TGID_Y_EN: 0
; COMPUTE_PGM_RSRC2:TGID_Z_EN: 0
; COMPUTE_PGM_RSRC2:TIDIG_COMP_CNT: 0
; COMPUTE_PGM_RSRC3_GFX90A:ACCUM_OFFSET: 0
; COMPUTE_PGM_RSRC3_GFX90A:TG_SPLIT: 0
	.section	.text._ZN7rocprim17ROCPRIM_400000_NS6detail17trampoline_kernelINS0_14default_configENS1_25transform_config_selectorIsLb0EEEZNS1_14transform_implILb0ES3_S5_NS0_18transform_iteratorINS0_17counting_iteratorImlEEZNS1_24adjacent_difference_implIS3_Lb1ELb0EPsSB_N6thrust23THRUST_200600_302600_NS5minusIsEEEE10hipError_tPvRmT2_T3_mT4_P12ihipStream_tbEUlmE_sEESB_NS0_8identityIvEEEESG_SJ_SK_mSL_SN_bEUlT_E_NS1_11comp_targetILNS1_3genE10ELNS1_11target_archE1201ELNS1_3gpuE5ELNS1_3repE0EEENS1_30default_config_static_selectorELNS0_4arch9wavefront6targetE1EEEvT1_,"axG",@progbits,_ZN7rocprim17ROCPRIM_400000_NS6detail17trampoline_kernelINS0_14default_configENS1_25transform_config_selectorIsLb0EEEZNS1_14transform_implILb0ES3_S5_NS0_18transform_iteratorINS0_17counting_iteratorImlEEZNS1_24adjacent_difference_implIS3_Lb1ELb0EPsSB_N6thrust23THRUST_200600_302600_NS5minusIsEEEE10hipError_tPvRmT2_T3_mT4_P12ihipStream_tbEUlmE_sEESB_NS0_8identityIvEEEESG_SJ_SK_mSL_SN_bEUlT_E_NS1_11comp_targetILNS1_3genE10ELNS1_11target_archE1201ELNS1_3gpuE5ELNS1_3repE0EEENS1_30default_config_static_selectorELNS0_4arch9wavefront6targetE1EEEvT1_,comdat
	.protected	_ZN7rocprim17ROCPRIM_400000_NS6detail17trampoline_kernelINS0_14default_configENS1_25transform_config_selectorIsLb0EEEZNS1_14transform_implILb0ES3_S5_NS0_18transform_iteratorINS0_17counting_iteratorImlEEZNS1_24adjacent_difference_implIS3_Lb1ELb0EPsSB_N6thrust23THRUST_200600_302600_NS5minusIsEEEE10hipError_tPvRmT2_T3_mT4_P12ihipStream_tbEUlmE_sEESB_NS0_8identityIvEEEESG_SJ_SK_mSL_SN_bEUlT_E_NS1_11comp_targetILNS1_3genE10ELNS1_11target_archE1201ELNS1_3gpuE5ELNS1_3repE0EEENS1_30default_config_static_selectorELNS0_4arch9wavefront6targetE1EEEvT1_ ; -- Begin function _ZN7rocprim17ROCPRIM_400000_NS6detail17trampoline_kernelINS0_14default_configENS1_25transform_config_selectorIsLb0EEEZNS1_14transform_implILb0ES3_S5_NS0_18transform_iteratorINS0_17counting_iteratorImlEEZNS1_24adjacent_difference_implIS3_Lb1ELb0EPsSB_N6thrust23THRUST_200600_302600_NS5minusIsEEEE10hipError_tPvRmT2_T3_mT4_P12ihipStream_tbEUlmE_sEESB_NS0_8identityIvEEEESG_SJ_SK_mSL_SN_bEUlT_E_NS1_11comp_targetILNS1_3genE10ELNS1_11target_archE1201ELNS1_3gpuE5ELNS1_3repE0EEENS1_30default_config_static_selectorELNS0_4arch9wavefront6targetE1EEEvT1_
	.globl	_ZN7rocprim17ROCPRIM_400000_NS6detail17trampoline_kernelINS0_14default_configENS1_25transform_config_selectorIsLb0EEEZNS1_14transform_implILb0ES3_S5_NS0_18transform_iteratorINS0_17counting_iteratorImlEEZNS1_24adjacent_difference_implIS3_Lb1ELb0EPsSB_N6thrust23THRUST_200600_302600_NS5minusIsEEEE10hipError_tPvRmT2_T3_mT4_P12ihipStream_tbEUlmE_sEESB_NS0_8identityIvEEEESG_SJ_SK_mSL_SN_bEUlT_E_NS1_11comp_targetILNS1_3genE10ELNS1_11target_archE1201ELNS1_3gpuE5ELNS1_3repE0EEENS1_30default_config_static_selectorELNS0_4arch9wavefront6targetE1EEEvT1_
	.p2align	8
	.type	_ZN7rocprim17ROCPRIM_400000_NS6detail17trampoline_kernelINS0_14default_configENS1_25transform_config_selectorIsLb0EEEZNS1_14transform_implILb0ES3_S5_NS0_18transform_iteratorINS0_17counting_iteratorImlEEZNS1_24adjacent_difference_implIS3_Lb1ELb0EPsSB_N6thrust23THRUST_200600_302600_NS5minusIsEEEE10hipError_tPvRmT2_T3_mT4_P12ihipStream_tbEUlmE_sEESB_NS0_8identityIvEEEESG_SJ_SK_mSL_SN_bEUlT_E_NS1_11comp_targetILNS1_3genE10ELNS1_11target_archE1201ELNS1_3gpuE5ELNS1_3repE0EEENS1_30default_config_static_selectorELNS0_4arch9wavefront6targetE1EEEvT1_,@function
_ZN7rocprim17ROCPRIM_400000_NS6detail17trampoline_kernelINS0_14default_configENS1_25transform_config_selectorIsLb0EEEZNS1_14transform_implILb0ES3_S5_NS0_18transform_iteratorINS0_17counting_iteratorImlEEZNS1_24adjacent_difference_implIS3_Lb1ELb0EPsSB_N6thrust23THRUST_200600_302600_NS5minusIsEEEE10hipError_tPvRmT2_T3_mT4_P12ihipStream_tbEUlmE_sEESB_NS0_8identityIvEEEESG_SJ_SK_mSL_SN_bEUlT_E_NS1_11comp_targetILNS1_3genE10ELNS1_11target_archE1201ELNS1_3gpuE5ELNS1_3repE0EEENS1_30default_config_static_selectorELNS0_4arch9wavefront6targetE1EEEvT1_: ; @_ZN7rocprim17ROCPRIM_400000_NS6detail17trampoline_kernelINS0_14default_configENS1_25transform_config_selectorIsLb0EEEZNS1_14transform_implILb0ES3_S5_NS0_18transform_iteratorINS0_17counting_iteratorImlEEZNS1_24adjacent_difference_implIS3_Lb1ELb0EPsSB_N6thrust23THRUST_200600_302600_NS5minusIsEEEE10hipError_tPvRmT2_T3_mT4_P12ihipStream_tbEUlmE_sEESB_NS0_8identityIvEEEESG_SJ_SK_mSL_SN_bEUlT_E_NS1_11comp_targetILNS1_3genE10ELNS1_11target_archE1201ELNS1_3gpuE5ELNS1_3repE0EEENS1_30default_config_static_selectorELNS0_4arch9wavefront6targetE1EEEvT1_
; %bb.0:
	.section	.rodata,"a",@progbits
	.p2align	6, 0x0
	.amdhsa_kernel _ZN7rocprim17ROCPRIM_400000_NS6detail17trampoline_kernelINS0_14default_configENS1_25transform_config_selectorIsLb0EEEZNS1_14transform_implILb0ES3_S5_NS0_18transform_iteratorINS0_17counting_iteratorImlEEZNS1_24adjacent_difference_implIS3_Lb1ELb0EPsSB_N6thrust23THRUST_200600_302600_NS5minusIsEEEE10hipError_tPvRmT2_T3_mT4_P12ihipStream_tbEUlmE_sEESB_NS0_8identityIvEEEESG_SJ_SK_mSL_SN_bEUlT_E_NS1_11comp_targetILNS1_3genE10ELNS1_11target_archE1201ELNS1_3gpuE5ELNS1_3repE0EEENS1_30default_config_static_selectorELNS0_4arch9wavefront6targetE1EEEvT1_
		.amdhsa_group_segment_fixed_size 0
		.amdhsa_private_segment_fixed_size 0
		.amdhsa_kernarg_size 56
		.amdhsa_user_sgpr_count 6
		.amdhsa_user_sgpr_private_segment_buffer 1
		.amdhsa_user_sgpr_dispatch_ptr 0
		.amdhsa_user_sgpr_queue_ptr 0
		.amdhsa_user_sgpr_kernarg_segment_ptr 1
		.amdhsa_user_sgpr_dispatch_id 0
		.amdhsa_user_sgpr_flat_scratch_init 0
		.amdhsa_user_sgpr_kernarg_preload_length 0
		.amdhsa_user_sgpr_kernarg_preload_offset 0
		.amdhsa_user_sgpr_private_segment_size 0
		.amdhsa_uses_dynamic_stack 0
		.amdhsa_system_sgpr_private_segment_wavefront_offset 0
		.amdhsa_system_sgpr_workgroup_id_x 1
		.amdhsa_system_sgpr_workgroup_id_y 0
		.amdhsa_system_sgpr_workgroup_id_z 0
		.amdhsa_system_sgpr_workgroup_info 0
		.amdhsa_system_vgpr_workitem_id 0
		.amdhsa_next_free_vgpr 1
		.amdhsa_next_free_sgpr 0
		.amdhsa_accum_offset 4
		.amdhsa_reserve_vcc 0
		.amdhsa_reserve_flat_scratch 0
		.amdhsa_float_round_mode_32 0
		.amdhsa_float_round_mode_16_64 0
		.amdhsa_float_denorm_mode_32 3
		.amdhsa_float_denorm_mode_16_64 3
		.amdhsa_dx10_clamp 1
		.amdhsa_ieee_mode 1
		.amdhsa_fp16_overflow 0
		.amdhsa_tg_split 0
		.amdhsa_exception_fp_ieee_invalid_op 0
		.amdhsa_exception_fp_denorm_src 0
		.amdhsa_exception_fp_ieee_div_zero 0
		.amdhsa_exception_fp_ieee_overflow 0
		.amdhsa_exception_fp_ieee_underflow 0
		.amdhsa_exception_fp_ieee_inexact 0
		.amdhsa_exception_int_div_zero 0
	.end_amdhsa_kernel
	.section	.text._ZN7rocprim17ROCPRIM_400000_NS6detail17trampoline_kernelINS0_14default_configENS1_25transform_config_selectorIsLb0EEEZNS1_14transform_implILb0ES3_S5_NS0_18transform_iteratorINS0_17counting_iteratorImlEEZNS1_24adjacent_difference_implIS3_Lb1ELb0EPsSB_N6thrust23THRUST_200600_302600_NS5minusIsEEEE10hipError_tPvRmT2_T3_mT4_P12ihipStream_tbEUlmE_sEESB_NS0_8identityIvEEEESG_SJ_SK_mSL_SN_bEUlT_E_NS1_11comp_targetILNS1_3genE10ELNS1_11target_archE1201ELNS1_3gpuE5ELNS1_3repE0EEENS1_30default_config_static_selectorELNS0_4arch9wavefront6targetE1EEEvT1_,"axG",@progbits,_ZN7rocprim17ROCPRIM_400000_NS6detail17trampoline_kernelINS0_14default_configENS1_25transform_config_selectorIsLb0EEEZNS1_14transform_implILb0ES3_S5_NS0_18transform_iteratorINS0_17counting_iteratorImlEEZNS1_24adjacent_difference_implIS3_Lb1ELb0EPsSB_N6thrust23THRUST_200600_302600_NS5minusIsEEEE10hipError_tPvRmT2_T3_mT4_P12ihipStream_tbEUlmE_sEESB_NS0_8identityIvEEEESG_SJ_SK_mSL_SN_bEUlT_E_NS1_11comp_targetILNS1_3genE10ELNS1_11target_archE1201ELNS1_3gpuE5ELNS1_3repE0EEENS1_30default_config_static_selectorELNS0_4arch9wavefront6targetE1EEEvT1_,comdat
.Lfunc_end65:
	.size	_ZN7rocprim17ROCPRIM_400000_NS6detail17trampoline_kernelINS0_14default_configENS1_25transform_config_selectorIsLb0EEEZNS1_14transform_implILb0ES3_S5_NS0_18transform_iteratorINS0_17counting_iteratorImlEEZNS1_24adjacent_difference_implIS3_Lb1ELb0EPsSB_N6thrust23THRUST_200600_302600_NS5minusIsEEEE10hipError_tPvRmT2_T3_mT4_P12ihipStream_tbEUlmE_sEESB_NS0_8identityIvEEEESG_SJ_SK_mSL_SN_bEUlT_E_NS1_11comp_targetILNS1_3genE10ELNS1_11target_archE1201ELNS1_3gpuE5ELNS1_3repE0EEENS1_30default_config_static_selectorELNS0_4arch9wavefront6targetE1EEEvT1_, .Lfunc_end65-_ZN7rocprim17ROCPRIM_400000_NS6detail17trampoline_kernelINS0_14default_configENS1_25transform_config_selectorIsLb0EEEZNS1_14transform_implILb0ES3_S5_NS0_18transform_iteratorINS0_17counting_iteratorImlEEZNS1_24adjacent_difference_implIS3_Lb1ELb0EPsSB_N6thrust23THRUST_200600_302600_NS5minusIsEEEE10hipError_tPvRmT2_T3_mT4_P12ihipStream_tbEUlmE_sEESB_NS0_8identityIvEEEESG_SJ_SK_mSL_SN_bEUlT_E_NS1_11comp_targetILNS1_3genE10ELNS1_11target_archE1201ELNS1_3gpuE5ELNS1_3repE0EEENS1_30default_config_static_selectorELNS0_4arch9wavefront6targetE1EEEvT1_
                                        ; -- End function
	.section	.AMDGPU.csdata,"",@progbits
; Kernel info:
; codeLenInByte = 0
; NumSgprs: 4
; NumVgprs: 0
; NumAgprs: 0
; TotalNumVgprs: 0
; ScratchSize: 0
; MemoryBound: 0
; FloatMode: 240
; IeeeMode: 1
; LDSByteSize: 0 bytes/workgroup (compile time only)
; SGPRBlocks: 0
; VGPRBlocks: 0
; NumSGPRsForWavesPerEU: 4
; NumVGPRsForWavesPerEU: 1
; AccumOffset: 4
; Occupancy: 8
; WaveLimiterHint : 0
; COMPUTE_PGM_RSRC2:SCRATCH_EN: 0
; COMPUTE_PGM_RSRC2:USER_SGPR: 6
; COMPUTE_PGM_RSRC2:TRAP_HANDLER: 0
; COMPUTE_PGM_RSRC2:TGID_X_EN: 1
; COMPUTE_PGM_RSRC2:TGID_Y_EN: 0
; COMPUTE_PGM_RSRC2:TGID_Z_EN: 0
; COMPUTE_PGM_RSRC2:TIDIG_COMP_CNT: 0
; COMPUTE_PGM_RSRC3_GFX90A:ACCUM_OFFSET: 0
; COMPUTE_PGM_RSRC3_GFX90A:TG_SPLIT: 0
	.section	.text._ZN7rocprim17ROCPRIM_400000_NS6detail17trampoline_kernelINS0_14default_configENS1_25transform_config_selectorIsLb0EEEZNS1_14transform_implILb0ES3_S5_NS0_18transform_iteratorINS0_17counting_iteratorImlEEZNS1_24adjacent_difference_implIS3_Lb1ELb0EPsSB_N6thrust23THRUST_200600_302600_NS5minusIsEEEE10hipError_tPvRmT2_T3_mT4_P12ihipStream_tbEUlmE_sEESB_NS0_8identityIvEEEESG_SJ_SK_mSL_SN_bEUlT_E_NS1_11comp_targetILNS1_3genE10ELNS1_11target_archE1200ELNS1_3gpuE4ELNS1_3repE0EEENS1_30default_config_static_selectorELNS0_4arch9wavefront6targetE1EEEvT1_,"axG",@progbits,_ZN7rocprim17ROCPRIM_400000_NS6detail17trampoline_kernelINS0_14default_configENS1_25transform_config_selectorIsLb0EEEZNS1_14transform_implILb0ES3_S5_NS0_18transform_iteratorINS0_17counting_iteratorImlEEZNS1_24adjacent_difference_implIS3_Lb1ELb0EPsSB_N6thrust23THRUST_200600_302600_NS5minusIsEEEE10hipError_tPvRmT2_T3_mT4_P12ihipStream_tbEUlmE_sEESB_NS0_8identityIvEEEESG_SJ_SK_mSL_SN_bEUlT_E_NS1_11comp_targetILNS1_3genE10ELNS1_11target_archE1200ELNS1_3gpuE4ELNS1_3repE0EEENS1_30default_config_static_selectorELNS0_4arch9wavefront6targetE1EEEvT1_,comdat
	.protected	_ZN7rocprim17ROCPRIM_400000_NS6detail17trampoline_kernelINS0_14default_configENS1_25transform_config_selectorIsLb0EEEZNS1_14transform_implILb0ES3_S5_NS0_18transform_iteratorINS0_17counting_iteratorImlEEZNS1_24adjacent_difference_implIS3_Lb1ELb0EPsSB_N6thrust23THRUST_200600_302600_NS5minusIsEEEE10hipError_tPvRmT2_T3_mT4_P12ihipStream_tbEUlmE_sEESB_NS0_8identityIvEEEESG_SJ_SK_mSL_SN_bEUlT_E_NS1_11comp_targetILNS1_3genE10ELNS1_11target_archE1200ELNS1_3gpuE4ELNS1_3repE0EEENS1_30default_config_static_selectorELNS0_4arch9wavefront6targetE1EEEvT1_ ; -- Begin function _ZN7rocprim17ROCPRIM_400000_NS6detail17trampoline_kernelINS0_14default_configENS1_25transform_config_selectorIsLb0EEEZNS1_14transform_implILb0ES3_S5_NS0_18transform_iteratorINS0_17counting_iteratorImlEEZNS1_24adjacent_difference_implIS3_Lb1ELb0EPsSB_N6thrust23THRUST_200600_302600_NS5minusIsEEEE10hipError_tPvRmT2_T3_mT4_P12ihipStream_tbEUlmE_sEESB_NS0_8identityIvEEEESG_SJ_SK_mSL_SN_bEUlT_E_NS1_11comp_targetILNS1_3genE10ELNS1_11target_archE1200ELNS1_3gpuE4ELNS1_3repE0EEENS1_30default_config_static_selectorELNS0_4arch9wavefront6targetE1EEEvT1_
	.globl	_ZN7rocprim17ROCPRIM_400000_NS6detail17trampoline_kernelINS0_14default_configENS1_25transform_config_selectorIsLb0EEEZNS1_14transform_implILb0ES3_S5_NS0_18transform_iteratorINS0_17counting_iteratorImlEEZNS1_24adjacent_difference_implIS3_Lb1ELb0EPsSB_N6thrust23THRUST_200600_302600_NS5minusIsEEEE10hipError_tPvRmT2_T3_mT4_P12ihipStream_tbEUlmE_sEESB_NS0_8identityIvEEEESG_SJ_SK_mSL_SN_bEUlT_E_NS1_11comp_targetILNS1_3genE10ELNS1_11target_archE1200ELNS1_3gpuE4ELNS1_3repE0EEENS1_30default_config_static_selectorELNS0_4arch9wavefront6targetE1EEEvT1_
	.p2align	8
	.type	_ZN7rocprim17ROCPRIM_400000_NS6detail17trampoline_kernelINS0_14default_configENS1_25transform_config_selectorIsLb0EEEZNS1_14transform_implILb0ES3_S5_NS0_18transform_iteratorINS0_17counting_iteratorImlEEZNS1_24adjacent_difference_implIS3_Lb1ELb0EPsSB_N6thrust23THRUST_200600_302600_NS5minusIsEEEE10hipError_tPvRmT2_T3_mT4_P12ihipStream_tbEUlmE_sEESB_NS0_8identityIvEEEESG_SJ_SK_mSL_SN_bEUlT_E_NS1_11comp_targetILNS1_3genE10ELNS1_11target_archE1200ELNS1_3gpuE4ELNS1_3repE0EEENS1_30default_config_static_selectorELNS0_4arch9wavefront6targetE1EEEvT1_,@function
_ZN7rocprim17ROCPRIM_400000_NS6detail17trampoline_kernelINS0_14default_configENS1_25transform_config_selectorIsLb0EEEZNS1_14transform_implILb0ES3_S5_NS0_18transform_iteratorINS0_17counting_iteratorImlEEZNS1_24adjacent_difference_implIS3_Lb1ELb0EPsSB_N6thrust23THRUST_200600_302600_NS5minusIsEEEE10hipError_tPvRmT2_T3_mT4_P12ihipStream_tbEUlmE_sEESB_NS0_8identityIvEEEESG_SJ_SK_mSL_SN_bEUlT_E_NS1_11comp_targetILNS1_3genE10ELNS1_11target_archE1200ELNS1_3gpuE4ELNS1_3repE0EEENS1_30default_config_static_selectorELNS0_4arch9wavefront6targetE1EEEvT1_: ; @_ZN7rocprim17ROCPRIM_400000_NS6detail17trampoline_kernelINS0_14default_configENS1_25transform_config_selectorIsLb0EEEZNS1_14transform_implILb0ES3_S5_NS0_18transform_iteratorINS0_17counting_iteratorImlEEZNS1_24adjacent_difference_implIS3_Lb1ELb0EPsSB_N6thrust23THRUST_200600_302600_NS5minusIsEEEE10hipError_tPvRmT2_T3_mT4_P12ihipStream_tbEUlmE_sEESB_NS0_8identityIvEEEESG_SJ_SK_mSL_SN_bEUlT_E_NS1_11comp_targetILNS1_3genE10ELNS1_11target_archE1200ELNS1_3gpuE4ELNS1_3repE0EEENS1_30default_config_static_selectorELNS0_4arch9wavefront6targetE1EEEvT1_
; %bb.0:
	.section	.rodata,"a",@progbits
	.p2align	6, 0x0
	.amdhsa_kernel _ZN7rocprim17ROCPRIM_400000_NS6detail17trampoline_kernelINS0_14default_configENS1_25transform_config_selectorIsLb0EEEZNS1_14transform_implILb0ES3_S5_NS0_18transform_iteratorINS0_17counting_iteratorImlEEZNS1_24adjacent_difference_implIS3_Lb1ELb0EPsSB_N6thrust23THRUST_200600_302600_NS5minusIsEEEE10hipError_tPvRmT2_T3_mT4_P12ihipStream_tbEUlmE_sEESB_NS0_8identityIvEEEESG_SJ_SK_mSL_SN_bEUlT_E_NS1_11comp_targetILNS1_3genE10ELNS1_11target_archE1200ELNS1_3gpuE4ELNS1_3repE0EEENS1_30default_config_static_selectorELNS0_4arch9wavefront6targetE1EEEvT1_
		.amdhsa_group_segment_fixed_size 0
		.amdhsa_private_segment_fixed_size 0
		.amdhsa_kernarg_size 56
		.amdhsa_user_sgpr_count 6
		.amdhsa_user_sgpr_private_segment_buffer 1
		.amdhsa_user_sgpr_dispatch_ptr 0
		.amdhsa_user_sgpr_queue_ptr 0
		.amdhsa_user_sgpr_kernarg_segment_ptr 1
		.amdhsa_user_sgpr_dispatch_id 0
		.amdhsa_user_sgpr_flat_scratch_init 0
		.amdhsa_user_sgpr_kernarg_preload_length 0
		.amdhsa_user_sgpr_kernarg_preload_offset 0
		.amdhsa_user_sgpr_private_segment_size 0
		.amdhsa_uses_dynamic_stack 0
		.amdhsa_system_sgpr_private_segment_wavefront_offset 0
		.amdhsa_system_sgpr_workgroup_id_x 1
		.amdhsa_system_sgpr_workgroup_id_y 0
		.amdhsa_system_sgpr_workgroup_id_z 0
		.amdhsa_system_sgpr_workgroup_info 0
		.amdhsa_system_vgpr_workitem_id 0
		.amdhsa_next_free_vgpr 1
		.amdhsa_next_free_sgpr 0
		.amdhsa_accum_offset 4
		.amdhsa_reserve_vcc 0
		.amdhsa_reserve_flat_scratch 0
		.amdhsa_float_round_mode_32 0
		.amdhsa_float_round_mode_16_64 0
		.amdhsa_float_denorm_mode_32 3
		.amdhsa_float_denorm_mode_16_64 3
		.amdhsa_dx10_clamp 1
		.amdhsa_ieee_mode 1
		.amdhsa_fp16_overflow 0
		.amdhsa_tg_split 0
		.amdhsa_exception_fp_ieee_invalid_op 0
		.amdhsa_exception_fp_denorm_src 0
		.amdhsa_exception_fp_ieee_div_zero 0
		.amdhsa_exception_fp_ieee_overflow 0
		.amdhsa_exception_fp_ieee_underflow 0
		.amdhsa_exception_fp_ieee_inexact 0
		.amdhsa_exception_int_div_zero 0
	.end_amdhsa_kernel
	.section	.text._ZN7rocprim17ROCPRIM_400000_NS6detail17trampoline_kernelINS0_14default_configENS1_25transform_config_selectorIsLb0EEEZNS1_14transform_implILb0ES3_S5_NS0_18transform_iteratorINS0_17counting_iteratorImlEEZNS1_24adjacent_difference_implIS3_Lb1ELb0EPsSB_N6thrust23THRUST_200600_302600_NS5minusIsEEEE10hipError_tPvRmT2_T3_mT4_P12ihipStream_tbEUlmE_sEESB_NS0_8identityIvEEEESG_SJ_SK_mSL_SN_bEUlT_E_NS1_11comp_targetILNS1_3genE10ELNS1_11target_archE1200ELNS1_3gpuE4ELNS1_3repE0EEENS1_30default_config_static_selectorELNS0_4arch9wavefront6targetE1EEEvT1_,"axG",@progbits,_ZN7rocprim17ROCPRIM_400000_NS6detail17trampoline_kernelINS0_14default_configENS1_25transform_config_selectorIsLb0EEEZNS1_14transform_implILb0ES3_S5_NS0_18transform_iteratorINS0_17counting_iteratorImlEEZNS1_24adjacent_difference_implIS3_Lb1ELb0EPsSB_N6thrust23THRUST_200600_302600_NS5minusIsEEEE10hipError_tPvRmT2_T3_mT4_P12ihipStream_tbEUlmE_sEESB_NS0_8identityIvEEEESG_SJ_SK_mSL_SN_bEUlT_E_NS1_11comp_targetILNS1_3genE10ELNS1_11target_archE1200ELNS1_3gpuE4ELNS1_3repE0EEENS1_30default_config_static_selectorELNS0_4arch9wavefront6targetE1EEEvT1_,comdat
.Lfunc_end66:
	.size	_ZN7rocprim17ROCPRIM_400000_NS6detail17trampoline_kernelINS0_14default_configENS1_25transform_config_selectorIsLb0EEEZNS1_14transform_implILb0ES3_S5_NS0_18transform_iteratorINS0_17counting_iteratorImlEEZNS1_24adjacent_difference_implIS3_Lb1ELb0EPsSB_N6thrust23THRUST_200600_302600_NS5minusIsEEEE10hipError_tPvRmT2_T3_mT4_P12ihipStream_tbEUlmE_sEESB_NS0_8identityIvEEEESG_SJ_SK_mSL_SN_bEUlT_E_NS1_11comp_targetILNS1_3genE10ELNS1_11target_archE1200ELNS1_3gpuE4ELNS1_3repE0EEENS1_30default_config_static_selectorELNS0_4arch9wavefront6targetE1EEEvT1_, .Lfunc_end66-_ZN7rocprim17ROCPRIM_400000_NS6detail17trampoline_kernelINS0_14default_configENS1_25transform_config_selectorIsLb0EEEZNS1_14transform_implILb0ES3_S5_NS0_18transform_iteratorINS0_17counting_iteratorImlEEZNS1_24adjacent_difference_implIS3_Lb1ELb0EPsSB_N6thrust23THRUST_200600_302600_NS5minusIsEEEE10hipError_tPvRmT2_T3_mT4_P12ihipStream_tbEUlmE_sEESB_NS0_8identityIvEEEESG_SJ_SK_mSL_SN_bEUlT_E_NS1_11comp_targetILNS1_3genE10ELNS1_11target_archE1200ELNS1_3gpuE4ELNS1_3repE0EEENS1_30default_config_static_selectorELNS0_4arch9wavefront6targetE1EEEvT1_
                                        ; -- End function
	.section	.AMDGPU.csdata,"",@progbits
; Kernel info:
; codeLenInByte = 0
; NumSgprs: 4
; NumVgprs: 0
; NumAgprs: 0
; TotalNumVgprs: 0
; ScratchSize: 0
; MemoryBound: 0
; FloatMode: 240
; IeeeMode: 1
; LDSByteSize: 0 bytes/workgroup (compile time only)
; SGPRBlocks: 0
; VGPRBlocks: 0
; NumSGPRsForWavesPerEU: 4
; NumVGPRsForWavesPerEU: 1
; AccumOffset: 4
; Occupancy: 8
; WaveLimiterHint : 0
; COMPUTE_PGM_RSRC2:SCRATCH_EN: 0
; COMPUTE_PGM_RSRC2:USER_SGPR: 6
; COMPUTE_PGM_RSRC2:TRAP_HANDLER: 0
; COMPUTE_PGM_RSRC2:TGID_X_EN: 1
; COMPUTE_PGM_RSRC2:TGID_Y_EN: 0
; COMPUTE_PGM_RSRC2:TGID_Z_EN: 0
; COMPUTE_PGM_RSRC2:TIDIG_COMP_CNT: 0
; COMPUTE_PGM_RSRC3_GFX90A:ACCUM_OFFSET: 0
; COMPUTE_PGM_RSRC3_GFX90A:TG_SPLIT: 0
	.section	.text._ZN7rocprim17ROCPRIM_400000_NS6detail17trampoline_kernelINS0_14default_configENS1_25transform_config_selectorIsLb0EEEZNS1_14transform_implILb0ES3_S5_NS0_18transform_iteratorINS0_17counting_iteratorImlEEZNS1_24adjacent_difference_implIS3_Lb1ELb0EPsSB_N6thrust23THRUST_200600_302600_NS5minusIsEEEE10hipError_tPvRmT2_T3_mT4_P12ihipStream_tbEUlmE_sEESB_NS0_8identityIvEEEESG_SJ_SK_mSL_SN_bEUlT_E_NS1_11comp_targetILNS1_3genE9ELNS1_11target_archE1100ELNS1_3gpuE3ELNS1_3repE0EEENS1_30default_config_static_selectorELNS0_4arch9wavefront6targetE1EEEvT1_,"axG",@progbits,_ZN7rocprim17ROCPRIM_400000_NS6detail17trampoline_kernelINS0_14default_configENS1_25transform_config_selectorIsLb0EEEZNS1_14transform_implILb0ES3_S5_NS0_18transform_iteratorINS0_17counting_iteratorImlEEZNS1_24adjacent_difference_implIS3_Lb1ELb0EPsSB_N6thrust23THRUST_200600_302600_NS5minusIsEEEE10hipError_tPvRmT2_T3_mT4_P12ihipStream_tbEUlmE_sEESB_NS0_8identityIvEEEESG_SJ_SK_mSL_SN_bEUlT_E_NS1_11comp_targetILNS1_3genE9ELNS1_11target_archE1100ELNS1_3gpuE3ELNS1_3repE0EEENS1_30default_config_static_selectorELNS0_4arch9wavefront6targetE1EEEvT1_,comdat
	.protected	_ZN7rocprim17ROCPRIM_400000_NS6detail17trampoline_kernelINS0_14default_configENS1_25transform_config_selectorIsLb0EEEZNS1_14transform_implILb0ES3_S5_NS0_18transform_iteratorINS0_17counting_iteratorImlEEZNS1_24adjacent_difference_implIS3_Lb1ELb0EPsSB_N6thrust23THRUST_200600_302600_NS5minusIsEEEE10hipError_tPvRmT2_T3_mT4_P12ihipStream_tbEUlmE_sEESB_NS0_8identityIvEEEESG_SJ_SK_mSL_SN_bEUlT_E_NS1_11comp_targetILNS1_3genE9ELNS1_11target_archE1100ELNS1_3gpuE3ELNS1_3repE0EEENS1_30default_config_static_selectorELNS0_4arch9wavefront6targetE1EEEvT1_ ; -- Begin function _ZN7rocprim17ROCPRIM_400000_NS6detail17trampoline_kernelINS0_14default_configENS1_25transform_config_selectorIsLb0EEEZNS1_14transform_implILb0ES3_S5_NS0_18transform_iteratorINS0_17counting_iteratorImlEEZNS1_24adjacent_difference_implIS3_Lb1ELb0EPsSB_N6thrust23THRUST_200600_302600_NS5minusIsEEEE10hipError_tPvRmT2_T3_mT4_P12ihipStream_tbEUlmE_sEESB_NS0_8identityIvEEEESG_SJ_SK_mSL_SN_bEUlT_E_NS1_11comp_targetILNS1_3genE9ELNS1_11target_archE1100ELNS1_3gpuE3ELNS1_3repE0EEENS1_30default_config_static_selectorELNS0_4arch9wavefront6targetE1EEEvT1_
	.globl	_ZN7rocprim17ROCPRIM_400000_NS6detail17trampoline_kernelINS0_14default_configENS1_25transform_config_selectorIsLb0EEEZNS1_14transform_implILb0ES3_S5_NS0_18transform_iteratorINS0_17counting_iteratorImlEEZNS1_24adjacent_difference_implIS3_Lb1ELb0EPsSB_N6thrust23THRUST_200600_302600_NS5minusIsEEEE10hipError_tPvRmT2_T3_mT4_P12ihipStream_tbEUlmE_sEESB_NS0_8identityIvEEEESG_SJ_SK_mSL_SN_bEUlT_E_NS1_11comp_targetILNS1_3genE9ELNS1_11target_archE1100ELNS1_3gpuE3ELNS1_3repE0EEENS1_30default_config_static_selectorELNS0_4arch9wavefront6targetE1EEEvT1_
	.p2align	8
	.type	_ZN7rocprim17ROCPRIM_400000_NS6detail17trampoline_kernelINS0_14default_configENS1_25transform_config_selectorIsLb0EEEZNS1_14transform_implILb0ES3_S5_NS0_18transform_iteratorINS0_17counting_iteratorImlEEZNS1_24adjacent_difference_implIS3_Lb1ELb0EPsSB_N6thrust23THRUST_200600_302600_NS5minusIsEEEE10hipError_tPvRmT2_T3_mT4_P12ihipStream_tbEUlmE_sEESB_NS0_8identityIvEEEESG_SJ_SK_mSL_SN_bEUlT_E_NS1_11comp_targetILNS1_3genE9ELNS1_11target_archE1100ELNS1_3gpuE3ELNS1_3repE0EEENS1_30default_config_static_selectorELNS0_4arch9wavefront6targetE1EEEvT1_,@function
_ZN7rocprim17ROCPRIM_400000_NS6detail17trampoline_kernelINS0_14default_configENS1_25transform_config_selectorIsLb0EEEZNS1_14transform_implILb0ES3_S5_NS0_18transform_iteratorINS0_17counting_iteratorImlEEZNS1_24adjacent_difference_implIS3_Lb1ELb0EPsSB_N6thrust23THRUST_200600_302600_NS5minusIsEEEE10hipError_tPvRmT2_T3_mT4_P12ihipStream_tbEUlmE_sEESB_NS0_8identityIvEEEESG_SJ_SK_mSL_SN_bEUlT_E_NS1_11comp_targetILNS1_3genE9ELNS1_11target_archE1100ELNS1_3gpuE3ELNS1_3repE0EEENS1_30default_config_static_selectorELNS0_4arch9wavefront6targetE1EEEvT1_: ; @_ZN7rocprim17ROCPRIM_400000_NS6detail17trampoline_kernelINS0_14default_configENS1_25transform_config_selectorIsLb0EEEZNS1_14transform_implILb0ES3_S5_NS0_18transform_iteratorINS0_17counting_iteratorImlEEZNS1_24adjacent_difference_implIS3_Lb1ELb0EPsSB_N6thrust23THRUST_200600_302600_NS5minusIsEEEE10hipError_tPvRmT2_T3_mT4_P12ihipStream_tbEUlmE_sEESB_NS0_8identityIvEEEESG_SJ_SK_mSL_SN_bEUlT_E_NS1_11comp_targetILNS1_3genE9ELNS1_11target_archE1100ELNS1_3gpuE3ELNS1_3repE0EEENS1_30default_config_static_selectorELNS0_4arch9wavefront6targetE1EEEvT1_
; %bb.0:
	.section	.rodata,"a",@progbits
	.p2align	6, 0x0
	.amdhsa_kernel _ZN7rocprim17ROCPRIM_400000_NS6detail17trampoline_kernelINS0_14default_configENS1_25transform_config_selectorIsLb0EEEZNS1_14transform_implILb0ES3_S5_NS0_18transform_iteratorINS0_17counting_iteratorImlEEZNS1_24adjacent_difference_implIS3_Lb1ELb0EPsSB_N6thrust23THRUST_200600_302600_NS5minusIsEEEE10hipError_tPvRmT2_T3_mT4_P12ihipStream_tbEUlmE_sEESB_NS0_8identityIvEEEESG_SJ_SK_mSL_SN_bEUlT_E_NS1_11comp_targetILNS1_3genE9ELNS1_11target_archE1100ELNS1_3gpuE3ELNS1_3repE0EEENS1_30default_config_static_selectorELNS0_4arch9wavefront6targetE1EEEvT1_
		.amdhsa_group_segment_fixed_size 0
		.amdhsa_private_segment_fixed_size 0
		.amdhsa_kernarg_size 56
		.amdhsa_user_sgpr_count 6
		.amdhsa_user_sgpr_private_segment_buffer 1
		.amdhsa_user_sgpr_dispatch_ptr 0
		.amdhsa_user_sgpr_queue_ptr 0
		.amdhsa_user_sgpr_kernarg_segment_ptr 1
		.amdhsa_user_sgpr_dispatch_id 0
		.amdhsa_user_sgpr_flat_scratch_init 0
		.amdhsa_user_sgpr_kernarg_preload_length 0
		.amdhsa_user_sgpr_kernarg_preload_offset 0
		.amdhsa_user_sgpr_private_segment_size 0
		.amdhsa_uses_dynamic_stack 0
		.amdhsa_system_sgpr_private_segment_wavefront_offset 0
		.amdhsa_system_sgpr_workgroup_id_x 1
		.amdhsa_system_sgpr_workgroup_id_y 0
		.amdhsa_system_sgpr_workgroup_id_z 0
		.amdhsa_system_sgpr_workgroup_info 0
		.amdhsa_system_vgpr_workitem_id 0
		.amdhsa_next_free_vgpr 1
		.amdhsa_next_free_sgpr 0
		.amdhsa_accum_offset 4
		.amdhsa_reserve_vcc 0
		.amdhsa_reserve_flat_scratch 0
		.amdhsa_float_round_mode_32 0
		.amdhsa_float_round_mode_16_64 0
		.amdhsa_float_denorm_mode_32 3
		.amdhsa_float_denorm_mode_16_64 3
		.amdhsa_dx10_clamp 1
		.amdhsa_ieee_mode 1
		.amdhsa_fp16_overflow 0
		.amdhsa_tg_split 0
		.amdhsa_exception_fp_ieee_invalid_op 0
		.amdhsa_exception_fp_denorm_src 0
		.amdhsa_exception_fp_ieee_div_zero 0
		.amdhsa_exception_fp_ieee_overflow 0
		.amdhsa_exception_fp_ieee_underflow 0
		.amdhsa_exception_fp_ieee_inexact 0
		.amdhsa_exception_int_div_zero 0
	.end_amdhsa_kernel
	.section	.text._ZN7rocprim17ROCPRIM_400000_NS6detail17trampoline_kernelINS0_14default_configENS1_25transform_config_selectorIsLb0EEEZNS1_14transform_implILb0ES3_S5_NS0_18transform_iteratorINS0_17counting_iteratorImlEEZNS1_24adjacent_difference_implIS3_Lb1ELb0EPsSB_N6thrust23THRUST_200600_302600_NS5minusIsEEEE10hipError_tPvRmT2_T3_mT4_P12ihipStream_tbEUlmE_sEESB_NS0_8identityIvEEEESG_SJ_SK_mSL_SN_bEUlT_E_NS1_11comp_targetILNS1_3genE9ELNS1_11target_archE1100ELNS1_3gpuE3ELNS1_3repE0EEENS1_30default_config_static_selectorELNS0_4arch9wavefront6targetE1EEEvT1_,"axG",@progbits,_ZN7rocprim17ROCPRIM_400000_NS6detail17trampoline_kernelINS0_14default_configENS1_25transform_config_selectorIsLb0EEEZNS1_14transform_implILb0ES3_S5_NS0_18transform_iteratorINS0_17counting_iteratorImlEEZNS1_24adjacent_difference_implIS3_Lb1ELb0EPsSB_N6thrust23THRUST_200600_302600_NS5minusIsEEEE10hipError_tPvRmT2_T3_mT4_P12ihipStream_tbEUlmE_sEESB_NS0_8identityIvEEEESG_SJ_SK_mSL_SN_bEUlT_E_NS1_11comp_targetILNS1_3genE9ELNS1_11target_archE1100ELNS1_3gpuE3ELNS1_3repE0EEENS1_30default_config_static_selectorELNS0_4arch9wavefront6targetE1EEEvT1_,comdat
.Lfunc_end67:
	.size	_ZN7rocprim17ROCPRIM_400000_NS6detail17trampoline_kernelINS0_14default_configENS1_25transform_config_selectorIsLb0EEEZNS1_14transform_implILb0ES3_S5_NS0_18transform_iteratorINS0_17counting_iteratorImlEEZNS1_24adjacent_difference_implIS3_Lb1ELb0EPsSB_N6thrust23THRUST_200600_302600_NS5minusIsEEEE10hipError_tPvRmT2_T3_mT4_P12ihipStream_tbEUlmE_sEESB_NS0_8identityIvEEEESG_SJ_SK_mSL_SN_bEUlT_E_NS1_11comp_targetILNS1_3genE9ELNS1_11target_archE1100ELNS1_3gpuE3ELNS1_3repE0EEENS1_30default_config_static_selectorELNS0_4arch9wavefront6targetE1EEEvT1_, .Lfunc_end67-_ZN7rocprim17ROCPRIM_400000_NS6detail17trampoline_kernelINS0_14default_configENS1_25transform_config_selectorIsLb0EEEZNS1_14transform_implILb0ES3_S5_NS0_18transform_iteratorINS0_17counting_iteratorImlEEZNS1_24adjacent_difference_implIS3_Lb1ELb0EPsSB_N6thrust23THRUST_200600_302600_NS5minusIsEEEE10hipError_tPvRmT2_T3_mT4_P12ihipStream_tbEUlmE_sEESB_NS0_8identityIvEEEESG_SJ_SK_mSL_SN_bEUlT_E_NS1_11comp_targetILNS1_3genE9ELNS1_11target_archE1100ELNS1_3gpuE3ELNS1_3repE0EEENS1_30default_config_static_selectorELNS0_4arch9wavefront6targetE1EEEvT1_
                                        ; -- End function
	.section	.AMDGPU.csdata,"",@progbits
; Kernel info:
; codeLenInByte = 0
; NumSgprs: 4
; NumVgprs: 0
; NumAgprs: 0
; TotalNumVgprs: 0
; ScratchSize: 0
; MemoryBound: 0
; FloatMode: 240
; IeeeMode: 1
; LDSByteSize: 0 bytes/workgroup (compile time only)
; SGPRBlocks: 0
; VGPRBlocks: 0
; NumSGPRsForWavesPerEU: 4
; NumVGPRsForWavesPerEU: 1
; AccumOffset: 4
; Occupancy: 8
; WaveLimiterHint : 0
; COMPUTE_PGM_RSRC2:SCRATCH_EN: 0
; COMPUTE_PGM_RSRC2:USER_SGPR: 6
; COMPUTE_PGM_RSRC2:TRAP_HANDLER: 0
; COMPUTE_PGM_RSRC2:TGID_X_EN: 1
; COMPUTE_PGM_RSRC2:TGID_Y_EN: 0
; COMPUTE_PGM_RSRC2:TGID_Z_EN: 0
; COMPUTE_PGM_RSRC2:TIDIG_COMP_CNT: 0
; COMPUTE_PGM_RSRC3_GFX90A:ACCUM_OFFSET: 0
; COMPUTE_PGM_RSRC3_GFX90A:TG_SPLIT: 0
	.section	.text._ZN7rocprim17ROCPRIM_400000_NS6detail17trampoline_kernelINS0_14default_configENS1_25transform_config_selectorIsLb0EEEZNS1_14transform_implILb0ES3_S5_NS0_18transform_iteratorINS0_17counting_iteratorImlEEZNS1_24adjacent_difference_implIS3_Lb1ELb0EPsSB_N6thrust23THRUST_200600_302600_NS5minusIsEEEE10hipError_tPvRmT2_T3_mT4_P12ihipStream_tbEUlmE_sEESB_NS0_8identityIvEEEESG_SJ_SK_mSL_SN_bEUlT_E_NS1_11comp_targetILNS1_3genE8ELNS1_11target_archE1030ELNS1_3gpuE2ELNS1_3repE0EEENS1_30default_config_static_selectorELNS0_4arch9wavefront6targetE1EEEvT1_,"axG",@progbits,_ZN7rocprim17ROCPRIM_400000_NS6detail17trampoline_kernelINS0_14default_configENS1_25transform_config_selectorIsLb0EEEZNS1_14transform_implILb0ES3_S5_NS0_18transform_iteratorINS0_17counting_iteratorImlEEZNS1_24adjacent_difference_implIS3_Lb1ELb0EPsSB_N6thrust23THRUST_200600_302600_NS5minusIsEEEE10hipError_tPvRmT2_T3_mT4_P12ihipStream_tbEUlmE_sEESB_NS0_8identityIvEEEESG_SJ_SK_mSL_SN_bEUlT_E_NS1_11comp_targetILNS1_3genE8ELNS1_11target_archE1030ELNS1_3gpuE2ELNS1_3repE0EEENS1_30default_config_static_selectorELNS0_4arch9wavefront6targetE1EEEvT1_,comdat
	.protected	_ZN7rocprim17ROCPRIM_400000_NS6detail17trampoline_kernelINS0_14default_configENS1_25transform_config_selectorIsLb0EEEZNS1_14transform_implILb0ES3_S5_NS0_18transform_iteratorINS0_17counting_iteratorImlEEZNS1_24adjacent_difference_implIS3_Lb1ELb0EPsSB_N6thrust23THRUST_200600_302600_NS5minusIsEEEE10hipError_tPvRmT2_T3_mT4_P12ihipStream_tbEUlmE_sEESB_NS0_8identityIvEEEESG_SJ_SK_mSL_SN_bEUlT_E_NS1_11comp_targetILNS1_3genE8ELNS1_11target_archE1030ELNS1_3gpuE2ELNS1_3repE0EEENS1_30default_config_static_selectorELNS0_4arch9wavefront6targetE1EEEvT1_ ; -- Begin function _ZN7rocprim17ROCPRIM_400000_NS6detail17trampoline_kernelINS0_14default_configENS1_25transform_config_selectorIsLb0EEEZNS1_14transform_implILb0ES3_S5_NS0_18transform_iteratorINS0_17counting_iteratorImlEEZNS1_24adjacent_difference_implIS3_Lb1ELb0EPsSB_N6thrust23THRUST_200600_302600_NS5minusIsEEEE10hipError_tPvRmT2_T3_mT4_P12ihipStream_tbEUlmE_sEESB_NS0_8identityIvEEEESG_SJ_SK_mSL_SN_bEUlT_E_NS1_11comp_targetILNS1_3genE8ELNS1_11target_archE1030ELNS1_3gpuE2ELNS1_3repE0EEENS1_30default_config_static_selectorELNS0_4arch9wavefront6targetE1EEEvT1_
	.globl	_ZN7rocprim17ROCPRIM_400000_NS6detail17trampoline_kernelINS0_14default_configENS1_25transform_config_selectorIsLb0EEEZNS1_14transform_implILb0ES3_S5_NS0_18transform_iteratorINS0_17counting_iteratorImlEEZNS1_24adjacent_difference_implIS3_Lb1ELb0EPsSB_N6thrust23THRUST_200600_302600_NS5minusIsEEEE10hipError_tPvRmT2_T3_mT4_P12ihipStream_tbEUlmE_sEESB_NS0_8identityIvEEEESG_SJ_SK_mSL_SN_bEUlT_E_NS1_11comp_targetILNS1_3genE8ELNS1_11target_archE1030ELNS1_3gpuE2ELNS1_3repE0EEENS1_30default_config_static_selectorELNS0_4arch9wavefront6targetE1EEEvT1_
	.p2align	8
	.type	_ZN7rocprim17ROCPRIM_400000_NS6detail17trampoline_kernelINS0_14default_configENS1_25transform_config_selectorIsLb0EEEZNS1_14transform_implILb0ES3_S5_NS0_18transform_iteratorINS0_17counting_iteratorImlEEZNS1_24adjacent_difference_implIS3_Lb1ELb0EPsSB_N6thrust23THRUST_200600_302600_NS5minusIsEEEE10hipError_tPvRmT2_T3_mT4_P12ihipStream_tbEUlmE_sEESB_NS0_8identityIvEEEESG_SJ_SK_mSL_SN_bEUlT_E_NS1_11comp_targetILNS1_3genE8ELNS1_11target_archE1030ELNS1_3gpuE2ELNS1_3repE0EEENS1_30default_config_static_selectorELNS0_4arch9wavefront6targetE1EEEvT1_,@function
_ZN7rocprim17ROCPRIM_400000_NS6detail17trampoline_kernelINS0_14default_configENS1_25transform_config_selectorIsLb0EEEZNS1_14transform_implILb0ES3_S5_NS0_18transform_iteratorINS0_17counting_iteratorImlEEZNS1_24adjacent_difference_implIS3_Lb1ELb0EPsSB_N6thrust23THRUST_200600_302600_NS5minusIsEEEE10hipError_tPvRmT2_T3_mT4_P12ihipStream_tbEUlmE_sEESB_NS0_8identityIvEEEESG_SJ_SK_mSL_SN_bEUlT_E_NS1_11comp_targetILNS1_3genE8ELNS1_11target_archE1030ELNS1_3gpuE2ELNS1_3repE0EEENS1_30default_config_static_selectorELNS0_4arch9wavefront6targetE1EEEvT1_: ; @_ZN7rocprim17ROCPRIM_400000_NS6detail17trampoline_kernelINS0_14default_configENS1_25transform_config_selectorIsLb0EEEZNS1_14transform_implILb0ES3_S5_NS0_18transform_iteratorINS0_17counting_iteratorImlEEZNS1_24adjacent_difference_implIS3_Lb1ELb0EPsSB_N6thrust23THRUST_200600_302600_NS5minusIsEEEE10hipError_tPvRmT2_T3_mT4_P12ihipStream_tbEUlmE_sEESB_NS0_8identityIvEEEESG_SJ_SK_mSL_SN_bEUlT_E_NS1_11comp_targetILNS1_3genE8ELNS1_11target_archE1030ELNS1_3gpuE2ELNS1_3repE0EEENS1_30default_config_static_selectorELNS0_4arch9wavefront6targetE1EEEvT1_
; %bb.0:
	.section	.rodata,"a",@progbits
	.p2align	6, 0x0
	.amdhsa_kernel _ZN7rocprim17ROCPRIM_400000_NS6detail17trampoline_kernelINS0_14default_configENS1_25transform_config_selectorIsLb0EEEZNS1_14transform_implILb0ES3_S5_NS0_18transform_iteratorINS0_17counting_iteratorImlEEZNS1_24adjacent_difference_implIS3_Lb1ELb0EPsSB_N6thrust23THRUST_200600_302600_NS5minusIsEEEE10hipError_tPvRmT2_T3_mT4_P12ihipStream_tbEUlmE_sEESB_NS0_8identityIvEEEESG_SJ_SK_mSL_SN_bEUlT_E_NS1_11comp_targetILNS1_3genE8ELNS1_11target_archE1030ELNS1_3gpuE2ELNS1_3repE0EEENS1_30default_config_static_selectorELNS0_4arch9wavefront6targetE1EEEvT1_
		.amdhsa_group_segment_fixed_size 0
		.amdhsa_private_segment_fixed_size 0
		.amdhsa_kernarg_size 56
		.amdhsa_user_sgpr_count 6
		.amdhsa_user_sgpr_private_segment_buffer 1
		.amdhsa_user_sgpr_dispatch_ptr 0
		.amdhsa_user_sgpr_queue_ptr 0
		.amdhsa_user_sgpr_kernarg_segment_ptr 1
		.amdhsa_user_sgpr_dispatch_id 0
		.amdhsa_user_sgpr_flat_scratch_init 0
		.amdhsa_user_sgpr_kernarg_preload_length 0
		.amdhsa_user_sgpr_kernarg_preload_offset 0
		.amdhsa_user_sgpr_private_segment_size 0
		.amdhsa_uses_dynamic_stack 0
		.amdhsa_system_sgpr_private_segment_wavefront_offset 0
		.amdhsa_system_sgpr_workgroup_id_x 1
		.amdhsa_system_sgpr_workgroup_id_y 0
		.amdhsa_system_sgpr_workgroup_id_z 0
		.amdhsa_system_sgpr_workgroup_info 0
		.amdhsa_system_vgpr_workitem_id 0
		.amdhsa_next_free_vgpr 1
		.amdhsa_next_free_sgpr 0
		.amdhsa_accum_offset 4
		.amdhsa_reserve_vcc 0
		.amdhsa_reserve_flat_scratch 0
		.amdhsa_float_round_mode_32 0
		.amdhsa_float_round_mode_16_64 0
		.amdhsa_float_denorm_mode_32 3
		.amdhsa_float_denorm_mode_16_64 3
		.amdhsa_dx10_clamp 1
		.amdhsa_ieee_mode 1
		.amdhsa_fp16_overflow 0
		.amdhsa_tg_split 0
		.amdhsa_exception_fp_ieee_invalid_op 0
		.amdhsa_exception_fp_denorm_src 0
		.amdhsa_exception_fp_ieee_div_zero 0
		.amdhsa_exception_fp_ieee_overflow 0
		.amdhsa_exception_fp_ieee_underflow 0
		.amdhsa_exception_fp_ieee_inexact 0
		.amdhsa_exception_int_div_zero 0
	.end_amdhsa_kernel
	.section	.text._ZN7rocprim17ROCPRIM_400000_NS6detail17trampoline_kernelINS0_14default_configENS1_25transform_config_selectorIsLb0EEEZNS1_14transform_implILb0ES3_S5_NS0_18transform_iteratorINS0_17counting_iteratorImlEEZNS1_24adjacent_difference_implIS3_Lb1ELb0EPsSB_N6thrust23THRUST_200600_302600_NS5minusIsEEEE10hipError_tPvRmT2_T3_mT4_P12ihipStream_tbEUlmE_sEESB_NS0_8identityIvEEEESG_SJ_SK_mSL_SN_bEUlT_E_NS1_11comp_targetILNS1_3genE8ELNS1_11target_archE1030ELNS1_3gpuE2ELNS1_3repE0EEENS1_30default_config_static_selectorELNS0_4arch9wavefront6targetE1EEEvT1_,"axG",@progbits,_ZN7rocprim17ROCPRIM_400000_NS6detail17trampoline_kernelINS0_14default_configENS1_25transform_config_selectorIsLb0EEEZNS1_14transform_implILb0ES3_S5_NS0_18transform_iteratorINS0_17counting_iteratorImlEEZNS1_24adjacent_difference_implIS3_Lb1ELb0EPsSB_N6thrust23THRUST_200600_302600_NS5minusIsEEEE10hipError_tPvRmT2_T3_mT4_P12ihipStream_tbEUlmE_sEESB_NS0_8identityIvEEEESG_SJ_SK_mSL_SN_bEUlT_E_NS1_11comp_targetILNS1_3genE8ELNS1_11target_archE1030ELNS1_3gpuE2ELNS1_3repE0EEENS1_30default_config_static_selectorELNS0_4arch9wavefront6targetE1EEEvT1_,comdat
.Lfunc_end68:
	.size	_ZN7rocprim17ROCPRIM_400000_NS6detail17trampoline_kernelINS0_14default_configENS1_25transform_config_selectorIsLb0EEEZNS1_14transform_implILb0ES3_S5_NS0_18transform_iteratorINS0_17counting_iteratorImlEEZNS1_24adjacent_difference_implIS3_Lb1ELb0EPsSB_N6thrust23THRUST_200600_302600_NS5minusIsEEEE10hipError_tPvRmT2_T3_mT4_P12ihipStream_tbEUlmE_sEESB_NS0_8identityIvEEEESG_SJ_SK_mSL_SN_bEUlT_E_NS1_11comp_targetILNS1_3genE8ELNS1_11target_archE1030ELNS1_3gpuE2ELNS1_3repE0EEENS1_30default_config_static_selectorELNS0_4arch9wavefront6targetE1EEEvT1_, .Lfunc_end68-_ZN7rocprim17ROCPRIM_400000_NS6detail17trampoline_kernelINS0_14default_configENS1_25transform_config_selectorIsLb0EEEZNS1_14transform_implILb0ES3_S5_NS0_18transform_iteratorINS0_17counting_iteratorImlEEZNS1_24adjacent_difference_implIS3_Lb1ELb0EPsSB_N6thrust23THRUST_200600_302600_NS5minusIsEEEE10hipError_tPvRmT2_T3_mT4_P12ihipStream_tbEUlmE_sEESB_NS0_8identityIvEEEESG_SJ_SK_mSL_SN_bEUlT_E_NS1_11comp_targetILNS1_3genE8ELNS1_11target_archE1030ELNS1_3gpuE2ELNS1_3repE0EEENS1_30default_config_static_selectorELNS0_4arch9wavefront6targetE1EEEvT1_
                                        ; -- End function
	.section	.AMDGPU.csdata,"",@progbits
; Kernel info:
; codeLenInByte = 0
; NumSgprs: 4
; NumVgprs: 0
; NumAgprs: 0
; TotalNumVgprs: 0
; ScratchSize: 0
; MemoryBound: 0
; FloatMode: 240
; IeeeMode: 1
; LDSByteSize: 0 bytes/workgroup (compile time only)
; SGPRBlocks: 0
; VGPRBlocks: 0
; NumSGPRsForWavesPerEU: 4
; NumVGPRsForWavesPerEU: 1
; AccumOffset: 4
; Occupancy: 8
; WaveLimiterHint : 0
; COMPUTE_PGM_RSRC2:SCRATCH_EN: 0
; COMPUTE_PGM_RSRC2:USER_SGPR: 6
; COMPUTE_PGM_RSRC2:TRAP_HANDLER: 0
; COMPUTE_PGM_RSRC2:TGID_X_EN: 1
; COMPUTE_PGM_RSRC2:TGID_Y_EN: 0
; COMPUTE_PGM_RSRC2:TGID_Z_EN: 0
; COMPUTE_PGM_RSRC2:TIDIG_COMP_CNT: 0
; COMPUTE_PGM_RSRC3_GFX90A:ACCUM_OFFSET: 0
; COMPUTE_PGM_RSRC3_GFX90A:TG_SPLIT: 0
	.section	.text._ZN7rocprim17ROCPRIM_400000_NS6detail17trampoline_kernelINS0_14default_configENS1_35adjacent_difference_config_selectorILb1EsEEZNS1_24adjacent_difference_implIS3_Lb1ELb0EPsS7_N6thrust23THRUST_200600_302600_NS5minusIsEEEE10hipError_tPvRmT2_T3_mT4_P12ihipStream_tbEUlT_E_NS1_11comp_targetILNS1_3genE0ELNS1_11target_archE4294967295ELNS1_3gpuE0ELNS1_3repE0EEENS1_30default_config_static_selectorELNS0_4arch9wavefront6targetE1EEEvT1_,"axG",@progbits,_ZN7rocprim17ROCPRIM_400000_NS6detail17trampoline_kernelINS0_14default_configENS1_35adjacent_difference_config_selectorILb1EsEEZNS1_24adjacent_difference_implIS3_Lb1ELb0EPsS7_N6thrust23THRUST_200600_302600_NS5minusIsEEEE10hipError_tPvRmT2_T3_mT4_P12ihipStream_tbEUlT_E_NS1_11comp_targetILNS1_3genE0ELNS1_11target_archE4294967295ELNS1_3gpuE0ELNS1_3repE0EEENS1_30default_config_static_selectorELNS0_4arch9wavefront6targetE1EEEvT1_,comdat
	.protected	_ZN7rocprim17ROCPRIM_400000_NS6detail17trampoline_kernelINS0_14default_configENS1_35adjacent_difference_config_selectorILb1EsEEZNS1_24adjacent_difference_implIS3_Lb1ELb0EPsS7_N6thrust23THRUST_200600_302600_NS5minusIsEEEE10hipError_tPvRmT2_T3_mT4_P12ihipStream_tbEUlT_E_NS1_11comp_targetILNS1_3genE0ELNS1_11target_archE4294967295ELNS1_3gpuE0ELNS1_3repE0EEENS1_30default_config_static_selectorELNS0_4arch9wavefront6targetE1EEEvT1_ ; -- Begin function _ZN7rocprim17ROCPRIM_400000_NS6detail17trampoline_kernelINS0_14default_configENS1_35adjacent_difference_config_selectorILb1EsEEZNS1_24adjacent_difference_implIS3_Lb1ELb0EPsS7_N6thrust23THRUST_200600_302600_NS5minusIsEEEE10hipError_tPvRmT2_T3_mT4_P12ihipStream_tbEUlT_E_NS1_11comp_targetILNS1_3genE0ELNS1_11target_archE4294967295ELNS1_3gpuE0ELNS1_3repE0EEENS1_30default_config_static_selectorELNS0_4arch9wavefront6targetE1EEEvT1_
	.globl	_ZN7rocprim17ROCPRIM_400000_NS6detail17trampoline_kernelINS0_14default_configENS1_35adjacent_difference_config_selectorILb1EsEEZNS1_24adjacent_difference_implIS3_Lb1ELb0EPsS7_N6thrust23THRUST_200600_302600_NS5minusIsEEEE10hipError_tPvRmT2_T3_mT4_P12ihipStream_tbEUlT_E_NS1_11comp_targetILNS1_3genE0ELNS1_11target_archE4294967295ELNS1_3gpuE0ELNS1_3repE0EEENS1_30default_config_static_selectorELNS0_4arch9wavefront6targetE1EEEvT1_
	.p2align	8
	.type	_ZN7rocprim17ROCPRIM_400000_NS6detail17trampoline_kernelINS0_14default_configENS1_35adjacent_difference_config_selectorILb1EsEEZNS1_24adjacent_difference_implIS3_Lb1ELb0EPsS7_N6thrust23THRUST_200600_302600_NS5minusIsEEEE10hipError_tPvRmT2_T3_mT4_P12ihipStream_tbEUlT_E_NS1_11comp_targetILNS1_3genE0ELNS1_11target_archE4294967295ELNS1_3gpuE0ELNS1_3repE0EEENS1_30default_config_static_selectorELNS0_4arch9wavefront6targetE1EEEvT1_,@function
_ZN7rocprim17ROCPRIM_400000_NS6detail17trampoline_kernelINS0_14default_configENS1_35adjacent_difference_config_selectorILb1EsEEZNS1_24adjacent_difference_implIS3_Lb1ELb0EPsS7_N6thrust23THRUST_200600_302600_NS5minusIsEEEE10hipError_tPvRmT2_T3_mT4_P12ihipStream_tbEUlT_E_NS1_11comp_targetILNS1_3genE0ELNS1_11target_archE4294967295ELNS1_3gpuE0ELNS1_3repE0EEENS1_30default_config_static_selectorELNS0_4arch9wavefront6targetE1EEEvT1_: ; @_ZN7rocprim17ROCPRIM_400000_NS6detail17trampoline_kernelINS0_14default_configENS1_35adjacent_difference_config_selectorILb1EsEEZNS1_24adjacent_difference_implIS3_Lb1ELb0EPsS7_N6thrust23THRUST_200600_302600_NS5minusIsEEEE10hipError_tPvRmT2_T3_mT4_P12ihipStream_tbEUlT_E_NS1_11comp_targetILNS1_3genE0ELNS1_11target_archE4294967295ELNS1_3gpuE0ELNS1_3repE0EEENS1_30default_config_static_selectorELNS0_4arch9wavefront6targetE1EEEvT1_
; %bb.0:
	.section	.rodata,"a",@progbits
	.p2align	6, 0x0
	.amdhsa_kernel _ZN7rocprim17ROCPRIM_400000_NS6detail17trampoline_kernelINS0_14default_configENS1_35adjacent_difference_config_selectorILb1EsEEZNS1_24adjacent_difference_implIS3_Lb1ELb0EPsS7_N6thrust23THRUST_200600_302600_NS5minusIsEEEE10hipError_tPvRmT2_T3_mT4_P12ihipStream_tbEUlT_E_NS1_11comp_targetILNS1_3genE0ELNS1_11target_archE4294967295ELNS1_3gpuE0ELNS1_3repE0EEENS1_30default_config_static_selectorELNS0_4arch9wavefront6targetE1EEEvT1_
		.amdhsa_group_segment_fixed_size 0
		.amdhsa_private_segment_fixed_size 0
		.amdhsa_kernarg_size 56
		.amdhsa_user_sgpr_count 6
		.amdhsa_user_sgpr_private_segment_buffer 1
		.amdhsa_user_sgpr_dispatch_ptr 0
		.amdhsa_user_sgpr_queue_ptr 0
		.amdhsa_user_sgpr_kernarg_segment_ptr 1
		.amdhsa_user_sgpr_dispatch_id 0
		.amdhsa_user_sgpr_flat_scratch_init 0
		.amdhsa_user_sgpr_kernarg_preload_length 0
		.amdhsa_user_sgpr_kernarg_preload_offset 0
		.amdhsa_user_sgpr_private_segment_size 0
		.amdhsa_uses_dynamic_stack 0
		.amdhsa_system_sgpr_private_segment_wavefront_offset 0
		.amdhsa_system_sgpr_workgroup_id_x 1
		.amdhsa_system_sgpr_workgroup_id_y 0
		.amdhsa_system_sgpr_workgroup_id_z 0
		.amdhsa_system_sgpr_workgroup_info 0
		.amdhsa_system_vgpr_workitem_id 0
		.amdhsa_next_free_vgpr 1
		.amdhsa_next_free_sgpr 0
		.amdhsa_accum_offset 4
		.amdhsa_reserve_vcc 0
		.amdhsa_reserve_flat_scratch 0
		.amdhsa_float_round_mode_32 0
		.amdhsa_float_round_mode_16_64 0
		.amdhsa_float_denorm_mode_32 3
		.amdhsa_float_denorm_mode_16_64 3
		.amdhsa_dx10_clamp 1
		.amdhsa_ieee_mode 1
		.amdhsa_fp16_overflow 0
		.amdhsa_tg_split 0
		.amdhsa_exception_fp_ieee_invalid_op 0
		.amdhsa_exception_fp_denorm_src 0
		.amdhsa_exception_fp_ieee_div_zero 0
		.amdhsa_exception_fp_ieee_overflow 0
		.amdhsa_exception_fp_ieee_underflow 0
		.amdhsa_exception_fp_ieee_inexact 0
		.amdhsa_exception_int_div_zero 0
	.end_amdhsa_kernel
	.section	.text._ZN7rocprim17ROCPRIM_400000_NS6detail17trampoline_kernelINS0_14default_configENS1_35adjacent_difference_config_selectorILb1EsEEZNS1_24adjacent_difference_implIS3_Lb1ELb0EPsS7_N6thrust23THRUST_200600_302600_NS5minusIsEEEE10hipError_tPvRmT2_T3_mT4_P12ihipStream_tbEUlT_E_NS1_11comp_targetILNS1_3genE0ELNS1_11target_archE4294967295ELNS1_3gpuE0ELNS1_3repE0EEENS1_30default_config_static_selectorELNS0_4arch9wavefront6targetE1EEEvT1_,"axG",@progbits,_ZN7rocprim17ROCPRIM_400000_NS6detail17trampoline_kernelINS0_14default_configENS1_35adjacent_difference_config_selectorILb1EsEEZNS1_24adjacent_difference_implIS3_Lb1ELb0EPsS7_N6thrust23THRUST_200600_302600_NS5minusIsEEEE10hipError_tPvRmT2_T3_mT4_P12ihipStream_tbEUlT_E_NS1_11comp_targetILNS1_3genE0ELNS1_11target_archE4294967295ELNS1_3gpuE0ELNS1_3repE0EEENS1_30default_config_static_selectorELNS0_4arch9wavefront6targetE1EEEvT1_,comdat
.Lfunc_end69:
	.size	_ZN7rocprim17ROCPRIM_400000_NS6detail17trampoline_kernelINS0_14default_configENS1_35adjacent_difference_config_selectorILb1EsEEZNS1_24adjacent_difference_implIS3_Lb1ELb0EPsS7_N6thrust23THRUST_200600_302600_NS5minusIsEEEE10hipError_tPvRmT2_T3_mT4_P12ihipStream_tbEUlT_E_NS1_11comp_targetILNS1_3genE0ELNS1_11target_archE4294967295ELNS1_3gpuE0ELNS1_3repE0EEENS1_30default_config_static_selectorELNS0_4arch9wavefront6targetE1EEEvT1_, .Lfunc_end69-_ZN7rocprim17ROCPRIM_400000_NS6detail17trampoline_kernelINS0_14default_configENS1_35adjacent_difference_config_selectorILb1EsEEZNS1_24adjacent_difference_implIS3_Lb1ELb0EPsS7_N6thrust23THRUST_200600_302600_NS5minusIsEEEE10hipError_tPvRmT2_T3_mT4_P12ihipStream_tbEUlT_E_NS1_11comp_targetILNS1_3genE0ELNS1_11target_archE4294967295ELNS1_3gpuE0ELNS1_3repE0EEENS1_30default_config_static_selectorELNS0_4arch9wavefront6targetE1EEEvT1_
                                        ; -- End function
	.section	.AMDGPU.csdata,"",@progbits
; Kernel info:
; codeLenInByte = 0
; NumSgprs: 4
; NumVgprs: 0
; NumAgprs: 0
; TotalNumVgprs: 0
; ScratchSize: 0
; MemoryBound: 0
; FloatMode: 240
; IeeeMode: 1
; LDSByteSize: 0 bytes/workgroup (compile time only)
; SGPRBlocks: 0
; VGPRBlocks: 0
; NumSGPRsForWavesPerEU: 4
; NumVGPRsForWavesPerEU: 1
; AccumOffset: 4
; Occupancy: 8
; WaveLimiterHint : 0
; COMPUTE_PGM_RSRC2:SCRATCH_EN: 0
; COMPUTE_PGM_RSRC2:USER_SGPR: 6
; COMPUTE_PGM_RSRC2:TRAP_HANDLER: 0
; COMPUTE_PGM_RSRC2:TGID_X_EN: 1
; COMPUTE_PGM_RSRC2:TGID_Y_EN: 0
; COMPUTE_PGM_RSRC2:TGID_Z_EN: 0
; COMPUTE_PGM_RSRC2:TIDIG_COMP_CNT: 0
; COMPUTE_PGM_RSRC3_GFX90A:ACCUM_OFFSET: 0
; COMPUTE_PGM_RSRC3_GFX90A:TG_SPLIT: 0
	.section	.text._ZN7rocprim17ROCPRIM_400000_NS6detail17trampoline_kernelINS0_14default_configENS1_35adjacent_difference_config_selectorILb1EsEEZNS1_24adjacent_difference_implIS3_Lb1ELb0EPsS7_N6thrust23THRUST_200600_302600_NS5minusIsEEEE10hipError_tPvRmT2_T3_mT4_P12ihipStream_tbEUlT_E_NS1_11comp_targetILNS1_3genE10ELNS1_11target_archE1201ELNS1_3gpuE5ELNS1_3repE0EEENS1_30default_config_static_selectorELNS0_4arch9wavefront6targetE1EEEvT1_,"axG",@progbits,_ZN7rocprim17ROCPRIM_400000_NS6detail17trampoline_kernelINS0_14default_configENS1_35adjacent_difference_config_selectorILb1EsEEZNS1_24adjacent_difference_implIS3_Lb1ELb0EPsS7_N6thrust23THRUST_200600_302600_NS5minusIsEEEE10hipError_tPvRmT2_T3_mT4_P12ihipStream_tbEUlT_E_NS1_11comp_targetILNS1_3genE10ELNS1_11target_archE1201ELNS1_3gpuE5ELNS1_3repE0EEENS1_30default_config_static_selectorELNS0_4arch9wavefront6targetE1EEEvT1_,comdat
	.protected	_ZN7rocprim17ROCPRIM_400000_NS6detail17trampoline_kernelINS0_14default_configENS1_35adjacent_difference_config_selectorILb1EsEEZNS1_24adjacent_difference_implIS3_Lb1ELb0EPsS7_N6thrust23THRUST_200600_302600_NS5minusIsEEEE10hipError_tPvRmT2_T3_mT4_P12ihipStream_tbEUlT_E_NS1_11comp_targetILNS1_3genE10ELNS1_11target_archE1201ELNS1_3gpuE5ELNS1_3repE0EEENS1_30default_config_static_selectorELNS0_4arch9wavefront6targetE1EEEvT1_ ; -- Begin function _ZN7rocprim17ROCPRIM_400000_NS6detail17trampoline_kernelINS0_14default_configENS1_35adjacent_difference_config_selectorILb1EsEEZNS1_24adjacent_difference_implIS3_Lb1ELb0EPsS7_N6thrust23THRUST_200600_302600_NS5minusIsEEEE10hipError_tPvRmT2_T3_mT4_P12ihipStream_tbEUlT_E_NS1_11comp_targetILNS1_3genE10ELNS1_11target_archE1201ELNS1_3gpuE5ELNS1_3repE0EEENS1_30default_config_static_selectorELNS0_4arch9wavefront6targetE1EEEvT1_
	.globl	_ZN7rocprim17ROCPRIM_400000_NS6detail17trampoline_kernelINS0_14default_configENS1_35adjacent_difference_config_selectorILb1EsEEZNS1_24adjacent_difference_implIS3_Lb1ELb0EPsS7_N6thrust23THRUST_200600_302600_NS5minusIsEEEE10hipError_tPvRmT2_T3_mT4_P12ihipStream_tbEUlT_E_NS1_11comp_targetILNS1_3genE10ELNS1_11target_archE1201ELNS1_3gpuE5ELNS1_3repE0EEENS1_30default_config_static_selectorELNS0_4arch9wavefront6targetE1EEEvT1_
	.p2align	8
	.type	_ZN7rocprim17ROCPRIM_400000_NS6detail17trampoline_kernelINS0_14default_configENS1_35adjacent_difference_config_selectorILb1EsEEZNS1_24adjacent_difference_implIS3_Lb1ELb0EPsS7_N6thrust23THRUST_200600_302600_NS5minusIsEEEE10hipError_tPvRmT2_T3_mT4_P12ihipStream_tbEUlT_E_NS1_11comp_targetILNS1_3genE10ELNS1_11target_archE1201ELNS1_3gpuE5ELNS1_3repE0EEENS1_30default_config_static_selectorELNS0_4arch9wavefront6targetE1EEEvT1_,@function
_ZN7rocprim17ROCPRIM_400000_NS6detail17trampoline_kernelINS0_14default_configENS1_35adjacent_difference_config_selectorILb1EsEEZNS1_24adjacent_difference_implIS3_Lb1ELb0EPsS7_N6thrust23THRUST_200600_302600_NS5minusIsEEEE10hipError_tPvRmT2_T3_mT4_P12ihipStream_tbEUlT_E_NS1_11comp_targetILNS1_3genE10ELNS1_11target_archE1201ELNS1_3gpuE5ELNS1_3repE0EEENS1_30default_config_static_selectorELNS0_4arch9wavefront6targetE1EEEvT1_: ; @_ZN7rocprim17ROCPRIM_400000_NS6detail17trampoline_kernelINS0_14default_configENS1_35adjacent_difference_config_selectorILb1EsEEZNS1_24adjacent_difference_implIS3_Lb1ELb0EPsS7_N6thrust23THRUST_200600_302600_NS5minusIsEEEE10hipError_tPvRmT2_T3_mT4_P12ihipStream_tbEUlT_E_NS1_11comp_targetILNS1_3genE10ELNS1_11target_archE1201ELNS1_3gpuE5ELNS1_3repE0EEENS1_30default_config_static_selectorELNS0_4arch9wavefront6targetE1EEEvT1_
; %bb.0:
	.section	.rodata,"a",@progbits
	.p2align	6, 0x0
	.amdhsa_kernel _ZN7rocprim17ROCPRIM_400000_NS6detail17trampoline_kernelINS0_14default_configENS1_35adjacent_difference_config_selectorILb1EsEEZNS1_24adjacent_difference_implIS3_Lb1ELb0EPsS7_N6thrust23THRUST_200600_302600_NS5minusIsEEEE10hipError_tPvRmT2_T3_mT4_P12ihipStream_tbEUlT_E_NS1_11comp_targetILNS1_3genE10ELNS1_11target_archE1201ELNS1_3gpuE5ELNS1_3repE0EEENS1_30default_config_static_selectorELNS0_4arch9wavefront6targetE1EEEvT1_
		.amdhsa_group_segment_fixed_size 0
		.amdhsa_private_segment_fixed_size 0
		.amdhsa_kernarg_size 56
		.amdhsa_user_sgpr_count 6
		.amdhsa_user_sgpr_private_segment_buffer 1
		.amdhsa_user_sgpr_dispatch_ptr 0
		.amdhsa_user_sgpr_queue_ptr 0
		.amdhsa_user_sgpr_kernarg_segment_ptr 1
		.amdhsa_user_sgpr_dispatch_id 0
		.amdhsa_user_sgpr_flat_scratch_init 0
		.amdhsa_user_sgpr_kernarg_preload_length 0
		.amdhsa_user_sgpr_kernarg_preload_offset 0
		.amdhsa_user_sgpr_private_segment_size 0
		.amdhsa_uses_dynamic_stack 0
		.amdhsa_system_sgpr_private_segment_wavefront_offset 0
		.amdhsa_system_sgpr_workgroup_id_x 1
		.amdhsa_system_sgpr_workgroup_id_y 0
		.amdhsa_system_sgpr_workgroup_id_z 0
		.amdhsa_system_sgpr_workgroup_info 0
		.amdhsa_system_vgpr_workitem_id 0
		.amdhsa_next_free_vgpr 1
		.amdhsa_next_free_sgpr 0
		.amdhsa_accum_offset 4
		.amdhsa_reserve_vcc 0
		.amdhsa_reserve_flat_scratch 0
		.amdhsa_float_round_mode_32 0
		.amdhsa_float_round_mode_16_64 0
		.amdhsa_float_denorm_mode_32 3
		.amdhsa_float_denorm_mode_16_64 3
		.amdhsa_dx10_clamp 1
		.amdhsa_ieee_mode 1
		.amdhsa_fp16_overflow 0
		.amdhsa_tg_split 0
		.amdhsa_exception_fp_ieee_invalid_op 0
		.amdhsa_exception_fp_denorm_src 0
		.amdhsa_exception_fp_ieee_div_zero 0
		.amdhsa_exception_fp_ieee_overflow 0
		.amdhsa_exception_fp_ieee_underflow 0
		.amdhsa_exception_fp_ieee_inexact 0
		.amdhsa_exception_int_div_zero 0
	.end_amdhsa_kernel
	.section	.text._ZN7rocprim17ROCPRIM_400000_NS6detail17trampoline_kernelINS0_14default_configENS1_35adjacent_difference_config_selectorILb1EsEEZNS1_24adjacent_difference_implIS3_Lb1ELb0EPsS7_N6thrust23THRUST_200600_302600_NS5minusIsEEEE10hipError_tPvRmT2_T3_mT4_P12ihipStream_tbEUlT_E_NS1_11comp_targetILNS1_3genE10ELNS1_11target_archE1201ELNS1_3gpuE5ELNS1_3repE0EEENS1_30default_config_static_selectorELNS0_4arch9wavefront6targetE1EEEvT1_,"axG",@progbits,_ZN7rocprim17ROCPRIM_400000_NS6detail17trampoline_kernelINS0_14default_configENS1_35adjacent_difference_config_selectorILb1EsEEZNS1_24adjacent_difference_implIS3_Lb1ELb0EPsS7_N6thrust23THRUST_200600_302600_NS5minusIsEEEE10hipError_tPvRmT2_T3_mT4_P12ihipStream_tbEUlT_E_NS1_11comp_targetILNS1_3genE10ELNS1_11target_archE1201ELNS1_3gpuE5ELNS1_3repE0EEENS1_30default_config_static_selectorELNS0_4arch9wavefront6targetE1EEEvT1_,comdat
.Lfunc_end70:
	.size	_ZN7rocprim17ROCPRIM_400000_NS6detail17trampoline_kernelINS0_14default_configENS1_35adjacent_difference_config_selectorILb1EsEEZNS1_24adjacent_difference_implIS3_Lb1ELb0EPsS7_N6thrust23THRUST_200600_302600_NS5minusIsEEEE10hipError_tPvRmT2_T3_mT4_P12ihipStream_tbEUlT_E_NS1_11comp_targetILNS1_3genE10ELNS1_11target_archE1201ELNS1_3gpuE5ELNS1_3repE0EEENS1_30default_config_static_selectorELNS0_4arch9wavefront6targetE1EEEvT1_, .Lfunc_end70-_ZN7rocprim17ROCPRIM_400000_NS6detail17trampoline_kernelINS0_14default_configENS1_35adjacent_difference_config_selectorILb1EsEEZNS1_24adjacent_difference_implIS3_Lb1ELb0EPsS7_N6thrust23THRUST_200600_302600_NS5minusIsEEEE10hipError_tPvRmT2_T3_mT4_P12ihipStream_tbEUlT_E_NS1_11comp_targetILNS1_3genE10ELNS1_11target_archE1201ELNS1_3gpuE5ELNS1_3repE0EEENS1_30default_config_static_selectorELNS0_4arch9wavefront6targetE1EEEvT1_
                                        ; -- End function
	.section	.AMDGPU.csdata,"",@progbits
; Kernel info:
; codeLenInByte = 0
; NumSgprs: 4
; NumVgprs: 0
; NumAgprs: 0
; TotalNumVgprs: 0
; ScratchSize: 0
; MemoryBound: 0
; FloatMode: 240
; IeeeMode: 1
; LDSByteSize: 0 bytes/workgroup (compile time only)
; SGPRBlocks: 0
; VGPRBlocks: 0
; NumSGPRsForWavesPerEU: 4
; NumVGPRsForWavesPerEU: 1
; AccumOffset: 4
; Occupancy: 8
; WaveLimiterHint : 0
; COMPUTE_PGM_RSRC2:SCRATCH_EN: 0
; COMPUTE_PGM_RSRC2:USER_SGPR: 6
; COMPUTE_PGM_RSRC2:TRAP_HANDLER: 0
; COMPUTE_PGM_RSRC2:TGID_X_EN: 1
; COMPUTE_PGM_RSRC2:TGID_Y_EN: 0
; COMPUTE_PGM_RSRC2:TGID_Z_EN: 0
; COMPUTE_PGM_RSRC2:TIDIG_COMP_CNT: 0
; COMPUTE_PGM_RSRC3_GFX90A:ACCUM_OFFSET: 0
; COMPUTE_PGM_RSRC3_GFX90A:TG_SPLIT: 0
	.section	.text._ZN7rocprim17ROCPRIM_400000_NS6detail17trampoline_kernelINS0_14default_configENS1_35adjacent_difference_config_selectorILb1EsEEZNS1_24adjacent_difference_implIS3_Lb1ELb0EPsS7_N6thrust23THRUST_200600_302600_NS5minusIsEEEE10hipError_tPvRmT2_T3_mT4_P12ihipStream_tbEUlT_E_NS1_11comp_targetILNS1_3genE5ELNS1_11target_archE942ELNS1_3gpuE9ELNS1_3repE0EEENS1_30default_config_static_selectorELNS0_4arch9wavefront6targetE1EEEvT1_,"axG",@progbits,_ZN7rocprim17ROCPRIM_400000_NS6detail17trampoline_kernelINS0_14default_configENS1_35adjacent_difference_config_selectorILb1EsEEZNS1_24adjacent_difference_implIS3_Lb1ELb0EPsS7_N6thrust23THRUST_200600_302600_NS5minusIsEEEE10hipError_tPvRmT2_T3_mT4_P12ihipStream_tbEUlT_E_NS1_11comp_targetILNS1_3genE5ELNS1_11target_archE942ELNS1_3gpuE9ELNS1_3repE0EEENS1_30default_config_static_selectorELNS0_4arch9wavefront6targetE1EEEvT1_,comdat
	.protected	_ZN7rocprim17ROCPRIM_400000_NS6detail17trampoline_kernelINS0_14default_configENS1_35adjacent_difference_config_selectorILb1EsEEZNS1_24adjacent_difference_implIS3_Lb1ELb0EPsS7_N6thrust23THRUST_200600_302600_NS5minusIsEEEE10hipError_tPvRmT2_T3_mT4_P12ihipStream_tbEUlT_E_NS1_11comp_targetILNS1_3genE5ELNS1_11target_archE942ELNS1_3gpuE9ELNS1_3repE0EEENS1_30default_config_static_selectorELNS0_4arch9wavefront6targetE1EEEvT1_ ; -- Begin function _ZN7rocprim17ROCPRIM_400000_NS6detail17trampoline_kernelINS0_14default_configENS1_35adjacent_difference_config_selectorILb1EsEEZNS1_24adjacent_difference_implIS3_Lb1ELb0EPsS7_N6thrust23THRUST_200600_302600_NS5minusIsEEEE10hipError_tPvRmT2_T3_mT4_P12ihipStream_tbEUlT_E_NS1_11comp_targetILNS1_3genE5ELNS1_11target_archE942ELNS1_3gpuE9ELNS1_3repE0EEENS1_30default_config_static_selectorELNS0_4arch9wavefront6targetE1EEEvT1_
	.globl	_ZN7rocprim17ROCPRIM_400000_NS6detail17trampoline_kernelINS0_14default_configENS1_35adjacent_difference_config_selectorILb1EsEEZNS1_24adjacent_difference_implIS3_Lb1ELb0EPsS7_N6thrust23THRUST_200600_302600_NS5minusIsEEEE10hipError_tPvRmT2_T3_mT4_P12ihipStream_tbEUlT_E_NS1_11comp_targetILNS1_3genE5ELNS1_11target_archE942ELNS1_3gpuE9ELNS1_3repE0EEENS1_30default_config_static_selectorELNS0_4arch9wavefront6targetE1EEEvT1_
	.p2align	8
	.type	_ZN7rocprim17ROCPRIM_400000_NS6detail17trampoline_kernelINS0_14default_configENS1_35adjacent_difference_config_selectorILb1EsEEZNS1_24adjacent_difference_implIS3_Lb1ELb0EPsS7_N6thrust23THRUST_200600_302600_NS5minusIsEEEE10hipError_tPvRmT2_T3_mT4_P12ihipStream_tbEUlT_E_NS1_11comp_targetILNS1_3genE5ELNS1_11target_archE942ELNS1_3gpuE9ELNS1_3repE0EEENS1_30default_config_static_selectorELNS0_4arch9wavefront6targetE1EEEvT1_,@function
_ZN7rocprim17ROCPRIM_400000_NS6detail17trampoline_kernelINS0_14default_configENS1_35adjacent_difference_config_selectorILb1EsEEZNS1_24adjacent_difference_implIS3_Lb1ELb0EPsS7_N6thrust23THRUST_200600_302600_NS5minusIsEEEE10hipError_tPvRmT2_T3_mT4_P12ihipStream_tbEUlT_E_NS1_11comp_targetILNS1_3genE5ELNS1_11target_archE942ELNS1_3gpuE9ELNS1_3repE0EEENS1_30default_config_static_selectorELNS0_4arch9wavefront6targetE1EEEvT1_: ; @_ZN7rocprim17ROCPRIM_400000_NS6detail17trampoline_kernelINS0_14default_configENS1_35adjacent_difference_config_selectorILb1EsEEZNS1_24adjacent_difference_implIS3_Lb1ELb0EPsS7_N6thrust23THRUST_200600_302600_NS5minusIsEEEE10hipError_tPvRmT2_T3_mT4_P12ihipStream_tbEUlT_E_NS1_11comp_targetILNS1_3genE5ELNS1_11target_archE942ELNS1_3gpuE9ELNS1_3repE0EEENS1_30default_config_static_selectorELNS0_4arch9wavefront6targetE1EEEvT1_
; %bb.0:
	.section	.rodata,"a",@progbits
	.p2align	6, 0x0
	.amdhsa_kernel _ZN7rocprim17ROCPRIM_400000_NS6detail17trampoline_kernelINS0_14default_configENS1_35adjacent_difference_config_selectorILb1EsEEZNS1_24adjacent_difference_implIS3_Lb1ELb0EPsS7_N6thrust23THRUST_200600_302600_NS5minusIsEEEE10hipError_tPvRmT2_T3_mT4_P12ihipStream_tbEUlT_E_NS1_11comp_targetILNS1_3genE5ELNS1_11target_archE942ELNS1_3gpuE9ELNS1_3repE0EEENS1_30default_config_static_selectorELNS0_4arch9wavefront6targetE1EEEvT1_
		.amdhsa_group_segment_fixed_size 0
		.amdhsa_private_segment_fixed_size 0
		.amdhsa_kernarg_size 56
		.amdhsa_user_sgpr_count 6
		.amdhsa_user_sgpr_private_segment_buffer 1
		.amdhsa_user_sgpr_dispatch_ptr 0
		.amdhsa_user_sgpr_queue_ptr 0
		.amdhsa_user_sgpr_kernarg_segment_ptr 1
		.amdhsa_user_sgpr_dispatch_id 0
		.amdhsa_user_sgpr_flat_scratch_init 0
		.amdhsa_user_sgpr_kernarg_preload_length 0
		.amdhsa_user_sgpr_kernarg_preload_offset 0
		.amdhsa_user_sgpr_private_segment_size 0
		.amdhsa_uses_dynamic_stack 0
		.amdhsa_system_sgpr_private_segment_wavefront_offset 0
		.amdhsa_system_sgpr_workgroup_id_x 1
		.amdhsa_system_sgpr_workgroup_id_y 0
		.amdhsa_system_sgpr_workgroup_id_z 0
		.amdhsa_system_sgpr_workgroup_info 0
		.amdhsa_system_vgpr_workitem_id 0
		.amdhsa_next_free_vgpr 1
		.amdhsa_next_free_sgpr 0
		.amdhsa_accum_offset 4
		.amdhsa_reserve_vcc 0
		.amdhsa_reserve_flat_scratch 0
		.amdhsa_float_round_mode_32 0
		.amdhsa_float_round_mode_16_64 0
		.amdhsa_float_denorm_mode_32 3
		.amdhsa_float_denorm_mode_16_64 3
		.amdhsa_dx10_clamp 1
		.amdhsa_ieee_mode 1
		.amdhsa_fp16_overflow 0
		.amdhsa_tg_split 0
		.amdhsa_exception_fp_ieee_invalid_op 0
		.amdhsa_exception_fp_denorm_src 0
		.amdhsa_exception_fp_ieee_div_zero 0
		.amdhsa_exception_fp_ieee_overflow 0
		.amdhsa_exception_fp_ieee_underflow 0
		.amdhsa_exception_fp_ieee_inexact 0
		.amdhsa_exception_int_div_zero 0
	.end_amdhsa_kernel
	.section	.text._ZN7rocprim17ROCPRIM_400000_NS6detail17trampoline_kernelINS0_14default_configENS1_35adjacent_difference_config_selectorILb1EsEEZNS1_24adjacent_difference_implIS3_Lb1ELb0EPsS7_N6thrust23THRUST_200600_302600_NS5minusIsEEEE10hipError_tPvRmT2_T3_mT4_P12ihipStream_tbEUlT_E_NS1_11comp_targetILNS1_3genE5ELNS1_11target_archE942ELNS1_3gpuE9ELNS1_3repE0EEENS1_30default_config_static_selectorELNS0_4arch9wavefront6targetE1EEEvT1_,"axG",@progbits,_ZN7rocprim17ROCPRIM_400000_NS6detail17trampoline_kernelINS0_14default_configENS1_35adjacent_difference_config_selectorILb1EsEEZNS1_24adjacent_difference_implIS3_Lb1ELb0EPsS7_N6thrust23THRUST_200600_302600_NS5minusIsEEEE10hipError_tPvRmT2_T3_mT4_P12ihipStream_tbEUlT_E_NS1_11comp_targetILNS1_3genE5ELNS1_11target_archE942ELNS1_3gpuE9ELNS1_3repE0EEENS1_30default_config_static_selectorELNS0_4arch9wavefront6targetE1EEEvT1_,comdat
.Lfunc_end71:
	.size	_ZN7rocprim17ROCPRIM_400000_NS6detail17trampoline_kernelINS0_14default_configENS1_35adjacent_difference_config_selectorILb1EsEEZNS1_24adjacent_difference_implIS3_Lb1ELb0EPsS7_N6thrust23THRUST_200600_302600_NS5minusIsEEEE10hipError_tPvRmT2_T3_mT4_P12ihipStream_tbEUlT_E_NS1_11comp_targetILNS1_3genE5ELNS1_11target_archE942ELNS1_3gpuE9ELNS1_3repE0EEENS1_30default_config_static_selectorELNS0_4arch9wavefront6targetE1EEEvT1_, .Lfunc_end71-_ZN7rocprim17ROCPRIM_400000_NS6detail17trampoline_kernelINS0_14default_configENS1_35adjacent_difference_config_selectorILb1EsEEZNS1_24adjacent_difference_implIS3_Lb1ELb0EPsS7_N6thrust23THRUST_200600_302600_NS5minusIsEEEE10hipError_tPvRmT2_T3_mT4_P12ihipStream_tbEUlT_E_NS1_11comp_targetILNS1_3genE5ELNS1_11target_archE942ELNS1_3gpuE9ELNS1_3repE0EEENS1_30default_config_static_selectorELNS0_4arch9wavefront6targetE1EEEvT1_
                                        ; -- End function
	.section	.AMDGPU.csdata,"",@progbits
; Kernel info:
; codeLenInByte = 0
; NumSgprs: 4
; NumVgprs: 0
; NumAgprs: 0
; TotalNumVgprs: 0
; ScratchSize: 0
; MemoryBound: 0
; FloatMode: 240
; IeeeMode: 1
; LDSByteSize: 0 bytes/workgroup (compile time only)
; SGPRBlocks: 0
; VGPRBlocks: 0
; NumSGPRsForWavesPerEU: 4
; NumVGPRsForWavesPerEU: 1
; AccumOffset: 4
; Occupancy: 8
; WaveLimiterHint : 0
; COMPUTE_PGM_RSRC2:SCRATCH_EN: 0
; COMPUTE_PGM_RSRC2:USER_SGPR: 6
; COMPUTE_PGM_RSRC2:TRAP_HANDLER: 0
; COMPUTE_PGM_RSRC2:TGID_X_EN: 1
; COMPUTE_PGM_RSRC2:TGID_Y_EN: 0
; COMPUTE_PGM_RSRC2:TGID_Z_EN: 0
; COMPUTE_PGM_RSRC2:TIDIG_COMP_CNT: 0
; COMPUTE_PGM_RSRC3_GFX90A:ACCUM_OFFSET: 0
; COMPUTE_PGM_RSRC3_GFX90A:TG_SPLIT: 0
	.section	.text._ZN7rocprim17ROCPRIM_400000_NS6detail17trampoline_kernelINS0_14default_configENS1_35adjacent_difference_config_selectorILb1EsEEZNS1_24adjacent_difference_implIS3_Lb1ELb0EPsS7_N6thrust23THRUST_200600_302600_NS5minusIsEEEE10hipError_tPvRmT2_T3_mT4_P12ihipStream_tbEUlT_E_NS1_11comp_targetILNS1_3genE4ELNS1_11target_archE910ELNS1_3gpuE8ELNS1_3repE0EEENS1_30default_config_static_selectorELNS0_4arch9wavefront6targetE1EEEvT1_,"axG",@progbits,_ZN7rocprim17ROCPRIM_400000_NS6detail17trampoline_kernelINS0_14default_configENS1_35adjacent_difference_config_selectorILb1EsEEZNS1_24adjacent_difference_implIS3_Lb1ELb0EPsS7_N6thrust23THRUST_200600_302600_NS5minusIsEEEE10hipError_tPvRmT2_T3_mT4_P12ihipStream_tbEUlT_E_NS1_11comp_targetILNS1_3genE4ELNS1_11target_archE910ELNS1_3gpuE8ELNS1_3repE0EEENS1_30default_config_static_selectorELNS0_4arch9wavefront6targetE1EEEvT1_,comdat
	.protected	_ZN7rocprim17ROCPRIM_400000_NS6detail17trampoline_kernelINS0_14default_configENS1_35adjacent_difference_config_selectorILb1EsEEZNS1_24adjacent_difference_implIS3_Lb1ELb0EPsS7_N6thrust23THRUST_200600_302600_NS5minusIsEEEE10hipError_tPvRmT2_T3_mT4_P12ihipStream_tbEUlT_E_NS1_11comp_targetILNS1_3genE4ELNS1_11target_archE910ELNS1_3gpuE8ELNS1_3repE0EEENS1_30default_config_static_selectorELNS0_4arch9wavefront6targetE1EEEvT1_ ; -- Begin function _ZN7rocprim17ROCPRIM_400000_NS6detail17trampoline_kernelINS0_14default_configENS1_35adjacent_difference_config_selectorILb1EsEEZNS1_24adjacent_difference_implIS3_Lb1ELb0EPsS7_N6thrust23THRUST_200600_302600_NS5minusIsEEEE10hipError_tPvRmT2_T3_mT4_P12ihipStream_tbEUlT_E_NS1_11comp_targetILNS1_3genE4ELNS1_11target_archE910ELNS1_3gpuE8ELNS1_3repE0EEENS1_30default_config_static_selectorELNS0_4arch9wavefront6targetE1EEEvT1_
	.globl	_ZN7rocprim17ROCPRIM_400000_NS6detail17trampoline_kernelINS0_14default_configENS1_35adjacent_difference_config_selectorILb1EsEEZNS1_24adjacent_difference_implIS3_Lb1ELb0EPsS7_N6thrust23THRUST_200600_302600_NS5minusIsEEEE10hipError_tPvRmT2_T3_mT4_P12ihipStream_tbEUlT_E_NS1_11comp_targetILNS1_3genE4ELNS1_11target_archE910ELNS1_3gpuE8ELNS1_3repE0EEENS1_30default_config_static_selectorELNS0_4arch9wavefront6targetE1EEEvT1_
	.p2align	8
	.type	_ZN7rocprim17ROCPRIM_400000_NS6detail17trampoline_kernelINS0_14default_configENS1_35adjacent_difference_config_selectorILb1EsEEZNS1_24adjacent_difference_implIS3_Lb1ELb0EPsS7_N6thrust23THRUST_200600_302600_NS5minusIsEEEE10hipError_tPvRmT2_T3_mT4_P12ihipStream_tbEUlT_E_NS1_11comp_targetILNS1_3genE4ELNS1_11target_archE910ELNS1_3gpuE8ELNS1_3repE0EEENS1_30default_config_static_selectorELNS0_4arch9wavefront6targetE1EEEvT1_,@function
_ZN7rocprim17ROCPRIM_400000_NS6detail17trampoline_kernelINS0_14default_configENS1_35adjacent_difference_config_selectorILb1EsEEZNS1_24adjacent_difference_implIS3_Lb1ELb0EPsS7_N6thrust23THRUST_200600_302600_NS5minusIsEEEE10hipError_tPvRmT2_T3_mT4_P12ihipStream_tbEUlT_E_NS1_11comp_targetILNS1_3genE4ELNS1_11target_archE910ELNS1_3gpuE8ELNS1_3repE0EEENS1_30default_config_static_selectorELNS0_4arch9wavefront6targetE1EEEvT1_: ; @_ZN7rocprim17ROCPRIM_400000_NS6detail17trampoline_kernelINS0_14default_configENS1_35adjacent_difference_config_selectorILb1EsEEZNS1_24adjacent_difference_implIS3_Lb1ELb0EPsS7_N6thrust23THRUST_200600_302600_NS5minusIsEEEE10hipError_tPvRmT2_T3_mT4_P12ihipStream_tbEUlT_E_NS1_11comp_targetILNS1_3genE4ELNS1_11target_archE910ELNS1_3gpuE8ELNS1_3repE0EEENS1_30default_config_static_selectorELNS0_4arch9wavefront6targetE1EEEvT1_
; %bb.0:
	s_load_dwordx8 s[8:15], s[4:5], 0x0
	s_mov_b32 s0, 0xfc3c3710
	s_load_dwordx4 s[16:19], s[4:5], 0x28
	s_movk_i32 s2, 0x440
	s_mov_b32 s7, 0
	s_waitcnt lgkmcnt(0)
	s_lshl_b64 s[10:11], s[10:11], 1
	s_add_u32 s26, s8, s10
	s_addc_u32 s27, s9, s11
	s_add_u32 s0, 0x10c, s0
	s_addc_u32 s3, 0, 0
	v_add_co_u32_e64 v1, s[0:1], s0, 2.0
	s_cmp_lg_u64 s[0:1], 0
	s_addc_u32 s0, s3, 0x3c3c3b
	v_readfirstlane_b32 s3, v1
	s_mul_hi_u32 s4, s3, 0xfffffbc0
	s_mul_i32 s1, s0, 0xfffffbc0
	s_sub_i32 s4, s4, s3
	s_add_i32 s4, s4, s1
	s_mul_i32 s9, s3, 0xfffffbc0
	s_mul_hi_u32 s1, s3, s4
	s_mul_i32 s5, s3, s4
	s_mul_hi_u32 s3, s3, s9
	s_add_u32 s3, s3, s5
	s_addc_u32 s1, 0, s1
	s_mul_hi_u32 s20, s0, s9
	s_mul_i32 s9, s0, s9
	s_add_u32 s3, s3, s9
	s_mul_hi_u32 s5, s0, s4
	s_addc_u32 s1, s1, s20
	s_addc_u32 s3, s5, 0
	s_mul_i32 s4, s0, s4
	s_add_u32 s1, s1, s4
	s_addc_u32 s3, 0, s3
	v_add_co_u32_e32 v1, vcc, s1, v1
	s_cmp_lg_u64 vcc, 0
	s_addc_u32 s0, s0, s3
	v_readfirstlane_b32 s4, v1
	s_mul_i32 s3, s14, s0
	s_mul_hi_u32 s5, s14, s4
	s_mul_hi_u32 s1, s14, s0
	s_add_u32 s3, s5, s3
	s_addc_u32 s1, 0, s1
	s_mul_hi_u32 s9, s15, s4
	s_mul_i32 s4, s15, s4
	s_add_u32 s3, s3, s4
	s_mul_hi_u32 s5, s15, s0
	s_addc_u32 s1, s1, s9
	s_addc_u32 s3, s5, 0
	s_mul_i32 s0, s15, s0
	s_add_u32 s0, s1, s0
	s_addc_u32 s1, 0, s3
	s_add_u32 s3, s0, 1
	s_addc_u32 s4, s1, 0
	s_add_u32 s5, s0, 2
	s_mul_i32 s20, s1, 0x440
	s_mul_hi_u32 s21, s0, 0x440
	s_addc_u32 s9, s1, 0
	s_add_i32 s21, s21, s20
	s_mul_i32 s20, s0, 0x440
	v_mov_b32_e32 v1, s20
	v_sub_co_u32_e32 v1, vcc, s14, v1
	s_cmp_lg_u64 vcc, 0
	s_subb_u32 s20, s15, s21
	v_subrev_co_u32_e32 v2, vcc, s2, v1
	s_cmp_lg_u64 vcc, 0
	s_subb_u32 s2, s20, 0
	v_readfirstlane_b32 s21, v2
	s_cmpk_gt_u32 s21, 0x43f
	s_cselect_b32 s21, -1, 0
	s_cmp_eq_u32 s2, 0
	s_cselect_b32 s2, s21, -1
	s_cmp_lg_u32 s2, 0
	s_cselect_b32 s2, s5, s3
	s_cselect_b32 s3, s9, s4
	v_readfirstlane_b32 s4, v1
	s_cmpk_gt_u32 s4, 0x43f
	s_cselect_b32 s4, -1, 0
	s_cmp_eq_u32 s20, 0
	s_cselect_b32 s4, s4, -1
	s_cmp_lg_u32 s4, 0
	s_cselect_b32 s3, s3, s1
	s_cselect_b32 s2, s2, s0
	s_mul_i32 s0, s3, 0x440
	s_mul_hi_u32 s1, s2, 0x440
	s_add_i32 s1, s1, s0
	s_mul_i32 s0, s2, 0x440
	s_sub_u32 s0, s14, s0
	s_subb_u32 s1, s15, s1
	s_cmp_lg_u64 s[0:1], 0
	s_cselect_b64 s[0:1], -1, 0
	v_cndmask_b32_e64 v1, 0, 1, s[0:1]
	v_readfirstlane_b32 s0, v1
	s_add_u32 s2, s2, s0
	s_addc_u32 s3, s3, 0
	s_add_u32 s4, s18, s6
	s_addc_u32 s5, s19, 0
	s_add_u32 s20, s2, -1
	s_addc_u32 s21, s3, -1
	v_pk_mov_b32 v[2:3], s[20:21], s[20:21] op_sel:[0,1]
	v_cmp_ge_u64_e64 s[0:1], s[4:5], v[2:3]
	s_mul_i32 s8, s6, 0x440
	s_mov_b64 s[22:23], -1
	s_and_b64 vcc, exec, s[0:1]
	s_mul_i32 s15, s20, 0xfffffbc0
	s_cbranch_vccz .LBB72_36
; %bb.1:
	s_mov_b32 s9, s7
	s_add_i32 s28, s15, s14
	s_lshl_b64 s[22:23], s[8:9], 1
	s_add_u32 s22, s26, s22
	s_addc_u32 s23, s27, s23
	v_cmp_gt_u32_e32 vcc, s28, v0
                                        ; implicit-def: $vgpr1
	s_and_saveexec_b64 s[24:25], vcc
	s_cbranch_execz .LBB72_3
; %bb.2:
	v_lshlrev_b32_e32 v1, 1, v0
	global_load_ushort v1, v1, s[22:23]
.LBB72_3:
	s_or_b64 exec, exec, s[24:25]
	v_or_b32_e32 v2, 64, v0
	v_cmp_gt_u32_e32 vcc, s28, v2
                                        ; implicit-def: $vgpr2
	s_and_saveexec_b64 s[24:25], vcc
	s_cbranch_execz .LBB72_5
; %bb.4:
	v_lshlrev_b32_e32 v2, 1, v0
	global_load_ushort v2, v2, s[22:23] offset:128
.LBB72_5:
	s_or_b64 exec, exec, s[24:25]
	v_or_b32_e32 v3, 0x80, v0
	v_cmp_gt_u32_e32 vcc, s28, v3
                                        ; implicit-def: $vgpr3
	s_and_saveexec_b64 s[24:25], vcc
	s_cbranch_execz .LBB72_7
; %bb.6:
	v_lshlrev_b32_e32 v3, 1, v0
	global_load_ushort v3, v3, s[22:23] offset:256
.LBB72_7:
	s_or_b64 exec, exec, s[24:25]
	v_or_b32_e32 v4, 0xc0, v0
	v_cmp_gt_u32_e32 vcc, s28, v4
                                        ; implicit-def: $vgpr4
	s_and_saveexec_b64 s[24:25], vcc
	s_cbranch_execz .LBB72_9
; %bb.8:
	v_lshlrev_b32_e32 v4, 1, v0
	global_load_ushort v4, v4, s[22:23] offset:384
.LBB72_9:
	s_or_b64 exec, exec, s[24:25]
	v_or_b32_e32 v5, 0x100, v0
	v_cmp_gt_u32_e32 vcc, s28, v5
                                        ; implicit-def: $vgpr5
	s_and_saveexec_b64 s[24:25], vcc
	s_cbranch_execz .LBB72_11
; %bb.10:
	v_lshlrev_b32_e32 v5, 1, v0
	global_load_ushort v5, v5, s[22:23] offset:512
.LBB72_11:
	s_or_b64 exec, exec, s[24:25]
	v_or_b32_e32 v6, 0x140, v0
	v_cmp_gt_u32_e32 vcc, s28, v6
                                        ; implicit-def: $vgpr6
	s_and_saveexec_b64 s[24:25], vcc
	s_cbranch_execz .LBB72_13
; %bb.12:
	v_lshlrev_b32_e32 v6, 1, v0
	global_load_ushort v6, v6, s[22:23] offset:640
.LBB72_13:
	s_or_b64 exec, exec, s[24:25]
	v_or_b32_e32 v7, 0x180, v0
	v_cmp_gt_u32_e32 vcc, s28, v7
                                        ; implicit-def: $vgpr7
	s_and_saveexec_b64 s[24:25], vcc
	s_cbranch_execz .LBB72_15
; %bb.14:
	v_lshlrev_b32_e32 v7, 1, v0
	global_load_ushort v7, v7, s[22:23] offset:768
.LBB72_15:
	s_or_b64 exec, exec, s[24:25]
	v_or_b32_e32 v8, 0x1c0, v0
	v_cmp_gt_u32_e32 vcc, s28, v8
                                        ; implicit-def: $vgpr8
	s_and_saveexec_b64 s[24:25], vcc
	s_cbranch_execz .LBB72_17
; %bb.16:
	v_lshlrev_b32_e32 v8, 1, v0
	global_load_ushort v8, v8, s[22:23] offset:896
.LBB72_17:
	s_or_b64 exec, exec, s[24:25]
	v_or_b32_e32 v9, 0x200, v0
	v_cmp_gt_u32_e32 vcc, s28, v9
                                        ; implicit-def: $vgpr9
	s_and_saveexec_b64 s[24:25], vcc
	s_cbranch_execz .LBB72_19
; %bb.18:
	v_lshlrev_b32_e32 v9, 1, v0
	global_load_ushort v9, v9, s[22:23] offset:1024
.LBB72_19:
	s_or_b64 exec, exec, s[24:25]
	v_or_b32_e32 v10, 0x240, v0
	v_cmp_gt_u32_e32 vcc, s28, v10
                                        ; implicit-def: $vgpr10
	s_and_saveexec_b64 s[24:25], vcc
	s_cbranch_execz .LBB72_21
; %bb.20:
	v_lshlrev_b32_e32 v10, 1, v0
	global_load_ushort v10, v10, s[22:23] offset:1152
.LBB72_21:
	s_or_b64 exec, exec, s[24:25]
	v_or_b32_e32 v11, 0x280, v0
	v_cmp_gt_u32_e32 vcc, s28, v11
                                        ; implicit-def: $vgpr11
	s_and_saveexec_b64 s[24:25], vcc
	s_cbranch_execz .LBB72_23
; %bb.22:
	v_lshlrev_b32_e32 v11, 1, v0
	global_load_ushort v11, v11, s[22:23] offset:1280
.LBB72_23:
	s_or_b64 exec, exec, s[24:25]
	v_or_b32_e32 v12, 0x2c0, v0
	v_cmp_gt_u32_e32 vcc, s28, v12
                                        ; implicit-def: $vgpr12
	s_and_saveexec_b64 s[24:25], vcc
	s_cbranch_execz .LBB72_25
; %bb.24:
	v_lshlrev_b32_e32 v12, 1, v0
	global_load_ushort v12, v12, s[22:23] offset:1408
.LBB72_25:
	s_or_b64 exec, exec, s[24:25]
	v_or_b32_e32 v13, 0x300, v0
	v_cmp_gt_u32_e32 vcc, s28, v13
                                        ; implicit-def: $vgpr13
	s_and_saveexec_b64 s[24:25], vcc
	s_cbranch_execz .LBB72_27
; %bb.26:
	v_lshlrev_b32_e32 v13, 1, v0
	global_load_ushort v13, v13, s[22:23] offset:1536
.LBB72_27:
	s_or_b64 exec, exec, s[24:25]
	v_or_b32_e32 v14, 0x340, v0
	v_cmp_gt_u32_e32 vcc, s28, v14
                                        ; implicit-def: $vgpr14
	s_and_saveexec_b64 s[24:25], vcc
	s_cbranch_execz .LBB72_29
; %bb.28:
	v_lshlrev_b32_e32 v14, 1, v0
	global_load_ushort v14, v14, s[22:23] offset:1664
.LBB72_29:
	s_or_b64 exec, exec, s[24:25]
	v_or_b32_e32 v15, 0x380, v0
	v_cmp_gt_u32_e32 vcc, s28, v15
                                        ; implicit-def: $vgpr15
	s_and_saveexec_b64 s[24:25], vcc
	s_cbranch_execz .LBB72_31
; %bb.30:
	v_lshlrev_b32_e32 v15, 1, v0
	global_load_ushort v15, v15, s[22:23] offset:1792
.LBB72_31:
	s_or_b64 exec, exec, s[24:25]
	v_or_b32_e32 v16, 0x3c0, v0
	v_cmp_gt_u32_e32 vcc, s28, v16
                                        ; implicit-def: $vgpr16
	s_and_saveexec_b64 s[24:25], vcc
	s_cbranch_execz .LBB72_33
; %bb.32:
	v_lshlrev_b32_e32 v16, 1, v0
	global_load_ushort v16, v16, s[22:23] offset:1920
.LBB72_33:
	s_or_b64 exec, exec, s[24:25]
	v_or_b32_e32 v17, 0x400, v0
	v_cmp_gt_u32_e32 vcc, s28, v17
                                        ; implicit-def: $vgpr17
	s_and_saveexec_b64 s[24:25], vcc
	s_cbranch_execz .LBB72_35
; %bb.34:
	v_lshlrev_b32_e32 v17, 1, v0
	global_load_ushort v17, v17, s[22:23] offset:2048
.LBB72_35:
	s_or_b64 exec, exec, s[24:25]
	v_lshlrev_b32_e32 v18, 1, v0
	s_mov_b64 s[22:23], 0
	s_waitcnt vmcnt(0)
	ds_write_b16 v18, v1
	ds_write_b16 v18, v2 offset:128
	ds_write_b16 v18, v3 offset:256
	;; [unrolled: 1-line block ×16, first 2 shown]
	s_waitcnt lgkmcnt(0)
	; wave barrier
.LBB72_36:
	s_and_b64 vcc, exec, s[22:23]
	v_lshlrev_b32_e32 v1, 1, v0
	s_cbranch_vccz .LBB72_38
; %bb.37:
	s_mov_b32 s9, 0
	s_lshl_b64 s[22:23], s[8:9], 1
	s_add_u32 s22, s26, s22
	s_addc_u32 s23, s27, s23
	global_load_ushort v2, v1, s[22:23]
	global_load_ushort v3, v1, s[22:23] offset:128
	global_load_ushort v4, v1, s[22:23] offset:256
	;; [unrolled: 1-line block ×16, first 2 shown]
	s_waitcnt vmcnt(16)
	ds_write_b16 v1, v2
	s_waitcnt vmcnt(15)
	ds_write_b16 v1, v3 offset:128
	s_waitcnt vmcnt(14)
	ds_write_b16 v1, v4 offset:256
	;; [unrolled: 2-line block ×16, first 2 shown]
	s_waitcnt lgkmcnt(0)
	; wave barrier
.LBB72_38:
	v_mul_u32_u24_e32 v2, 17, v0
	v_lshlrev_b32_e32 v5, 1, v2
	s_waitcnt lgkmcnt(0)
	ds_read_b96 v[2:4], v5 offset:20
	ds_read_b96 v[6:8], v5
	ds_read_b64 v[10:11], v5 offset:12
	ds_read_u16 v5, v5 offset:32
	s_cmp_eq_u64 s[4:5], 0
	s_waitcnt lgkmcnt(3)
	v_alignbit_b32 v9, v4, v3, 16
	v_alignbit_b32 v3, v3, v2, 16
	v_lshrrev_b32_e32 v4, 16, v4
	s_waitcnt lgkmcnt(2)
	v_alignbit_b32 v12, v8, v7, 16
	v_alignbit_b32 v7, v7, v6, 16
	v_lshrrev_b32_e32 v8, 16, v8
	s_waitcnt lgkmcnt(0)
	; wave barrier
	s_waitcnt lgkmcnt(0)
	s_cbranch_scc1 .LBB72_43
; %bb.39:
	s_lshl_b64 s[18:19], s[18:19], 1
	s_add_u32 s9, s16, s18
	s_addc_u32 s16, s17, s19
	s_lshl_b64 s[6:7], s[6:7], 1
	s_add_u32 s6, s9, s6
	s_addc_u32 s7, s16, s7
	v_mov_b32_e32 v13, 0
	global_load_ushort v23, v13, s[6:7] offset:-2
	s_cmp_eq_u64 s[4:5], s[20:21]
	s_cbranch_scc1 .LBB72_44
; %bb.40:
	v_cmp_ne_u32_e32 vcc, 0, v0
	s_waitcnt vmcnt(0)
	v_mov_b32_e32 v13, v23
	ds_write_b16 v1, v5
	s_waitcnt lgkmcnt(0)
	; wave barrier
	s_waitcnt lgkmcnt(0)
	s_and_saveexec_b64 s[6:7], vcc
	s_cbranch_execz .LBB72_42
; %bb.41:
	v_add_u32_e32 v13, -2, v1
	ds_read_u16 v13, v13
.LBB72_42:
	s_or_b64 exec, exec, s[6:7]
	s_mov_b32 s5, 0x5040100
	v_perm_b32 v16, v7, v6, s5
	v_perm_b32 v20, v10, v8, s5
	;; [unrolled: 1-line block ×3, first 2 shown]
	s_mov_b32 s5, 0xffff
	s_waitcnt lgkmcnt(0)
	v_sub_u16_e32 v14, v6, v13
	v_alignbit_b32 v19, v12, v7, 16
	v_lshrrev_b32_e32 v17, 16, v12
	v_alignbit_b32 v22, v11, v10, 16
	v_lshrrev_b32_e32 v15, 16, v11
	v_alignbit_b32 v21, v9, v3, 16
	v_bfi_b32 v13, s5, v4, v9
	s_branch .LBB72_48
.LBB72_43:
                                        ; implicit-def: $vgpr21
                                        ; implicit-def: $vgpr18
                                        ; implicit-def: $vgpr22
                                        ; implicit-def: $vgpr20
                                        ; implicit-def: $vgpr19
                                        ; implicit-def: $vgpr16
                                        ; implicit-def: $vgpr13
                                        ; implicit-def: $vgpr14
                                        ; implicit-def: $vgpr17
                                        ; implicit-def: $vgpr15
	s_branch .LBB72_49
.LBB72_44:
                                        ; implicit-def: $vgpr21
                                        ; implicit-def: $vgpr18
                                        ; implicit-def: $vgpr22
                                        ; implicit-def: $vgpr20
                                        ; implicit-def: $vgpr19
                                        ; implicit-def: $vgpr16
                                        ; implicit-def: $vgpr13
                                        ; implicit-def: $vgpr14
                                        ; implicit-def: $vgpr17
                                        ; implicit-def: $vgpr15
	s_cbranch_execz .LBB72_48
; %bb.45:
	v_mul_u32_u24_e32 v14, 17, v0
	v_cmp_ne_u32_e32 vcc, 0, v0
	ds_write_b16 v1, v5
	s_waitcnt lgkmcnt(0)
	; wave barrier
	s_waitcnt lgkmcnt(0)
	s_and_saveexec_b64 s[6:7], vcc
	s_cbranch_execz .LBB72_47
; %bb.46:
	v_add_u32_e32 v13, -2, v1
	s_waitcnt vmcnt(0)
	ds_read_u16 v23, v13
.LBB72_47:
	s_or_b64 exec, exec, s[6:7]
	s_mulk_i32 s4, 0xfbc0
	s_add_i32 s4, s4, s14
	v_add_u32_e32 v13, 16, v14
	v_add_u32_e32 v15, 15, v14
	v_cmp_gt_u32_e32 vcc, s4, v13
	v_cndmask_b32_e32 v13, 0, v4, vcc
	v_lshrrev_b32_e32 v16, 16, v9
	v_cmp_gt_u32_e32 vcc, s4, v15
	v_cndmask_b32_e32 v15, 0, v16, vcc
	s_mov_b32 s5, 0x5040100
	v_perm_b32 v13, v15, v13, s5
	v_add_u32_e32 v15, 13, v14
	v_add_u32_e32 v16, 14, v14
	v_lshrrev_b32_e32 v19, 16, v3
	v_cmp_gt_u32_e32 vcc, s4, v15
	v_add_u32_e32 v17, 11, v14
	v_cndmask_b32_e32 v21, 0, v19, vcc
	v_cmp_gt_u32_e32 vcc, s4, v16
	v_add_u32_e32 v18, 12, v14
	v_cndmask_b32_e32 v24, 0, v9, vcc
	v_cmp_gt_u32_e32 vcc, s4, v17
	v_cndmask_b32_e32 v25, 0, v2, vcc
	v_cmp_gt_u32_e32 vcc, s4, v18
	v_add_u32_e32 v15, 10, v14
	v_cndmask_b32_e32 v18, 0, v3, vcc
	v_lshrrev_b32_e32 v16, 16, v11
	v_cmp_gt_u32_e32 vcc, s4, v15
	v_cndmask_b32_e32 v15, 0, v16, vcc
	v_add_u32_e32 v16, 8, v14
	v_add_u32_e32 v17, 9, v14
	v_lshrrev_b32_e32 v22, 16, v10
	v_cmp_gt_u32_e32 vcc, s4, v16
	v_add_u32_e32 v19, 6, v14
	v_cndmask_b32_e32 v22, 0, v22, vcc
	v_cmp_gt_u32_e32 vcc, s4, v17
	v_add_u32_e32 v20, 7, v14
	v_cndmask_b32_e32 v26, 0, v11, vcc
	v_cmp_gt_u32_e32 vcc, s4, v19
	v_cndmask_b32_e32 v27, 0, v8, vcc
	v_cmp_gt_u32_e32 vcc, s4, v20
	v_add_u32_e32 v16, 5, v14
	v_cndmask_b32_e32 v20, 0, v10, vcc
	v_lshrrev_b32_e32 v17, 16, v12
	v_cmp_gt_u32_e32 vcc, s4, v16
	v_add_u32_e32 v16, 3, v14
	v_cndmask_b32_e32 v17, 0, v17, vcc
	v_add_u32_e32 v19, 4, v14
	v_lshrrev_b32_e32 v30, 16, v7
	v_cmp_gt_u32_e32 vcc, s4, v16
	v_add_u32_e32 v28, 1, v14
	v_cndmask_b32_e32 v30, 0, v30, vcc
	v_cmp_gt_u32_e32 vcc, s4, v19
	v_add_u32_e32 v29, 2, v14
	v_cndmask_b32_e32 v19, 0, v12, vcc
	v_cmp_gt_u32_e32 vcc, s4, v28
	v_cndmask_b32_e32 v16, 0, v6, vcc
	v_cmp_gt_u32_e32 vcc, s4, v29
	v_cndmask_b32_e32 v28, 0, v7, vcc
	v_cmp_gt_u32_e32 vcc, s4, v14
	s_waitcnt vmcnt(0) lgkmcnt(0)
	v_cndmask_b32_e32 v14, 0, v23, vcc
	v_sub_u16_e32 v14, v6, v14
	v_perm_b32 v16, v28, v16, s5
	v_perm_b32 v19, v19, v30, s5
	;; [unrolled: 1-line block ×6, first 2 shown]
.LBB72_48:
	s_cbranch_execnz .LBB72_57
.LBB72_49:
	s_cmp_eq_u64 s[2:3], 1
	v_cmp_ne_u32_e32 vcc, 0, v0
	s_cbranch_scc1 .LBB72_53
; %bb.50:
	s_mov_b32 s5, 0x5040100
	s_mov_b32 s4, 0xffff
	v_mov_b32_e32 v14, v6
	ds_write_b16 v1, v5
	s_waitcnt lgkmcnt(0)
	; wave barrier
	s_waitcnt lgkmcnt(0)
	s_and_saveexec_b64 s[2:3], vcc
	s_cbranch_execz .LBB72_52
; %bb.51:
	v_add_u32_e32 v13, -2, v1
	ds_read_u16 v13, v13
	s_waitcnt lgkmcnt(0)
	v_sub_u16_e32 v14, v6, v13
.LBB72_52:
	s_or_b64 exec, exec, s[2:3]
	v_perm_b32 v16, v7, v6, s5
	v_alignbit_b32 v19, v12, v7, 16
	v_lshrrev_b32_e32 v17, 16, v12
	v_perm_b32 v20, v10, v8, s5
	v_alignbit_b32 v22, v11, v10, 16
	v_lshrrev_b32_e32 v15, 16, v11
	v_perm_b32 v18, v3, v2, s5
	v_alignbit_b32 v21, v9, v3, 16
	v_bfi_b32 v13, s4, v4, v9
	s_cbranch_execz .LBB72_54
	s_branch .LBB72_57
.LBB72_53:
                                        ; implicit-def: $vgpr21
                                        ; implicit-def: $vgpr18
                                        ; implicit-def: $vgpr22
                                        ; implicit-def: $vgpr20
                                        ; implicit-def: $vgpr19
                                        ; implicit-def: $vgpr16
                                        ; implicit-def: $vgpr13
                                        ; implicit-def: $vgpr14
                                        ; implicit-def: $vgpr17
                                        ; implicit-def: $vgpr15
.LBB72_54:
	v_mad_u32_u24 v13, v0, 17, 16
	v_mad_u32_u24 v14, v0, 17, 15
	v_cmp_gt_u32_e32 vcc, s14, v13
	v_cndmask_b32_e32 v13, 0, v4, vcc
	v_lshrrev_b32_e32 v15, 16, v9
	v_cmp_gt_u32_e32 vcc, s14, v14
	v_cndmask_b32_e32 v14, 0, v15, vcc
	v_mad_u32_u24 v15, v0, 17, 14
	v_mad_u32_u24 v16, v0, 17, 13
	v_cmp_gt_u32_e32 vcc, s14, v15
	v_mad_u32_u24 v18, v0, 17, 11
	v_lshrrev_b32_e32 v20, 16, v3
	v_cndmask_b32_e32 v21, 0, v9, vcc
	v_cmp_gt_u32_e32 vcc, s14, v16
	v_mad_u32_u24 v19, v0, 17, 12
	s_waitcnt vmcnt(0)
	v_cndmask_b32_e32 v23, 0, v20, vcc
	v_cmp_gt_u32_e32 vcc, s14, v18
	v_mad_u32_u24 v16, v0, 17, 9
	v_cndmask_b32_e32 v18, 0, v2, vcc
	v_cmp_gt_u32_e32 vcc, s14, v19
	v_mad_u32_u24 v19, v0, 17, 8
	v_cmp_gt_u32_e64 s[2:3], s14, v16
	v_cndmask_b32_e64 v22, 0, v11, s[2:3]
	v_cmp_gt_u32_e64 s[2:3], s14, v19
	v_mad_u32_u24 v19, v0, 17, 4
	v_mad_u32_u24 v27, v0, 17, 3
	v_cmp_gt_u32_e64 s[4:5], s14, v19
	v_mad_u32_u24 v28, v0, 17, 1
	v_lshrrev_b32_e32 v30, 16, v7
	v_cndmask_b32_e64 v19, 0, v12, s[4:5]
	v_cmp_gt_u32_e64 s[4:5], s14, v27
	v_mad_u32_u24 v20, v0, 17, 6
	v_lshrrev_b32_e32 v25, 16, v10
	v_mad_u32_u24 v29, v0, 17, 2
	v_cndmask_b32_e64 v27, 0, v30, s[4:5]
	v_cmp_gt_u32_e64 s[4:5], s14, v28
	v_mul_u32_u24_e32 v17, 17, v0
	v_mad_u32_u24 v26, v0, 17, 7
	v_cndmask_b32_e64 v25, 0, v25, s[2:3]
	v_cmp_gt_u32_e64 s[2:3], s14, v20
	v_cndmask_b32_e64 v28, 0, v6, s[4:5]
	v_cmp_gt_u32_e64 s[4:5], s14, v29
	v_mad_u32_u24 v15, v0, 17, 10
	v_cndmask_b32_e64 v20, 0, v8, s[2:3]
	v_cmp_gt_u32_e64 s[2:3], s14, v26
	v_mad_u32_u24 v16, v0, 17, 5
	v_cndmask_b32_e64 v29, 0, v7, s[4:5]
	v_cmp_ne_u32_e64 s[4:5], 0, v0
	v_cmp_gt_u32_e64 s[6:7], s14, v17
	s_mov_b32 s9, 0x5040100
	v_cndmask_b32_e32 v24, 0, v3, vcc
	v_cmp_gt_u32_e32 vcc, s14, v15
	v_lshrrev_b32_e32 v15, 16, v11
	v_cndmask_b32_e64 v26, 0, v10, s[2:3]
	v_cmp_gt_u32_e64 s[2:3], s14, v16
	v_lshrrev_b32_e32 v16, 16, v12
	s_and_b64 s[6:7], s[4:5], s[6:7]
	ds_write_b16 v1, v5
	s_waitcnt lgkmcnt(0)
	; wave barrier
	s_waitcnt lgkmcnt(0)
	s_and_saveexec_b64 s[4:5], s[6:7]
	s_cbranch_execz .LBB72_56
; %bb.55:
	v_add_u32_e32 v17, -2, v1
	ds_read_u16 v17, v17
	s_waitcnt lgkmcnt(0)
	v_sub_u16_e32 v6, v6, v17
.LBB72_56:
	s_or_b64 exec, exec, s[4:5]
	v_perm_b32 v13, v14, v13, s9
	v_cndmask_b32_e32 v15, 0, v15, vcc
	v_cndmask_b32_e64 v17, 0, v16, s[2:3]
	v_perm_b32 v16, v29, v28, s9
	v_perm_b32 v19, v19, v27, s9
	;; [unrolled: 1-line block ×6, first 2 shown]
	v_mov_b32_e32 v14, v6
.LBB72_57:
	s_add_u32 s4, s12, s10
	v_pk_sub_i16 v6, v12, v19
	v_pk_sub_i16 v16, v7, v16
	v_sub_u16_e32 v7, v8, v17
	v_sub_u16_e32 v15, v2, v15
	v_pk_sub_i16 v2, v9, v21
	v_pk_sub_i16 v17, v3, v18
	v_sub_u16_sdwa v3, v4, v13 dst_sel:DWORD dst_unused:UNUSED_PAD src0_sel:DWORD src1_sel:WORD_1
	s_addc_u32 s5, s13, s11
	v_pk_sub_i16 v11, v11, v22
	v_pk_sub_i16 v10, v10, v20
	v_sub_u16_e32 v5, v5, v13
	s_and_b64 vcc, exec, s[0:1]
	v_mul_u32_u24_e32 v9, 34, v0
	v_alignbit_b32 v8, v7, v6, 16
	v_alignbit_b32 v7, v6, v16, 16
	;; [unrolled: 1-line block ×4, first 2 shown]
	v_lshlrev_b32_e32 v18, 5, v0
	s_waitcnt lgkmcnt(0)
	; wave barrier
	s_cbranch_vccz .LBB72_91
; %bb.58:
	s_mov_b32 s2, 0x5040100
	v_perm_b32 v6, v16, v14, s2
	v_perm_b32 v2, v17, v15, s2
	ds_write_b96 v9, v[6:8]
	ds_write_b64 v9, v[10:11] offset:12
	ds_write_b96 v9, v[2:4] offset:20
	ds_write_b16 v9, v5 offset:32
	v_sub_u32_e32 v2, v9, v18
	s_waitcnt lgkmcnt(0)
	; wave barrier
	s_waitcnt lgkmcnt(0)
	ds_read_u16 v32, v2 offset:128
	ds_read_u16 v31, v2 offset:256
	;; [unrolled: 1-line block ×9, first 2 shown]
	s_waitcnt vmcnt(0)
	ds_read_u16 v23, v2 offset:1280
	ds_read_u16 v22, v2 offset:1408
	;; [unrolled: 1-line block ×7, first 2 shown]
	s_mov_b32 s9, 0
	s_add_i32 s15, s15, s14
	s_lshl_b64 s[0:1], s[8:9], 1
	s_add_u32 s0, s4, s0
	s_addc_u32 s1, s5, s1
	v_mov_b32_e32 v13, s1
	v_add_co_u32_e32 v12, vcc, s0, v1
	v_addc_co_u32_e32 v13, vcc, 0, v13, vcc
	v_cmp_gt_u32_e32 vcc, s15, v0
	s_and_saveexec_b64 s[0:1], vcc
	s_cbranch_execz .LBB72_60
; %bb.59:
	v_sub_u32_e32 v33, 0, v18
	v_add_u32_e32 v33, v9, v33
	ds_read_u16 v33, v33
	s_waitcnt lgkmcnt(0)
	global_store_short v[12:13], v33, off
.LBB72_60:
	s_or_b64 exec, exec, s[0:1]
	v_or_b32_e32 v33, 64, v0
	v_cmp_gt_u32_e32 vcc, s15, v33
	s_and_saveexec_b64 s[0:1], vcc
	s_cbranch_execz .LBB72_62
; %bb.61:
	s_waitcnt lgkmcnt(14)
	global_store_short v[12:13], v32, off offset:128
.LBB72_62:
	s_or_b64 exec, exec, s[0:1]
	s_waitcnt lgkmcnt(14)
	v_or_b32_e32 v32, 0x80, v0
	v_cmp_gt_u32_e32 vcc, s15, v32
	s_and_saveexec_b64 s[0:1], vcc
	s_cbranch_execz .LBB72_64
; %bb.63:
	global_store_short v[12:13], v31, off offset:256
.LBB72_64:
	s_or_b64 exec, exec, s[0:1]
	v_or_b32_e32 v31, 0xc0, v0
	v_cmp_gt_u32_e32 vcc, s15, v31
	s_and_saveexec_b64 s[0:1], vcc
	s_cbranch_execz .LBB72_66
; %bb.65:
	s_waitcnt lgkmcnt(13)
	global_store_short v[12:13], v30, off offset:384
.LBB72_66:
	s_or_b64 exec, exec, s[0:1]
	s_waitcnt lgkmcnt(13)
	v_or_b32_e32 v30, 0x100, v0
	v_cmp_gt_u32_e32 vcc, s15, v30
	s_and_saveexec_b64 s[0:1], vcc
	s_cbranch_execz .LBB72_68
; %bb.67:
	s_waitcnt lgkmcnt(12)
	global_store_short v[12:13], v29, off offset:512
.LBB72_68:
	s_or_b64 exec, exec, s[0:1]
	s_waitcnt lgkmcnt(12)
	;; [unrolled: 10-line block ×12, first 2 shown]
	v_or_b32_e32 v19, 0x3c0, v0
	v_cmp_gt_u32_e32 vcc, s15, v19
	s_and_saveexec_b64 s[0:1], vcc
	s_cbranch_execz .LBB72_90
; %bb.89:
	s_waitcnt lgkmcnt(1)
	global_store_short v[12:13], v6, off offset:1920
.LBB72_90:
	s_or_b64 exec, exec, s[0:1]
	v_or_b32_e32 v0, 0x400, v0
	v_cmp_gt_u32_e64 s[0:1], s15, v0
	s_branch .LBB72_93
.LBB72_91:
	s_mov_b64 s[0:1], 0
                                        ; implicit-def: $vgpr2
                                        ; implicit-def: $vgpr12_vgpr13
	s_cbranch_execz .LBB72_93
; %bb.92:
	s_mov_b32 s9, 0
	s_lshl_b64 s[2:3], s[8:9], 1
	s_add_u32 s2, s4, s2
	s_mov_b32 s4, 0x5040100
	s_waitcnt lgkmcnt(1)
	v_perm_b32 v6, v16, v14, s4
	s_waitcnt lgkmcnt(0)
	v_perm_b32 v2, v17, v15, s4
	v_sub_u32_e32 v0, v9, v18
	ds_write_b96 v9, v[6:8]
	ds_write_b64 v9, v[10:11] offset:12
	ds_write_b96 v9, v[2:4] offset:20
	ds_write_b16 v9, v5 offset:32
	s_waitcnt lgkmcnt(0)
	; wave barrier
	s_waitcnt lgkmcnt(0)
	ds_read_u16 v3, v0
	ds_read_u16 v4, v0 offset:128
	ds_read_u16 v5, v0 offset:256
	;; [unrolled: 1-line block ×16, first 2 shown]
	s_addc_u32 s3, s5, s3
	v_mov_b32_e32 v0, s3
	v_add_co_u32_e32 v12, vcc, s2, v1
	v_addc_co_u32_e32 v13, vcc, 0, v0, vcc
	s_or_b64 s[0:1], s[0:1], exec
	s_waitcnt lgkmcnt(14)
	global_store_short v1, v3, s[2:3]
	global_store_short v1, v4, s[2:3] offset:128
	global_store_short v1, v5, s[2:3] offset:256
	s_waitcnt lgkmcnt(13)
	global_store_short v1, v6, s[2:3] offset:384
	s_waitcnt lgkmcnt(12)
	;; [unrolled: 2-line block ×13, first 2 shown]
	global_store_short v1, v20, s[2:3] offset:1920
.LBB72_93:
	s_and_saveexec_b64 s[2:3], s[0:1]
	s_cbranch_execnz .LBB72_95
; %bb.94:
	s_endpgm
.LBB72_95:
	s_waitcnt lgkmcnt(0)
	global_store_short v[12:13], v2, off offset:2048
	s_endpgm
	.section	.rodata,"a",@progbits
	.p2align	6, 0x0
	.amdhsa_kernel _ZN7rocprim17ROCPRIM_400000_NS6detail17trampoline_kernelINS0_14default_configENS1_35adjacent_difference_config_selectorILb1EsEEZNS1_24adjacent_difference_implIS3_Lb1ELb0EPsS7_N6thrust23THRUST_200600_302600_NS5minusIsEEEE10hipError_tPvRmT2_T3_mT4_P12ihipStream_tbEUlT_E_NS1_11comp_targetILNS1_3genE4ELNS1_11target_archE910ELNS1_3gpuE8ELNS1_3repE0EEENS1_30default_config_static_selectorELNS0_4arch9wavefront6targetE1EEEvT1_
		.amdhsa_group_segment_fixed_size 2176
		.amdhsa_private_segment_fixed_size 0
		.amdhsa_kernarg_size 56
		.amdhsa_user_sgpr_count 6
		.amdhsa_user_sgpr_private_segment_buffer 1
		.amdhsa_user_sgpr_dispatch_ptr 0
		.amdhsa_user_sgpr_queue_ptr 0
		.amdhsa_user_sgpr_kernarg_segment_ptr 1
		.amdhsa_user_sgpr_dispatch_id 0
		.amdhsa_user_sgpr_flat_scratch_init 0
		.amdhsa_user_sgpr_kernarg_preload_length 0
		.amdhsa_user_sgpr_kernarg_preload_offset 0
		.amdhsa_user_sgpr_private_segment_size 0
		.amdhsa_uses_dynamic_stack 0
		.amdhsa_system_sgpr_private_segment_wavefront_offset 0
		.amdhsa_system_sgpr_workgroup_id_x 1
		.amdhsa_system_sgpr_workgroup_id_y 0
		.amdhsa_system_sgpr_workgroup_id_z 0
		.amdhsa_system_sgpr_workgroup_info 0
		.amdhsa_system_vgpr_workitem_id 0
		.amdhsa_next_free_vgpr 34
		.amdhsa_next_free_sgpr 29
		.amdhsa_accum_offset 36
		.amdhsa_reserve_vcc 1
		.amdhsa_reserve_flat_scratch 0
		.amdhsa_float_round_mode_32 0
		.amdhsa_float_round_mode_16_64 0
		.amdhsa_float_denorm_mode_32 3
		.amdhsa_float_denorm_mode_16_64 3
		.amdhsa_dx10_clamp 1
		.amdhsa_ieee_mode 1
		.amdhsa_fp16_overflow 0
		.amdhsa_tg_split 0
		.amdhsa_exception_fp_ieee_invalid_op 0
		.amdhsa_exception_fp_denorm_src 0
		.amdhsa_exception_fp_ieee_div_zero 0
		.amdhsa_exception_fp_ieee_overflow 0
		.amdhsa_exception_fp_ieee_underflow 0
		.amdhsa_exception_fp_ieee_inexact 0
		.amdhsa_exception_int_div_zero 0
	.end_amdhsa_kernel
	.section	.text._ZN7rocprim17ROCPRIM_400000_NS6detail17trampoline_kernelINS0_14default_configENS1_35adjacent_difference_config_selectorILb1EsEEZNS1_24adjacent_difference_implIS3_Lb1ELb0EPsS7_N6thrust23THRUST_200600_302600_NS5minusIsEEEE10hipError_tPvRmT2_T3_mT4_P12ihipStream_tbEUlT_E_NS1_11comp_targetILNS1_3genE4ELNS1_11target_archE910ELNS1_3gpuE8ELNS1_3repE0EEENS1_30default_config_static_selectorELNS0_4arch9wavefront6targetE1EEEvT1_,"axG",@progbits,_ZN7rocprim17ROCPRIM_400000_NS6detail17trampoline_kernelINS0_14default_configENS1_35adjacent_difference_config_selectorILb1EsEEZNS1_24adjacent_difference_implIS3_Lb1ELb0EPsS7_N6thrust23THRUST_200600_302600_NS5minusIsEEEE10hipError_tPvRmT2_T3_mT4_P12ihipStream_tbEUlT_E_NS1_11comp_targetILNS1_3genE4ELNS1_11target_archE910ELNS1_3gpuE8ELNS1_3repE0EEENS1_30default_config_static_selectorELNS0_4arch9wavefront6targetE1EEEvT1_,comdat
.Lfunc_end72:
	.size	_ZN7rocprim17ROCPRIM_400000_NS6detail17trampoline_kernelINS0_14default_configENS1_35adjacent_difference_config_selectorILb1EsEEZNS1_24adjacent_difference_implIS3_Lb1ELb0EPsS7_N6thrust23THRUST_200600_302600_NS5minusIsEEEE10hipError_tPvRmT2_T3_mT4_P12ihipStream_tbEUlT_E_NS1_11comp_targetILNS1_3genE4ELNS1_11target_archE910ELNS1_3gpuE8ELNS1_3repE0EEENS1_30default_config_static_selectorELNS0_4arch9wavefront6targetE1EEEvT1_, .Lfunc_end72-_ZN7rocprim17ROCPRIM_400000_NS6detail17trampoline_kernelINS0_14default_configENS1_35adjacent_difference_config_selectorILb1EsEEZNS1_24adjacent_difference_implIS3_Lb1ELb0EPsS7_N6thrust23THRUST_200600_302600_NS5minusIsEEEE10hipError_tPvRmT2_T3_mT4_P12ihipStream_tbEUlT_E_NS1_11comp_targetILNS1_3genE4ELNS1_11target_archE910ELNS1_3gpuE8ELNS1_3repE0EEENS1_30default_config_static_selectorELNS0_4arch9wavefront6targetE1EEEvT1_
                                        ; -- End function
	.section	.AMDGPU.csdata,"",@progbits
; Kernel info:
; codeLenInByte = 4432
; NumSgprs: 33
; NumVgprs: 34
; NumAgprs: 0
; TotalNumVgprs: 34
; ScratchSize: 0
; MemoryBound: 0
; FloatMode: 240
; IeeeMode: 1
; LDSByteSize: 2176 bytes/workgroup (compile time only)
; SGPRBlocks: 4
; VGPRBlocks: 4
; NumSGPRsForWavesPerEU: 33
; NumVGPRsForWavesPerEU: 34
; AccumOffset: 36
; Occupancy: 8
; WaveLimiterHint : 1
; COMPUTE_PGM_RSRC2:SCRATCH_EN: 0
; COMPUTE_PGM_RSRC2:USER_SGPR: 6
; COMPUTE_PGM_RSRC2:TRAP_HANDLER: 0
; COMPUTE_PGM_RSRC2:TGID_X_EN: 1
; COMPUTE_PGM_RSRC2:TGID_Y_EN: 0
; COMPUTE_PGM_RSRC2:TGID_Z_EN: 0
; COMPUTE_PGM_RSRC2:TIDIG_COMP_CNT: 0
; COMPUTE_PGM_RSRC3_GFX90A:ACCUM_OFFSET: 8
; COMPUTE_PGM_RSRC3_GFX90A:TG_SPLIT: 0
	.section	.text._ZN7rocprim17ROCPRIM_400000_NS6detail17trampoline_kernelINS0_14default_configENS1_35adjacent_difference_config_selectorILb1EsEEZNS1_24adjacent_difference_implIS3_Lb1ELb0EPsS7_N6thrust23THRUST_200600_302600_NS5minusIsEEEE10hipError_tPvRmT2_T3_mT4_P12ihipStream_tbEUlT_E_NS1_11comp_targetILNS1_3genE3ELNS1_11target_archE908ELNS1_3gpuE7ELNS1_3repE0EEENS1_30default_config_static_selectorELNS0_4arch9wavefront6targetE1EEEvT1_,"axG",@progbits,_ZN7rocprim17ROCPRIM_400000_NS6detail17trampoline_kernelINS0_14default_configENS1_35adjacent_difference_config_selectorILb1EsEEZNS1_24adjacent_difference_implIS3_Lb1ELb0EPsS7_N6thrust23THRUST_200600_302600_NS5minusIsEEEE10hipError_tPvRmT2_T3_mT4_P12ihipStream_tbEUlT_E_NS1_11comp_targetILNS1_3genE3ELNS1_11target_archE908ELNS1_3gpuE7ELNS1_3repE0EEENS1_30default_config_static_selectorELNS0_4arch9wavefront6targetE1EEEvT1_,comdat
	.protected	_ZN7rocprim17ROCPRIM_400000_NS6detail17trampoline_kernelINS0_14default_configENS1_35adjacent_difference_config_selectorILb1EsEEZNS1_24adjacent_difference_implIS3_Lb1ELb0EPsS7_N6thrust23THRUST_200600_302600_NS5minusIsEEEE10hipError_tPvRmT2_T3_mT4_P12ihipStream_tbEUlT_E_NS1_11comp_targetILNS1_3genE3ELNS1_11target_archE908ELNS1_3gpuE7ELNS1_3repE0EEENS1_30default_config_static_selectorELNS0_4arch9wavefront6targetE1EEEvT1_ ; -- Begin function _ZN7rocprim17ROCPRIM_400000_NS6detail17trampoline_kernelINS0_14default_configENS1_35adjacent_difference_config_selectorILb1EsEEZNS1_24adjacent_difference_implIS3_Lb1ELb0EPsS7_N6thrust23THRUST_200600_302600_NS5minusIsEEEE10hipError_tPvRmT2_T3_mT4_P12ihipStream_tbEUlT_E_NS1_11comp_targetILNS1_3genE3ELNS1_11target_archE908ELNS1_3gpuE7ELNS1_3repE0EEENS1_30default_config_static_selectorELNS0_4arch9wavefront6targetE1EEEvT1_
	.globl	_ZN7rocprim17ROCPRIM_400000_NS6detail17trampoline_kernelINS0_14default_configENS1_35adjacent_difference_config_selectorILb1EsEEZNS1_24adjacent_difference_implIS3_Lb1ELb0EPsS7_N6thrust23THRUST_200600_302600_NS5minusIsEEEE10hipError_tPvRmT2_T3_mT4_P12ihipStream_tbEUlT_E_NS1_11comp_targetILNS1_3genE3ELNS1_11target_archE908ELNS1_3gpuE7ELNS1_3repE0EEENS1_30default_config_static_selectorELNS0_4arch9wavefront6targetE1EEEvT1_
	.p2align	8
	.type	_ZN7rocprim17ROCPRIM_400000_NS6detail17trampoline_kernelINS0_14default_configENS1_35adjacent_difference_config_selectorILb1EsEEZNS1_24adjacent_difference_implIS3_Lb1ELb0EPsS7_N6thrust23THRUST_200600_302600_NS5minusIsEEEE10hipError_tPvRmT2_T3_mT4_P12ihipStream_tbEUlT_E_NS1_11comp_targetILNS1_3genE3ELNS1_11target_archE908ELNS1_3gpuE7ELNS1_3repE0EEENS1_30default_config_static_selectorELNS0_4arch9wavefront6targetE1EEEvT1_,@function
_ZN7rocprim17ROCPRIM_400000_NS6detail17trampoline_kernelINS0_14default_configENS1_35adjacent_difference_config_selectorILb1EsEEZNS1_24adjacent_difference_implIS3_Lb1ELb0EPsS7_N6thrust23THRUST_200600_302600_NS5minusIsEEEE10hipError_tPvRmT2_T3_mT4_P12ihipStream_tbEUlT_E_NS1_11comp_targetILNS1_3genE3ELNS1_11target_archE908ELNS1_3gpuE7ELNS1_3repE0EEENS1_30default_config_static_selectorELNS0_4arch9wavefront6targetE1EEEvT1_: ; @_ZN7rocprim17ROCPRIM_400000_NS6detail17trampoline_kernelINS0_14default_configENS1_35adjacent_difference_config_selectorILb1EsEEZNS1_24adjacent_difference_implIS3_Lb1ELb0EPsS7_N6thrust23THRUST_200600_302600_NS5minusIsEEEE10hipError_tPvRmT2_T3_mT4_P12ihipStream_tbEUlT_E_NS1_11comp_targetILNS1_3genE3ELNS1_11target_archE908ELNS1_3gpuE7ELNS1_3repE0EEENS1_30default_config_static_selectorELNS0_4arch9wavefront6targetE1EEEvT1_
; %bb.0:
	.section	.rodata,"a",@progbits
	.p2align	6, 0x0
	.amdhsa_kernel _ZN7rocprim17ROCPRIM_400000_NS6detail17trampoline_kernelINS0_14default_configENS1_35adjacent_difference_config_selectorILb1EsEEZNS1_24adjacent_difference_implIS3_Lb1ELb0EPsS7_N6thrust23THRUST_200600_302600_NS5minusIsEEEE10hipError_tPvRmT2_T3_mT4_P12ihipStream_tbEUlT_E_NS1_11comp_targetILNS1_3genE3ELNS1_11target_archE908ELNS1_3gpuE7ELNS1_3repE0EEENS1_30default_config_static_selectorELNS0_4arch9wavefront6targetE1EEEvT1_
		.amdhsa_group_segment_fixed_size 0
		.amdhsa_private_segment_fixed_size 0
		.amdhsa_kernarg_size 56
		.amdhsa_user_sgpr_count 6
		.amdhsa_user_sgpr_private_segment_buffer 1
		.amdhsa_user_sgpr_dispatch_ptr 0
		.amdhsa_user_sgpr_queue_ptr 0
		.amdhsa_user_sgpr_kernarg_segment_ptr 1
		.amdhsa_user_sgpr_dispatch_id 0
		.amdhsa_user_sgpr_flat_scratch_init 0
		.amdhsa_user_sgpr_kernarg_preload_length 0
		.amdhsa_user_sgpr_kernarg_preload_offset 0
		.amdhsa_user_sgpr_private_segment_size 0
		.amdhsa_uses_dynamic_stack 0
		.amdhsa_system_sgpr_private_segment_wavefront_offset 0
		.amdhsa_system_sgpr_workgroup_id_x 1
		.amdhsa_system_sgpr_workgroup_id_y 0
		.amdhsa_system_sgpr_workgroup_id_z 0
		.amdhsa_system_sgpr_workgroup_info 0
		.amdhsa_system_vgpr_workitem_id 0
		.amdhsa_next_free_vgpr 1
		.amdhsa_next_free_sgpr 0
		.amdhsa_accum_offset 4
		.amdhsa_reserve_vcc 0
		.amdhsa_reserve_flat_scratch 0
		.amdhsa_float_round_mode_32 0
		.amdhsa_float_round_mode_16_64 0
		.amdhsa_float_denorm_mode_32 3
		.amdhsa_float_denorm_mode_16_64 3
		.amdhsa_dx10_clamp 1
		.amdhsa_ieee_mode 1
		.amdhsa_fp16_overflow 0
		.amdhsa_tg_split 0
		.amdhsa_exception_fp_ieee_invalid_op 0
		.amdhsa_exception_fp_denorm_src 0
		.amdhsa_exception_fp_ieee_div_zero 0
		.amdhsa_exception_fp_ieee_overflow 0
		.amdhsa_exception_fp_ieee_underflow 0
		.amdhsa_exception_fp_ieee_inexact 0
		.amdhsa_exception_int_div_zero 0
	.end_amdhsa_kernel
	.section	.text._ZN7rocprim17ROCPRIM_400000_NS6detail17trampoline_kernelINS0_14default_configENS1_35adjacent_difference_config_selectorILb1EsEEZNS1_24adjacent_difference_implIS3_Lb1ELb0EPsS7_N6thrust23THRUST_200600_302600_NS5minusIsEEEE10hipError_tPvRmT2_T3_mT4_P12ihipStream_tbEUlT_E_NS1_11comp_targetILNS1_3genE3ELNS1_11target_archE908ELNS1_3gpuE7ELNS1_3repE0EEENS1_30default_config_static_selectorELNS0_4arch9wavefront6targetE1EEEvT1_,"axG",@progbits,_ZN7rocprim17ROCPRIM_400000_NS6detail17trampoline_kernelINS0_14default_configENS1_35adjacent_difference_config_selectorILb1EsEEZNS1_24adjacent_difference_implIS3_Lb1ELb0EPsS7_N6thrust23THRUST_200600_302600_NS5minusIsEEEE10hipError_tPvRmT2_T3_mT4_P12ihipStream_tbEUlT_E_NS1_11comp_targetILNS1_3genE3ELNS1_11target_archE908ELNS1_3gpuE7ELNS1_3repE0EEENS1_30default_config_static_selectorELNS0_4arch9wavefront6targetE1EEEvT1_,comdat
.Lfunc_end73:
	.size	_ZN7rocprim17ROCPRIM_400000_NS6detail17trampoline_kernelINS0_14default_configENS1_35adjacent_difference_config_selectorILb1EsEEZNS1_24adjacent_difference_implIS3_Lb1ELb0EPsS7_N6thrust23THRUST_200600_302600_NS5minusIsEEEE10hipError_tPvRmT2_T3_mT4_P12ihipStream_tbEUlT_E_NS1_11comp_targetILNS1_3genE3ELNS1_11target_archE908ELNS1_3gpuE7ELNS1_3repE0EEENS1_30default_config_static_selectorELNS0_4arch9wavefront6targetE1EEEvT1_, .Lfunc_end73-_ZN7rocprim17ROCPRIM_400000_NS6detail17trampoline_kernelINS0_14default_configENS1_35adjacent_difference_config_selectorILb1EsEEZNS1_24adjacent_difference_implIS3_Lb1ELb0EPsS7_N6thrust23THRUST_200600_302600_NS5minusIsEEEE10hipError_tPvRmT2_T3_mT4_P12ihipStream_tbEUlT_E_NS1_11comp_targetILNS1_3genE3ELNS1_11target_archE908ELNS1_3gpuE7ELNS1_3repE0EEENS1_30default_config_static_selectorELNS0_4arch9wavefront6targetE1EEEvT1_
                                        ; -- End function
	.section	.AMDGPU.csdata,"",@progbits
; Kernel info:
; codeLenInByte = 0
; NumSgprs: 4
; NumVgprs: 0
; NumAgprs: 0
; TotalNumVgprs: 0
; ScratchSize: 0
; MemoryBound: 0
; FloatMode: 240
; IeeeMode: 1
; LDSByteSize: 0 bytes/workgroup (compile time only)
; SGPRBlocks: 0
; VGPRBlocks: 0
; NumSGPRsForWavesPerEU: 4
; NumVGPRsForWavesPerEU: 1
; AccumOffset: 4
; Occupancy: 8
; WaveLimiterHint : 0
; COMPUTE_PGM_RSRC2:SCRATCH_EN: 0
; COMPUTE_PGM_RSRC2:USER_SGPR: 6
; COMPUTE_PGM_RSRC2:TRAP_HANDLER: 0
; COMPUTE_PGM_RSRC2:TGID_X_EN: 1
; COMPUTE_PGM_RSRC2:TGID_Y_EN: 0
; COMPUTE_PGM_RSRC2:TGID_Z_EN: 0
; COMPUTE_PGM_RSRC2:TIDIG_COMP_CNT: 0
; COMPUTE_PGM_RSRC3_GFX90A:ACCUM_OFFSET: 0
; COMPUTE_PGM_RSRC3_GFX90A:TG_SPLIT: 0
	.section	.text._ZN7rocprim17ROCPRIM_400000_NS6detail17trampoline_kernelINS0_14default_configENS1_35adjacent_difference_config_selectorILb1EsEEZNS1_24adjacent_difference_implIS3_Lb1ELb0EPsS7_N6thrust23THRUST_200600_302600_NS5minusIsEEEE10hipError_tPvRmT2_T3_mT4_P12ihipStream_tbEUlT_E_NS1_11comp_targetILNS1_3genE2ELNS1_11target_archE906ELNS1_3gpuE6ELNS1_3repE0EEENS1_30default_config_static_selectorELNS0_4arch9wavefront6targetE1EEEvT1_,"axG",@progbits,_ZN7rocprim17ROCPRIM_400000_NS6detail17trampoline_kernelINS0_14default_configENS1_35adjacent_difference_config_selectorILb1EsEEZNS1_24adjacent_difference_implIS3_Lb1ELb0EPsS7_N6thrust23THRUST_200600_302600_NS5minusIsEEEE10hipError_tPvRmT2_T3_mT4_P12ihipStream_tbEUlT_E_NS1_11comp_targetILNS1_3genE2ELNS1_11target_archE906ELNS1_3gpuE6ELNS1_3repE0EEENS1_30default_config_static_selectorELNS0_4arch9wavefront6targetE1EEEvT1_,comdat
	.protected	_ZN7rocprim17ROCPRIM_400000_NS6detail17trampoline_kernelINS0_14default_configENS1_35adjacent_difference_config_selectorILb1EsEEZNS1_24adjacent_difference_implIS3_Lb1ELb0EPsS7_N6thrust23THRUST_200600_302600_NS5minusIsEEEE10hipError_tPvRmT2_T3_mT4_P12ihipStream_tbEUlT_E_NS1_11comp_targetILNS1_3genE2ELNS1_11target_archE906ELNS1_3gpuE6ELNS1_3repE0EEENS1_30default_config_static_selectorELNS0_4arch9wavefront6targetE1EEEvT1_ ; -- Begin function _ZN7rocprim17ROCPRIM_400000_NS6detail17trampoline_kernelINS0_14default_configENS1_35adjacent_difference_config_selectorILb1EsEEZNS1_24adjacent_difference_implIS3_Lb1ELb0EPsS7_N6thrust23THRUST_200600_302600_NS5minusIsEEEE10hipError_tPvRmT2_T3_mT4_P12ihipStream_tbEUlT_E_NS1_11comp_targetILNS1_3genE2ELNS1_11target_archE906ELNS1_3gpuE6ELNS1_3repE0EEENS1_30default_config_static_selectorELNS0_4arch9wavefront6targetE1EEEvT1_
	.globl	_ZN7rocprim17ROCPRIM_400000_NS6detail17trampoline_kernelINS0_14default_configENS1_35adjacent_difference_config_selectorILb1EsEEZNS1_24adjacent_difference_implIS3_Lb1ELb0EPsS7_N6thrust23THRUST_200600_302600_NS5minusIsEEEE10hipError_tPvRmT2_T3_mT4_P12ihipStream_tbEUlT_E_NS1_11comp_targetILNS1_3genE2ELNS1_11target_archE906ELNS1_3gpuE6ELNS1_3repE0EEENS1_30default_config_static_selectorELNS0_4arch9wavefront6targetE1EEEvT1_
	.p2align	8
	.type	_ZN7rocprim17ROCPRIM_400000_NS6detail17trampoline_kernelINS0_14default_configENS1_35adjacent_difference_config_selectorILb1EsEEZNS1_24adjacent_difference_implIS3_Lb1ELb0EPsS7_N6thrust23THRUST_200600_302600_NS5minusIsEEEE10hipError_tPvRmT2_T3_mT4_P12ihipStream_tbEUlT_E_NS1_11comp_targetILNS1_3genE2ELNS1_11target_archE906ELNS1_3gpuE6ELNS1_3repE0EEENS1_30default_config_static_selectorELNS0_4arch9wavefront6targetE1EEEvT1_,@function
_ZN7rocprim17ROCPRIM_400000_NS6detail17trampoline_kernelINS0_14default_configENS1_35adjacent_difference_config_selectorILb1EsEEZNS1_24adjacent_difference_implIS3_Lb1ELb0EPsS7_N6thrust23THRUST_200600_302600_NS5minusIsEEEE10hipError_tPvRmT2_T3_mT4_P12ihipStream_tbEUlT_E_NS1_11comp_targetILNS1_3genE2ELNS1_11target_archE906ELNS1_3gpuE6ELNS1_3repE0EEENS1_30default_config_static_selectorELNS0_4arch9wavefront6targetE1EEEvT1_: ; @_ZN7rocprim17ROCPRIM_400000_NS6detail17trampoline_kernelINS0_14default_configENS1_35adjacent_difference_config_selectorILb1EsEEZNS1_24adjacent_difference_implIS3_Lb1ELb0EPsS7_N6thrust23THRUST_200600_302600_NS5minusIsEEEE10hipError_tPvRmT2_T3_mT4_P12ihipStream_tbEUlT_E_NS1_11comp_targetILNS1_3genE2ELNS1_11target_archE906ELNS1_3gpuE6ELNS1_3repE0EEENS1_30default_config_static_selectorELNS0_4arch9wavefront6targetE1EEEvT1_
; %bb.0:
	.section	.rodata,"a",@progbits
	.p2align	6, 0x0
	.amdhsa_kernel _ZN7rocprim17ROCPRIM_400000_NS6detail17trampoline_kernelINS0_14default_configENS1_35adjacent_difference_config_selectorILb1EsEEZNS1_24adjacent_difference_implIS3_Lb1ELb0EPsS7_N6thrust23THRUST_200600_302600_NS5minusIsEEEE10hipError_tPvRmT2_T3_mT4_P12ihipStream_tbEUlT_E_NS1_11comp_targetILNS1_3genE2ELNS1_11target_archE906ELNS1_3gpuE6ELNS1_3repE0EEENS1_30default_config_static_selectorELNS0_4arch9wavefront6targetE1EEEvT1_
		.amdhsa_group_segment_fixed_size 0
		.amdhsa_private_segment_fixed_size 0
		.amdhsa_kernarg_size 56
		.amdhsa_user_sgpr_count 6
		.amdhsa_user_sgpr_private_segment_buffer 1
		.amdhsa_user_sgpr_dispatch_ptr 0
		.amdhsa_user_sgpr_queue_ptr 0
		.amdhsa_user_sgpr_kernarg_segment_ptr 1
		.amdhsa_user_sgpr_dispatch_id 0
		.amdhsa_user_sgpr_flat_scratch_init 0
		.amdhsa_user_sgpr_kernarg_preload_length 0
		.amdhsa_user_sgpr_kernarg_preload_offset 0
		.amdhsa_user_sgpr_private_segment_size 0
		.amdhsa_uses_dynamic_stack 0
		.amdhsa_system_sgpr_private_segment_wavefront_offset 0
		.amdhsa_system_sgpr_workgroup_id_x 1
		.amdhsa_system_sgpr_workgroup_id_y 0
		.amdhsa_system_sgpr_workgroup_id_z 0
		.amdhsa_system_sgpr_workgroup_info 0
		.amdhsa_system_vgpr_workitem_id 0
		.amdhsa_next_free_vgpr 1
		.amdhsa_next_free_sgpr 0
		.amdhsa_accum_offset 4
		.amdhsa_reserve_vcc 0
		.amdhsa_reserve_flat_scratch 0
		.amdhsa_float_round_mode_32 0
		.amdhsa_float_round_mode_16_64 0
		.amdhsa_float_denorm_mode_32 3
		.amdhsa_float_denorm_mode_16_64 3
		.amdhsa_dx10_clamp 1
		.amdhsa_ieee_mode 1
		.amdhsa_fp16_overflow 0
		.amdhsa_tg_split 0
		.amdhsa_exception_fp_ieee_invalid_op 0
		.amdhsa_exception_fp_denorm_src 0
		.amdhsa_exception_fp_ieee_div_zero 0
		.amdhsa_exception_fp_ieee_overflow 0
		.amdhsa_exception_fp_ieee_underflow 0
		.amdhsa_exception_fp_ieee_inexact 0
		.amdhsa_exception_int_div_zero 0
	.end_amdhsa_kernel
	.section	.text._ZN7rocprim17ROCPRIM_400000_NS6detail17trampoline_kernelINS0_14default_configENS1_35adjacent_difference_config_selectorILb1EsEEZNS1_24adjacent_difference_implIS3_Lb1ELb0EPsS7_N6thrust23THRUST_200600_302600_NS5minusIsEEEE10hipError_tPvRmT2_T3_mT4_P12ihipStream_tbEUlT_E_NS1_11comp_targetILNS1_3genE2ELNS1_11target_archE906ELNS1_3gpuE6ELNS1_3repE0EEENS1_30default_config_static_selectorELNS0_4arch9wavefront6targetE1EEEvT1_,"axG",@progbits,_ZN7rocprim17ROCPRIM_400000_NS6detail17trampoline_kernelINS0_14default_configENS1_35adjacent_difference_config_selectorILb1EsEEZNS1_24adjacent_difference_implIS3_Lb1ELb0EPsS7_N6thrust23THRUST_200600_302600_NS5minusIsEEEE10hipError_tPvRmT2_T3_mT4_P12ihipStream_tbEUlT_E_NS1_11comp_targetILNS1_3genE2ELNS1_11target_archE906ELNS1_3gpuE6ELNS1_3repE0EEENS1_30default_config_static_selectorELNS0_4arch9wavefront6targetE1EEEvT1_,comdat
.Lfunc_end74:
	.size	_ZN7rocprim17ROCPRIM_400000_NS6detail17trampoline_kernelINS0_14default_configENS1_35adjacent_difference_config_selectorILb1EsEEZNS1_24adjacent_difference_implIS3_Lb1ELb0EPsS7_N6thrust23THRUST_200600_302600_NS5minusIsEEEE10hipError_tPvRmT2_T3_mT4_P12ihipStream_tbEUlT_E_NS1_11comp_targetILNS1_3genE2ELNS1_11target_archE906ELNS1_3gpuE6ELNS1_3repE0EEENS1_30default_config_static_selectorELNS0_4arch9wavefront6targetE1EEEvT1_, .Lfunc_end74-_ZN7rocprim17ROCPRIM_400000_NS6detail17trampoline_kernelINS0_14default_configENS1_35adjacent_difference_config_selectorILb1EsEEZNS1_24adjacent_difference_implIS3_Lb1ELb0EPsS7_N6thrust23THRUST_200600_302600_NS5minusIsEEEE10hipError_tPvRmT2_T3_mT4_P12ihipStream_tbEUlT_E_NS1_11comp_targetILNS1_3genE2ELNS1_11target_archE906ELNS1_3gpuE6ELNS1_3repE0EEENS1_30default_config_static_selectorELNS0_4arch9wavefront6targetE1EEEvT1_
                                        ; -- End function
	.section	.AMDGPU.csdata,"",@progbits
; Kernel info:
; codeLenInByte = 0
; NumSgprs: 4
; NumVgprs: 0
; NumAgprs: 0
; TotalNumVgprs: 0
; ScratchSize: 0
; MemoryBound: 0
; FloatMode: 240
; IeeeMode: 1
; LDSByteSize: 0 bytes/workgroup (compile time only)
; SGPRBlocks: 0
; VGPRBlocks: 0
; NumSGPRsForWavesPerEU: 4
; NumVGPRsForWavesPerEU: 1
; AccumOffset: 4
; Occupancy: 8
; WaveLimiterHint : 0
; COMPUTE_PGM_RSRC2:SCRATCH_EN: 0
; COMPUTE_PGM_RSRC2:USER_SGPR: 6
; COMPUTE_PGM_RSRC2:TRAP_HANDLER: 0
; COMPUTE_PGM_RSRC2:TGID_X_EN: 1
; COMPUTE_PGM_RSRC2:TGID_Y_EN: 0
; COMPUTE_PGM_RSRC2:TGID_Z_EN: 0
; COMPUTE_PGM_RSRC2:TIDIG_COMP_CNT: 0
; COMPUTE_PGM_RSRC3_GFX90A:ACCUM_OFFSET: 0
; COMPUTE_PGM_RSRC3_GFX90A:TG_SPLIT: 0
	.section	.text._ZN7rocprim17ROCPRIM_400000_NS6detail17trampoline_kernelINS0_14default_configENS1_35adjacent_difference_config_selectorILb1EsEEZNS1_24adjacent_difference_implIS3_Lb1ELb0EPsS7_N6thrust23THRUST_200600_302600_NS5minusIsEEEE10hipError_tPvRmT2_T3_mT4_P12ihipStream_tbEUlT_E_NS1_11comp_targetILNS1_3genE9ELNS1_11target_archE1100ELNS1_3gpuE3ELNS1_3repE0EEENS1_30default_config_static_selectorELNS0_4arch9wavefront6targetE1EEEvT1_,"axG",@progbits,_ZN7rocprim17ROCPRIM_400000_NS6detail17trampoline_kernelINS0_14default_configENS1_35adjacent_difference_config_selectorILb1EsEEZNS1_24adjacent_difference_implIS3_Lb1ELb0EPsS7_N6thrust23THRUST_200600_302600_NS5minusIsEEEE10hipError_tPvRmT2_T3_mT4_P12ihipStream_tbEUlT_E_NS1_11comp_targetILNS1_3genE9ELNS1_11target_archE1100ELNS1_3gpuE3ELNS1_3repE0EEENS1_30default_config_static_selectorELNS0_4arch9wavefront6targetE1EEEvT1_,comdat
	.protected	_ZN7rocprim17ROCPRIM_400000_NS6detail17trampoline_kernelINS0_14default_configENS1_35adjacent_difference_config_selectorILb1EsEEZNS1_24adjacent_difference_implIS3_Lb1ELb0EPsS7_N6thrust23THRUST_200600_302600_NS5minusIsEEEE10hipError_tPvRmT2_T3_mT4_P12ihipStream_tbEUlT_E_NS1_11comp_targetILNS1_3genE9ELNS1_11target_archE1100ELNS1_3gpuE3ELNS1_3repE0EEENS1_30default_config_static_selectorELNS0_4arch9wavefront6targetE1EEEvT1_ ; -- Begin function _ZN7rocprim17ROCPRIM_400000_NS6detail17trampoline_kernelINS0_14default_configENS1_35adjacent_difference_config_selectorILb1EsEEZNS1_24adjacent_difference_implIS3_Lb1ELb0EPsS7_N6thrust23THRUST_200600_302600_NS5minusIsEEEE10hipError_tPvRmT2_T3_mT4_P12ihipStream_tbEUlT_E_NS1_11comp_targetILNS1_3genE9ELNS1_11target_archE1100ELNS1_3gpuE3ELNS1_3repE0EEENS1_30default_config_static_selectorELNS0_4arch9wavefront6targetE1EEEvT1_
	.globl	_ZN7rocprim17ROCPRIM_400000_NS6detail17trampoline_kernelINS0_14default_configENS1_35adjacent_difference_config_selectorILb1EsEEZNS1_24adjacent_difference_implIS3_Lb1ELb0EPsS7_N6thrust23THRUST_200600_302600_NS5minusIsEEEE10hipError_tPvRmT2_T3_mT4_P12ihipStream_tbEUlT_E_NS1_11comp_targetILNS1_3genE9ELNS1_11target_archE1100ELNS1_3gpuE3ELNS1_3repE0EEENS1_30default_config_static_selectorELNS0_4arch9wavefront6targetE1EEEvT1_
	.p2align	8
	.type	_ZN7rocprim17ROCPRIM_400000_NS6detail17trampoline_kernelINS0_14default_configENS1_35adjacent_difference_config_selectorILb1EsEEZNS1_24adjacent_difference_implIS3_Lb1ELb0EPsS7_N6thrust23THRUST_200600_302600_NS5minusIsEEEE10hipError_tPvRmT2_T3_mT4_P12ihipStream_tbEUlT_E_NS1_11comp_targetILNS1_3genE9ELNS1_11target_archE1100ELNS1_3gpuE3ELNS1_3repE0EEENS1_30default_config_static_selectorELNS0_4arch9wavefront6targetE1EEEvT1_,@function
_ZN7rocprim17ROCPRIM_400000_NS6detail17trampoline_kernelINS0_14default_configENS1_35adjacent_difference_config_selectorILb1EsEEZNS1_24adjacent_difference_implIS3_Lb1ELb0EPsS7_N6thrust23THRUST_200600_302600_NS5minusIsEEEE10hipError_tPvRmT2_T3_mT4_P12ihipStream_tbEUlT_E_NS1_11comp_targetILNS1_3genE9ELNS1_11target_archE1100ELNS1_3gpuE3ELNS1_3repE0EEENS1_30default_config_static_selectorELNS0_4arch9wavefront6targetE1EEEvT1_: ; @_ZN7rocprim17ROCPRIM_400000_NS6detail17trampoline_kernelINS0_14default_configENS1_35adjacent_difference_config_selectorILb1EsEEZNS1_24adjacent_difference_implIS3_Lb1ELb0EPsS7_N6thrust23THRUST_200600_302600_NS5minusIsEEEE10hipError_tPvRmT2_T3_mT4_P12ihipStream_tbEUlT_E_NS1_11comp_targetILNS1_3genE9ELNS1_11target_archE1100ELNS1_3gpuE3ELNS1_3repE0EEENS1_30default_config_static_selectorELNS0_4arch9wavefront6targetE1EEEvT1_
; %bb.0:
	.section	.rodata,"a",@progbits
	.p2align	6, 0x0
	.amdhsa_kernel _ZN7rocprim17ROCPRIM_400000_NS6detail17trampoline_kernelINS0_14default_configENS1_35adjacent_difference_config_selectorILb1EsEEZNS1_24adjacent_difference_implIS3_Lb1ELb0EPsS7_N6thrust23THRUST_200600_302600_NS5minusIsEEEE10hipError_tPvRmT2_T3_mT4_P12ihipStream_tbEUlT_E_NS1_11comp_targetILNS1_3genE9ELNS1_11target_archE1100ELNS1_3gpuE3ELNS1_3repE0EEENS1_30default_config_static_selectorELNS0_4arch9wavefront6targetE1EEEvT1_
		.amdhsa_group_segment_fixed_size 0
		.amdhsa_private_segment_fixed_size 0
		.amdhsa_kernarg_size 56
		.amdhsa_user_sgpr_count 6
		.amdhsa_user_sgpr_private_segment_buffer 1
		.amdhsa_user_sgpr_dispatch_ptr 0
		.amdhsa_user_sgpr_queue_ptr 0
		.amdhsa_user_sgpr_kernarg_segment_ptr 1
		.amdhsa_user_sgpr_dispatch_id 0
		.amdhsa_user_sgpr_flat_scratch_init 0
		.amdhsa_user_sgpr_kernarg_preload_length 0
		.amdhsa_user_sgpr_kernarg_preload_offset 0
		.amdhsa_user_sgpr_private_segment_size 0
		.amdhsa_uses_dynamic_stack 0
		.amdhsa_system_sgpr_private_segment_wavefront_offset 0
		.amdhsa_system_sgpr_workgroup_id_x 1
		.amdhsa_system_sgpr_workgroup_id_y 0
		.amdhsa_system_sgpr_workgroup_id_z 0
		.amdhsa_system_sgpr_workgroup_info 0
		.amdhsa_system_vgpr_workitem_id 0
		.amdhsa_next_free_vgpr 1
		.amdhsa_next_free_sgpr 0
		.amdhsa_accum_offset 4
		.amdhsa_reserve_vcc 0
		.amdhsa_reserve_flat_scratch 0
		.amdhsa_float_round_mode_32 0
		.amdhsa_float_round_mode_16_64 0
		.amdhsa_float_denorm_mode_32 3
		.amdhsa_float_denorm_mode_16_64 3
		.amdhsa_dx10_clamp 1
		.amdhsa_ieee_mode 1
		.amdhsa_fp16_overflow 0
		.amdhsa_tg_split 0
		.amdhsa_exception_fp_ieee_invalid_op 0
		.amdhsa_exception_fp_denorm_src 0
		.amdhsa_exception_fp_ieee_div_zero 0
		.amdhsa_exception_fp_ieee_overflow 0
		.amdhsa_exception_fp_ieee_underflow 0
		.amdhsa_exception_fp_ieee_inexact 0
		.amdhsa_exception_int_div_zero 0
	.end_amdhsa_kernel
	.section	.text._ZN7rocprim17ROCPRIM_400000_NS6detail17trampoline_kernelINS0_14default_configENS1_35adjacent_difference_config_selectorILb1EsEEZNS1_24adjacent_difference_implIS3_Lb1ELb0EPsS7_N6thrust23THRUST_200600_302600_NS5minusIsEEEE10hipError_tPvRmT2_T3_mT4_P12ihipStream_tbEUlT_E_NS1_11comp_targetILNS1_3genE9ELNS1_11target_archE1100ELNS1_3gpuE3ELNS1_3repE0EEENS1_30default_config_static_selectorELNS0_4arch9wavefront6targetE1EEEvT1_,"axG",@progbits,_ZN7rocprim17ROCPRIM_400000_NS6detail17trampoline_kernelINS0_14default_configENS1_35adjacent_difference_config_selectorILb1EsEEZNS1_24adjacent_difference_implIS3_Lb1ELb0EPsS7_N6thrust23THRUST_200600_302600_NS5minusIsEEEE10hipError_tPvRmT2_T3_mT4_P12ihipStream_tbEUlT_E_NS1_11comp_targetILNS1_3genE9ELNS1_11target_archE1100ELNS1_3gpuE3ELNS1_3repE0EEENS1_30default_config_static_selectorELNS0_4arch9wavefront6targetE1EEEvT1_,comdat
.Lfunc_end75:
	.size	_ZN7rocprim17ROCPRIM_400000_NS6detail17trampoline_kernelINS0_14default_configENS1_35adjacent_difference_config_selectorILb1EsEEZNS1_24adjacent_difference_implIS3_Lb1ELb0EPsS7_N6thrust23THRUST_200600_302600_NS5minusIsEEEE10hipError_tPvRmT2_T3_mT4_P12ihipStream_tbEUlT_E_NS1_11comp_targetILNS1_3genE9ELNS1_11target_archE1100ELNS1_3gpuE3ELNS1_3repE0EEENS1_30default_config_static_selectorELNS0_4arch9wavefront6targetE1EEEvT1_, .Lfunc_end75-_ZN7rocprim17ROCPRIM_400000_NS6detail17trampoline_kernelINS0_14default_configENS1_35adjacent_difference_config_selectorILb1EsEEZNS1_24adjacent_difference_implIS3_Lb1ELb0EPsS7_N6thrust23THRUST_200600_302600_NS5minusIsEEEE10hipError_tPvRmT2_T3_mT4_P12ihipStream_tbEUlT_E_NS1_11comp_targetILNS1_3genE9ELNS1_11target_archE1100ELNS1_3gpuE3ELNS1_3repE0EEENS1_30default_config_static_selectorELNS0_4arch9wavefront6targetE1EEEvT1_
                                        ; -- End function
	.section	.AMDGPU.csdata,"",@progbits
; Kernel info:
; codeLenInByte = 0
; NumSgprs: 4
; NumVgprs: 0
; NumAgprs: 0
; TotalNumVgprs: 0
; ScratchSize: 0
; MemoryBound: 0
; FloatMode: 240
; IeeeMode: 1
; LDSByteSize: 0 bytes/workgroup (compile time only)
; SGPRBlocks: 0
; VGPRBlocks: 0
; NumSGPRsForWavesPerEU: 4
; NumVGPRsForWavesPerEU: 1
; AccumOffset: 4
; Occupancy: 8
; WaveLimiterHint : 0
; COMPUTE_PGM_RSRC2:SCRATCH_EN: 0
; COMPUTE_PGM_RSRC2:USER_SGPR: 6
; COMPUTE_PGM_RSRC2:TRAP_HANDLER: 0
; COMPUTE_PGM_RSRC2:TGID_X_EN: 1
; COMPUTE_PGM_RSRC2:TGID_Y_EN: 0
; COMPUTE_PGM_RSRC2:TGID_Z_EN: 0
; COMPUTE_PGM_RSRC2:TIDIG_COMP_CNT: 0
; COMPUTE_PGM_RSRC3_GFX90A:ACCUM_OFFSET: 0
; COMPUTE_PGM_RSRC3_GFX90A:TG_SPLIT: 0
	.section	.text._ZN7rocprim17ROCPRIM_400000_NS6detail17trampoline_kernelINS0_14default_configENS1_35adjacent_difference_config_selectorILb1EsEEZNS1_24adjacent_difference_implIS3_Lb1ELb0EPsS7_N6thrust23THRUST_200600_302600_NS5minusIsEEEE10hipError_tPvRmT2_T3_mT4_P12ihipStream_tbEUlT_E_NS1_11comp_targetILNS1_3genE8ELNS1_11target_archE1030ELNS1_3gpuE2ELNS1_3repE0EEENS1_30default_config_static_selectorELNS0_4arch9wavefront6targetE1EEEvT1_,"axG",@progbits,_ZN7rocprim17ROCPRIM_400000_NS6detail17trampoline_kernelINS0_14default_configENS1_35adjacent_difference_config_selectorILb1EsEEZNS1_24adjacent_difference_implIS3_Lb1ELb0EPsS7_N6thrust23THRUST_200600_302600_NS5minusIsEEEE10hipError_tPvRmT2_T3_mT4_P12ihipStream_tbEUlT_E_NS1_11comp_targetILNS1_3genE8ELNS1_11target_archE1030ELNS1_3gpuE2ELNS1_3repE0EEENS1_30default_config_static_selectorELNS0_4arch9wavefront6targetE1EEEvT1_,comdat
	.protected	_ZN7rocprim17ROCPRIM_400000_NS6detail17trampoline_kernelINS0_14default_configENS1_35adjacent_difference_config_selectorILb1EsEEZNS1_24adjacent_difference_implIS3_Lb1ELb0EPsS7_N6thrust23THRUST_200600_302600_NS5minusIsEEEE10hipError_tPvRmT2_T3_mT4_P12ihipStream_tbEUlT_E_NS1_11comp_targetILNS1_3genE8ELNS1_11target_archE1030ELNS1_3gpuE2ELNS1_3repE0EEENS1_30default_config_static_selectorELNS0_4arch9wavefront6targetE1EEEvT1_ ; -- Begin function _ZN7rocprim17ROCPRIM_400000_NS6detail17trampoline_kernelINS0_14default_configENS1_35adjacent_difference_config_selectorILb1EsEEZNS1_24adjacent_difference_implIS3_Lb1ELb0EPsS7_N6thrust23THRUST_200600_302600_NS5minusIsEEEE10hipError_tPvRmT2_T3_mT4_P12ihipStream_tbEUlT_E_NS1_11comp_targetILNS1_3genE8ELNS1_11target_archE1030ELNS1_3gpuE2ELNS1_3repE0EEENS1_30default_config_static_selectorELNS0_4arch9wavefront6targetE1EEEvT1_
	.globl	_ZN7rocprim17ROCPRIM_400000_NS6detail17trampoline_kernelINS0_14default_configENS1_35adjacent_difference_config_selectorILb1EsEEZNS1_24adjacent_difference_implIS3_Lb1ELb0EPsS7_N6thrust23THRUST_200600_302600_NS5minusIsEEEE10hipError_tPvRmT2_T3_mT4_P12ihipStream_tbEUlT_E_NS1_11comp_targetILNS1_3genE8ELNS1_11target_archE1030ELNS1_3gpuE2ELNS1_3repE0EEENS1_30default_config_static_selectorELNS0_4arch9wavefront6targetE1EEEvT1_
	.p2align	8
	.type	_ZN7rocprim17ROCPRIM_400000_NS6detail17trampoline_kernelINS0_14default_configENS1_35adjacent_difference_config_selectorILb1EsEEZNS1_24adjacent_difference_implIS3_Lb1ELb0EPsS7_N6thrust23THRUST_200600_302600_NS5minusIsEEEE10hipError_tPvRmT2_T3_mT4_P12ihipStream_tbEUlT_E_NS1_11comp_targetILNS1_3genE8ELNS1_11target_archE1030ELNS1_3gpuE2ELNS1_3repE0EEENS1_30default_config_static_selectorELNS0_4arch9wavefront6targetE1EEEvT1_,@function
_ZN7rocprim17ROCPRIM_400000_NS6detail17trampoline_kernelINS0_14default_configENS1_35adjacent_difference_config_selectorILb1EsEEZNS1_24adjacent_difference_implIS3_Lb1ELb0EPsS7_N6thrust23THRUST_200600_302600_NS5minusIsEEEE10hipError_tPvRmT2_T3_mT4_P12ihipStream_tbEUlT_E_NS1_11comp_targetILNS1_3genE8ELNS1_11target_archE1030ELNS1_3gpuE2ELNS1_3repE0EEENS1_30default_config_static_selectorELNS0_4arch9wavefront6targetE1EEEvT1_: ; @_ZN7rocprim17ROCPRIM_400000_NS6detail17trampoline_kernelINS0_14default_configENS1_35adjacent_difference_config_selectorILb1EsEEZNS1_24adjacent_difference_implIS3_Lb1ELb0EPsS7_N6thrust23THRUST_200600_302600_NS5minusIsEEEE10hipError_tPvRmT2_T3_mT4_P12ihipStream_tbEUlT_E_NS1_11comp_targetILNS1_3genE8ELNS1_11target_archE1030ELNS1_3gpuE2ELNS1_3repE0EEENS1_30default_config_static_selectorELNS0_4arch9wavefront6targetE1EEEvT1_
; %bb.0:
	.section	.rodata,"a",@progbits
	.p2align	6, 0x0
	.amdhsa_kernel _ZN7rocprim17ROCPRIM_400000_NS6detail17trampoline_kernelINS0_14default_configENS1_35adjacent_difference_config_selectorILb1EsEEZNS1_24adjacent_difference_implIS3_Lb1ELb0EPsS7_N6thrust23THRUST_200600_302600_NS5minusIsEEEE10hipError_tPvRmT2_T3_mT4_P12ihipStream_tbEUlT_E_NS1_11comp_targetILNS1_3genE8ELNS1_11target_archE1030ELNS1_3gpuE2ELNS1_3repE0EEENS1_30default_config_static_selectorELNS0_4arch9wavefront6targetE1EEEvT1_
		.amdhsa_group_segment_fixed_size 0
		.amdhsa_private_segment_fixed_size 0
		.amdhsa_kernarg_size 56
		.amdhsa_user_sgpr_count 6
		.amdhsa_user_sgpr_private_segment_buffer 1
		.amdhsa_user_sgpr_dispatch_ptr 0
		.amdhsa_user_sgpr_queue_ptr 0
		.amdhsa_user_sgpr_kernarg_segment_ptr 1
		.amdhsa_user_sgpr_dispatch_id 0
		.amdhsa_user_sgpr_flat_scratch_init 0
		.amdhsa_user_sgpr_kernarg_preload_length 0
		.amdhsa_user_sgpr_kernarg_preload_offset 0
		.amdhsa_user_sgpr_private_segment_size 0
		.amdhsa_uses_dynamic_stack 0
		.amdhsa_system_sgpr_private_segment_wavefront_offset 0
		.amdhsa_system_sgpr_workgroup_id_x 1
		.amdhsa_system_sgpr_workgroup_id_y 0
		.amdhsa_system_sgpr_workgroup_id_z 0
		.amdhsa_system_sgpr_workgroup_info 0
		.amdhsa_system_vgpr_workitem_id 0
		.amdhsa_next_free_vgpr 1
		.amdhsa_next_free_sgpr 0
		.amdhsa_accum_offset 4
		.amdhsa_reserve_vcc 0
		.amdhsa_reserve_flat_scratch 0
		.amdhsa_float_round_mode_32 0
		.amdhsa_float_round_mode_16_64 0
		.amdhsa_float_denorm_mode_32 3
		.amdhsa_float_denorm_mode_16_64 3
		.amdhsa_dx10_clamp 1
		.amdhsa_ieee_mode 1
		.amdhsa_fp16_overflow 0
		.amdhsa_tg_split 0
		.amdhsa_exception_fp_ieee_invalid_op 0
		.amdhsa_exception_fp_denorm_src 0
		.amdhsa_exception_fp_ieee_div_zero 0
		.amdhsa_exception_fp_ieee_overflow 0
		.amdhsa_exception_fp_ieee_underflow 0
		.amdhsa_exception_fp_ieee_inexact 0
		.amdhsa_exception_int_div_zero 0
	.end_amdhsa_kernel
	.section	.text._ZN7rocprim17ROCPRIM_400000_NS6detail17trampoline_kernelINS0_14default_configENS1_35adjacent_difference_config_selectorILb1EsEEZNS1_24adjacent_difference_implIS3_Lb1ELb0EPsS7_N6thrust23THRUST_200600_302600_NS5minusIsEEEE10hipError_tPvRmT2_T3_mT4_P12ihipStream_tbEUlT_E_NS1_11comp_targetILNS1_3genE8ELNS1_11target_archE1030ELNS1_3gpuE2ELNS1_3repE0EEENS1_30default_config_static_selectorELNS0_4arch9wavefront6targetE1EEEvT1_,"axG",@progbits,_ZN7rocprim17ROCPRIM_400000_NS6detail17trampoline_kernelINS0_14default_configENS1_35adjacent_difference_config_selectorILb1EsEEZNS1_24adjacent_difference_implIS3_Lb1ELb0EPsS7_N6thrust23THRUST_200600_302600_NS5minusIsEEEE10hipError_tPvRmT2_T3_mT4_P12ihipStream_tbEUlT_E_NS1_11comp_targetILNS1_3genE8ELNS1_11target_archE1030ELNS1_3gpuE2ELNS1_3repE0EEENS1_30default_config_static_selectorELNS0_4arch9wavefront6targetE1EEEvT1_,comdat
.Lfunc_end76:
	.size	_ZN7rocprim17ROCPRIM_400000_NS6detail17trampoline_kernelINS0_14default_configENS1_35adjacent_difference_config_selectorILb1EsEEZNS1_24adjacent_difference_implIS3_Lb1ELb0EPsS7_N6thrust23THRUST_200600_302600_NS5minusIsEEEE10hipError_tPvRmT2_T3_mT4_P12ihipStream_tbEUlT_E_NS1_11comp_targetILNS1_3genE8ELNS1_11target_archE1030ELNS1_3gpuE2ELNS1_3repE0EEENS1_30default_config_static_selectorELNS0_4arch9wavefront6targetE1EEEvT1_, .Lfunc_end76-_ZN7rocprim17ROCPRIM_400000_NS6detail17trampoline_kernelINS0_14default_configENS1_35adjacent_difference_config_selectorILb1EsEEZNS1_24adjacent_difference_implIS3_Lb1ELb0EPsS7_N6thrust23THRUST_200600_302600_NS5minusIsEEEE10hipError_tPvRmT2_T3_mT4_P12ihipStream_tbEUlT_E_NS1_11comp_targetILNS1_3genE8ELNS1_11target_archE1030ELNS1_3gpuE2ELNS1_3repE0EEENS1_30default_config_static_selectorELNS0_4arch9wavefront6targetE1EEEvT1_
                                        ; -- End function
	.section	.AMDGPU.csdata,"",@progbits
; Kernel info:
; codeLenInByte = 0
; NumSgprs: 4
; NumVgprs: 0
; NumAgprs: 0
; TotalNumVgprs: 0
; ScratchSize: 0
; MemoryBound: 0
; FloatMode: 240
; IeeeMode: 1
; LDSByteSize: 0 bytes/workgroup (compile time only)
; SGPRBlocks: 0
; VGPRBlocks: 0
; NumSGPRsForWavesPerEU: 4
; NumVGPRsForWavesPerEU: 1
; AccumOffset: 4
; Occupancy: 8
; WaveLimiterHint : 0
; COMPUTE_PGM_RSRC2:SCRATCH_EN: 0
; COMPUTE_PGM_RSRC2:USER_SGPR: 6
; COMPUTE_PGM_RSRC2:TRAP_HANDLER: 0
; COMPUTE_PGM_RSRC2:TGID_X_EN: 1
; COMPUTE_PGM_RSRC2:TGID_Y_EN: 0
; COMPUTE_PGM_RSRC2:TGID_Z_EN: 0
; COMPUTE_PGM_RSRC2:TIDIG_COMP_CNT: 0
; COMPUTE_PGM_RSRC3_GFX90A:ACCUM_OFFSET: 0
; COMPUTE_PGM_RSRC3_GFX90A:TG_SPLIT: 0
	.section	.text._ZN7rocprim17ROCPRIM_400000_NS6detail17trampoline_kernelINS0_14default_configENS1_35adjacent_difference_config_selectorILb0EsEEZNS1_24adjacent_difference_implIS3_Lb0ELb0EPsS7_N6thrust23THRUST_200600_302600_NS4plusIsEEEE10hipError_tPvRmT2_T3_mT4_P12ihipStream_tbEUlT_E_NS1_11comp_targetILNS1_3genE0ELNS1_11target_archE4294967295ELNS1_3gpuE0ELNS1_3repE0EEENS1_30default_config_static_selectorELNS0_4arch9wavefront6targetE1EEEvT1_,"axG",@progbits,_ZN7rocprim17ROCPRIM_400000_NS6detail17trampoline_kernelINS0_14default_configENS1_35adjacent_difference_config_selectorILb0EsEEZNS1_24adjacent_difference_implIS3_Lb0ELb0EPsS7_N6thrust23THRUST_200600_302600_NS4plusIsEEEE10hipError_tPvRmT2_T3_mT4_P12ihipStream_tbEUlT_E_NS1_11comp_targetILNS1_3genE0ELNS1_11target_archE4294967295ELNS1_3gpuE0ELNS1_3repE0EEENS1_30default_config_static_selectorELNS0_4arch9wavefront6targetE1EEEvT1_,comdat
	.protected	_ZN7rocprim17ROCPRIM_400000_NS6detail17trampoline_kernelINS0_14default_configENS1_35adjacent_difference_config_selectorILb0EsEEZNS1_24adjacent_difference_implIS3_Lb0ELb0EPsS7_N6thrust23THRUST_200600_302600_NS4plusIsEEEE10hipError_tPvRmT2_T3_mT4_P12ihipStream_tbEUlT_E_NS1_11comp_targetILNS1_3genE0ELNS1_11target_archE4294967295ELNS1_3gpuE0ELNS1_3repE0EEENS1_30default_config_static_selectorELNS0_4arch9wavefront6targetE1EEEvT1_ ; -- Begin function _ZN7rocprim17ROCPRIM_400000_NS6detail17trampoline_kernelINS0_14default_configENS1_35adjacent_difference_config_selectorILb0EsEEZNS1_24adjacent_difference_implIS3_Lb0ELb0EPsS7_N6thrust23THRUST_200600_302600_NS4plusIsEEEE10hipError_tPvRmT2_T3_mT4_P12ihipStream_tbEUlT_E_NS1_11comp_targetILNS1_3genE0ELNS1_11target_archE4294967295ELNS1_3gpuE0ELNS1_3repE0EEENS1_30default_config_static_selectorELNS0_4arch9wavefront6targetE1EEEvT1_
	.globl	_ZN7rocprim17ROCPRIM_400000_NS6detail17trampoline_kernelINS0_14default_configENS1_35adjacent_difference_config_selectorILb0EsEEZNS1_24adjacent_difference_implIS3_Lb0ELb0EPsS7_N6thrust23THRUST_200600_302600_NS4plusIsEEEE10hipError_tPvRmT2_T3_mT4_P12ihipStream_tbEUlT_E_NS1_11comp_targetILNS1_3genE0ELNS1_11target_archE4294967295ELNS1_3gpuE0ELNS1_3repE0EEENS1_30default_config_static_selectorELNS0_4arch9wavefront6targetE1EEEvT1_
	.p2align	8
	.type	_ZN7rocprim17ROCPRIM_400000_NS6detail17trampoline_kernelINS0_14default_configENS1_35adjacent_difference_config_selectorILb0EsEEZNS1_24adjacent_difference_implIS3_Lb0ELb0EPsS7_N6thrust23THRUST_200600_302600_NS4plusIsEEEE10hipError_tPvRmT2_T3_mT4_P12ihipStream_tbEUlT_E_NS1_11comp_targetILNS1_3genE0ELNS1_11target_archE4294967295ELNS1_3gpuE0ELNS1_3repE0EEENS1_30default_config_static_selectorELNS0_4arch9wavefront6targetE1EEEvT1_,@function
_ZN7rocprim17ROCPRIM_400000_NS6detail17trampoline_kernelINS0_14default_configENS1_35adjacent_difference_config_selectorILb0EsEEZNS1_24adjacent_difference_implIS3_Lb0ELb0EPsS7_N6thrust23THRUST_200600_302600_NS4plusIsEEEE10hipError_tPvRmT2_T3_mT4_P12ihipStream_tbEUlT_E_NS1_11comp_targetILNS1_3genE0ELNS1_11target_archE4294967295ELNS1_3gpuE0ELNS1_3repE0EEENS1_30default_config_static_selectorELNS0_4arch9wavefront6targetE1EEEvT1_: ; @_ZN7rocprim17ROCPRIM_400000_NS6detail17trampoline_kernelINS0_14default_configENS1_35adjacent_difference_config_selectorILb0EsEEZNS1_24adjacent_difference_implIS3_Lb0ELb0EPsS7_N6thrust23THRUST_200600_302600_NS4plusIsEEEE10hipError_tPvRmT2_T3_mT4_P12ihipStream_tbEUlT_E_NS1_11comp_targetILNS1_3genE0ELNS1_11target_archE4294967295ELNS1_3gpuE0ELNS1_3repE0EEENS1_30default_config_static_selectorELNS0_4arch9wavefront6targetE1EEEvT1_
; %bb.0:
	.section	.rodata,"a",@progbits
	.p2align	6, 0x0
	.amdhsa_kernel _ZN7rocprim17ROCPRIM_400000_NS6detail17trampoline_kernelINS0_14default_configENS1_35adjacent_difference_config_selectorILb0EsEEZNS1_24adjacent_difference_implIS3_Lb0ELb0EPsS7_N6thrust23THRUST_200600_302600_NS4plusIsEEEE10hipError_tPvRmT2_T3_mT4_P12ihipStream_tbEUlT_E_NS1_11comp_targetILNS1_3genE0ELNS1_11target_archE4294967295ELNS1_3gpuE0ELNS1_3repE0EEENS1_30default_config_static_selectorELNS0_4arch9wavefront6targetE1EEEvT1_
		.amdhsa_group_segment_fixed_size 0
		.amdhsa_private_segment_fixed_size 0
		.amdhsa_kernarg_size 56
		.amdhsa_user_sgpr_count 6
		.amdhsa_user_sgpr_private_segment_buffer 1
		.amdhsa_user_sgpr_dispatch_ptr 0
		.amdhsa_user_sgpr_queue_ptr 0
		.amdhsa_user_sgpr_kernarg_segment_ptr 1
		.amdhsa_user_sgpr_dispatch_id 0
		.amdhsa_user_sgpr_flat_scratch_init 0
		.amdhsa_user_sgpr_kernarg_preload_length 0
		.amdhsa_user_sgpr_kernarg_preload_offset 0
		.amdhsa_user_sgpr_private_segment_size 0
		.amdhsa_uses_dynamic_stack 0
		.amdhsa_system_sgpr_private_segment_wavefront_offset 0
		.amdhsa_system_sgpr_workgroup_id_x 1
		.amdhsa_system_sgpr_workgroup_id_y 0
		.amdhsa_system_sgpr_workgroup_id_z 0
		.amdhsa_system_sgpr_workgroup_info 0
		.amdhsa_system_vgpr_workitem_id 0
		.amdhsa_next_free_vgpr 1
		.amdhsa_next_free_sgpr 0
		.amdhsa_accum_offset 4
		.amdhsa_reserve_vcc 0
		.amdhsa_reserve_flat_scratch 0
		.amdhsa_float_round_mode_32 0
		.amdhsa_float_round_mode_16_64 0
		.amdhsa_float_denorm_mode_32 3
		.amdhsa_float_denorm_mode_16_64 3
		.amdhsa_dx10_clamp 1
		.amdhsa_ieee_mode 1
		.amdhsa_fp16_overflow 0
		.amdhsa_tg_split 0
		.amdhsa_exception_fp_ieee_invalid_op 0
		.amdhsa_exception_fp_denorm_src 0
		.amdhsa_exception_fp_ieee_div_zero 0
		.amdhsa_exception_fp_ieee_overflow 0
		.amdhsa_exception_fp_ieee_underflow 0
		.amdhsa_exception_fp_ieee_inexact 0
		.amdhsa_exception_int_div_zero 0
	.end_amdhsa_kernel
	.section	.text._ZN7rocprim17ROCPRIM_400000_NS6detail17trampoline_kernelINS0_14default_configENS1_35adjacent_difference_config_selectorILb0EsEEZNS1_24adjacent_difference_implIS3_Lb0ELb0EPsS7_N6thrust23THRUST_200600_302600_NS4plusIsEEEE10hipError_tPvRmT2_T3_mT4_P12ihipStream_tbEUlT_E_NS1_11comp_targetILNS1_3genE0ELNS1_11target_archE4294967295ELNS1_3gpuE0ELNS1_3repE0EEENS1_30default_config_static_selectorELNS0_4arch9wavefront6targetE1EEEvT1_,"axG",@progbits,_ZN7rocprim17ROCPRIM_400000_NS6detail17trampoline_kernelINS0_14default_configENS1_35adjacent_difference_config_selectorILb0EsEEZNS1_24adjacent_difference_implIS3_Lb0ELb0EPsS7_N6thrust23THRUST_200600_302600_NS4plusIsEEEE10hipError_tPvRmT2_T3_mT4_P12ihipStream_tbEUlT_E_NS1_11comp_targetILNS1_3genE0ELNS1_11target_archE4294967295ELNS1_3gpuE0ELNS1_3repE0EEENS1_30default_config_static_selectorELNS0_4arch9wavefront6targetE1EEEvT1_,comdat
.Lfunc_end77:
	.size	_ZN7rocprim17ROCPRIM_400000_NS6detail17trampoline_kernelINS0_14default_configENS1_35adjacent_difference_config_selectorILb0EsEEZNS1_24adjacent_difference_implIS3_Lb0ELb0EPsS7_N6thrust23THRUST_200600_302600_NS4plusIsEEEE10hipError_tPvRmT2_T3_mT4_P12ihipStream_tbEUlT_E_NS1_11comp_targetILNS1_3genE0ELNS1_11target_archE4294967295ELNS1_3gpuE0ELNS1_3repE0EEENS1_30default_config_static_selectorELNS0_4arch9wavefront6targetE1EEEvT1_, .Lfunc_end77-_ZN7rocprim17ROCPRIM_400000_NS6detail17trampoline_kernelINS0_14default_configENS1_35adjacent_difference_config_selectorILb0EsEEZNS1_24adjacent_difference_implIS3_Lb0ELb0EPsS7_N6thrust23THRUST_200600_302600_NS4plusIsEEEE10hipError_tPvRmT2_T3_mT4_P12ihipStream_tbEUlT_E_NS1_11comp_targetILNS1_3genE0ELNS1_11target_archE4294967295ELNS1_3gpuE0ELNS1_3repE0EEENS1_30default_config_static_selectorELNS0_4arch9wavefront6targetE1EEEvT1_
                                        ; -- End function
	.section	.AMDGPU.csdata,"",@progbits
; Kernel info:
; codeLenInByte = 0
; NumSgprs: 4
; NumVgprs: 0
; NumAgprs: 0
; TotalNumVgprs: 0
; ScratchSize: 0
; MemoryBound: 0
; FloatMode: 240
; IeeeMode: 1
; LDSByteSize: 0 bytes/workgroup (compile time only)
; SGPRBlocks: 0
; VGPRBlocks: 0
; NumSGPRsForWavesPerEU: 4
; NumVGPRsForWavesPerEU: 1
; AccumOffset: 4
; Occupancy: 8
; WaveLimiterHint : 0
; COMPUTE_PGM_RSRC2:SCRATCH_EN: 0
; COMPUTE_PGM_RSRC2:USER_SGPR: 6
; COMPUTE_PGM_RSRC2:TRAP_HANDLER: 0
; COMPUTE_PGM_RSRC2:TGID_X_EN: 1
; COMPUTE_PGM_RSRC2:TGID_Y_EN: 0
; COMPUTE_PGM_RSRC2:TGID_Z_EN: 0
; COMPUTE_PGM_RSRC2:TIDIG_COMP_CNT: 0
; COMPUTE_PGM_RSRC3_GFX90A:ACCUM_OFFSET: 0
; COMPUTE_PGM_RSRC3_GFX90A:TG_SPLIT: 0
	.section	.text._ZN7rocprim17ROCPRIM_400000_NS6detail17trampoline_kernelINS0_14default_configENS1_35adjacent_difference_config_selectorILb0EsEEZNS1_24adjacent_difference_implIS3_Lb0ELb0EPsS7_N6thrust23THRUST_200600_302600_NS4plusIsEEEE10hipError_tPvRmT2_T3_mT4_P12ihipStream_tbEUlT_E_NS1_11comp_targetILNS1_3genE10ELNS1_11target_archE1201ELNS1_3gpuE5ELNS1_3repE0EEENS1_30default_config_static_selectorELNS0_4arch9wavefront6targetE1EEEvT1_,"axG",@progbits,_ZN7rocprim17ROCPRIM_400000_NS6detail17trampoline_kernelINS0_14default_configENS1_35adjacent_difference_config_selectorILb0EsEEZNS1_24adjacent_difference_implIS3_Lb0ELb0EPsS7_N6thrust23THRUST_200600_302600_NS4plusIsEEEE10hipError_tPvRmT2_T3_mT4_P12ihipStream_tbEUlT_E_NS1_11comp_targetILNS1_3genE10ELNS1_11target_archE1201ELNS1_3gpuE5ELNS1_3repE0EEENS1_30default_config_static_selectorELNS0_4arch9wavefront6targetE1EEEvT1_,comdat
	.protected	_ZN7rocprim17ROCPRIM_400000_NS6detail17trampoline_kernelINS0_14default_configENS1_35adjacent_difference_config_selectorILb0EsEEZNS1_24adjacent_difference_implIS3_Lb0ELb0EPsS7_N6thrust23THRUST_200600_302600_NS4plusIsEEEE10hipError_tPvRmT2_T3_mT4_P12ihipStream_tbEUlT_E_NS1_11comp_targetILNS1_3genE10ELNS1_11target_archE1201ELNS1_3gpuE5ELNS1_3repE0EEENS1_30default_config_static_selectorELNS0_4arch9wavefront6targetE1EEEvT1_ ; -- Begin function _ZN7rocprim17ROCPRIM_400000_NS6detail17trampoline_kernelINS0_14default_configENS1_35adjacent_difference_config_selectorILb0EsEEZNS1_24adjacent_difference_implIS3_Lb0ELb0EPsS7_N6thrust23THRUST_200600_302600_NS4plusIsEEEE10hipError_tPvRmT2_T3_mT4_P12ihipStream_tbEUlT_E_NS1_11comp_targetILNS1_3genE10ELNS1_11target_archE1201ELNS1_3gpuE5ELNS1_3repE0EEENS1_30default_config_static_selectorELNS0_4arch9wavefront6targetE1EEEvT1_
	.globl	_ZN7rocprim17ROCPRIM_400000_NS6detail17trampoline_kernelINS0_14default_configENS1_35adjacent_difference_config_selectorILb0EsEEZNS1_24adjacent_difference_implIS3_Lb0ELb0EPsS7_N6thrust23THRUST_200600_302600_NS4plusIsEEEE10hipError_tPvRmT2_T3_mT4_P12ihipStream_tbEUlT_E_NS1_11comp_targetILNS1_3genE10ELNS1_11target_archE1201ELNS1_3gpuE5ELNS1_3repE0EEENS1_30default_config_static_selectorELNS0_4arch9wavefront6targetE1EEEvT1_
	.p2align	8
	.type	_ZN7rocprim17ROCPRIM_400000_NS6detail17trampoline_kernelINS0_14default_configENS1_35adjacent_difference_config_selectorILb0EsEEZNS1_24adjacent_difference_implIS3_Lb0ELb0EPsS7_N6thrust23THRUST_200600_302600_NS4plusIsEEEE10hipError_tPvRmT2_T3_mT4_P12ihipStream_tbEUlT_E_NS1_11comp_targetILNS1_3genE10ELNS1_11target_archE1201ELNS1_3gpuE5ELNS1_3repE0EEENS1_30default_config_static_selectorELNS0_4arch9wavefront6targetE1EEEvT1_,@function
_ZN7rocprim17ROCPRIM_400000_NS6detail17trampoline_kernelINS0_14default_configENS1_35adjacent_difference_config_selectorILb0EsEEZNS1_24adjacent_difference_implIS3_Lb0ELb0EPsS7_N6thrust23THRUST_200600_302600_NS4plusIsEEEE10hipError_tPvRmT2_T3_mT4_P12ihipStream_tbEUlT_E_NS1_11comp_targetILNS1_3genE10ELNS1_11target_archE1201ELNS1_3gpuE5ELNS1_3repE0EEENS1_30default_config_static_selectorELNS0_4arch9wavefront6targetE1EEEvT1_: ; @_ZN7rocprim17ROCPRIM_400000_NS6detail17trampoline_kernelINS0_14default_configENS1_35adjacent_difference_config_selectorILb0EsEEZNS1_24adjacent_difference_implIS3_Lb0ELb0EPsS7_N6thrust23THRUST_200600_302600_NS4plusIsEEEE10hipError_tPvRmT2_T3_mT4_P12ihipStream_tbEUlT_E_NS1_11comp_targetILNS1_3genE10ELNS1_11target_archE1201ELNS1_3gpuE5ELNS1_3repE0EEENS1_30default_config_static_selectorELNS0_4arch9wavefront6targetE1EEEvT1_
; %bb.0:
	.section	.rodata,"a",@progbits
	.p2align	6, 0x0
	.amdhsa_kernel _ZN7rocprim17ROCPRIM_400000_NS6detail17trampoline_kernelINS0_14default_configENS1_35adjacent_difference_config_selectorILb0EsEEZNS1_24adjacent_difference_implIS3_Lb0ELb0EPsS7_N6thrust23THRUST_200600_302600_NS4plusIsEEEE10hipError_tPvRmT2_T3_mT4_P12ihipStream_tbEUlT_E_NS1_11comp_targetILNS1_3genE10ELNS1_11target_archE1201ELNS1_3gpuE5ELNS1_3repE0EEENS1_30default_config_static_selectorELNS0_4arch9wavefront6targetE1EEEvT1_
		.amdhsa_group_segment_fixed_size 0
		.amdhsa_private_segment_fixed_size 0
		.amdhsa_kernarg_size 56
		.amdhsa_user_sgpr_count 6
		.amdhsa_user_sgpr_private_segment_buffer 1
		.amdhsa_user_sgpr_dispatch_ptr 0
		.amdhsa_user_sgpr_queue_ptr 0
		.amdhsa_user_sgpr_kernarg_segment_ptr 1
		.amdhsa_user_sgpr_dispatch_id 0
		.amdhsa_user_sgpr_flat_scratch_init 0
		.amdhsa_user_sgpr_kernarg_preload_length 0
		.amdhsa_user_sgpr_kernarg_preload_offset 0
		.amdhsa_user_sgpr_private_segment_size 0
		.amdhsa_uses_dynamic_stack 0
		.amdhsa_system_sgpr_private_segment_wavefront_offset 0
		.amdhsa_system_sgpr_workgroup_id_x 1
		.amdhsa_system_sgpr_workgroup_id_y 0
		.amdhsa_system_sgpr_workgroup_id_z 0
		.amdhsa_system_sgpr_workgroup_info 0
		.amdhsa_system_vgpr_workitem_id 0
		.amdhsa_next_free_vgpr 1
		.amdhsa_next_free_sgpr 0
		.amdhsa_accum_offset 4
		.amdhsa_reserve_vcc 0
		.amdhsa_reserve_flat_scratch 0
		.amdhsa_float_round_mode_32 0
		.amdhsa_float_round_mode_16_64 0
		.amdhsa_float_denorm_mode_32 3
		.amdhsa_float_denorm_mode_16_64 3
		.amdhsa_dx10_clamp 1
		.amdhsa_ieee_mode 1
		.amdhsa_fp16_overflow 0
		.amdhsa_tg_split 0
		.amdhsa_exception_fp_ieee_invalid_op 0
		.amdhsa_exception_fp_denorm_src 0
		.amdhsa_exception_fp_ieee_div_zero 0
		.amdhsa_exception_fp_ieee_overflow 0
		.amdhsa_exception_fp_ieee_underflow 0
		.amdhsa_exception_fp_ieee_inexact 0
		.amdhsa_exception_int_div_zero 0
	.end_amdhsa_kernel
	.section	.text._ZN7rocprim17ROCPRIM_400000_NS6detail17trampoline_kernelINS0_14default_configENS1_35adjacent_difference_config_selectorILb0EsEEZNS1_24adjacent_difference_implIS3_Lb0ELb0EPsS7_N6thrust23THRUST_200600_302600_NS4plusIsEEEE10hipError_tPvRmT2_T3_mT4_P12ihipStream_tbEUlT_E_NS1_11comp_targetILNS1_3genE10ELNS1_11target_archE1201ELNS1_3gpuE5ELNS1_3repE0EEENS1_30default_config_static_selectorELNS0_4arch9wavefront6targetE1EEEvT1_,"axG",@progbits,_ZN7rocprim17ROCPRIM_400000_NS6detail17trampoline_kernelINS0_14default_configENS1_35adjacent_difference_config_selectorILb0EsEEZNS1_24adjacent_difference_implIS3_Lb0ELb0EPsS7_N6thrust23THRUST_200600_302600_NS4plusIsEEEE10hipError_tPvRmT2_T3_mT4_P12ihipStream_tbEUlT_E_NS1_11comp_targetILNS1_3genE10ELNS1_11target_archE1201ELNS1_3gpuE5ELNS1_3repE0EEENS1_30default_config_static_selectorELNS0_4arch9wavefront6targetE1EEEvT1_,comdat
.Lfunc_end78:
	.size	_ZN7rocprim17ROCPRIM_400000_NS6detail17trampoline_kernelINS0_14default_configENS1_35adjacent_difference_config_selectorILb0EsEEZNS1_24adjacent_difference_implIS3_Lb0ELb0EPsS7_N6thrust23THRUST_200600_302600_NS4plusIsEEEE10hipError_tPvRmT2_T3_mT4_P12ihipStream_tbEUlT_E_NS1_11comp_targetILNS1_3genE10ELNS1_11target_archE1201ELNS1_3gpuE5ELNS1_3repE0EEENS1_30default_config_static_selectorELNS0_4arch9wavefront6targetE1EEEvT1_, .Lfunc_end78-_ZN7rocprim17ROCPRIM_400000_NS6detail17trampoline_kernelINS0_14default_configENS1_35adjacent_difference_config_selectorILb0EsEEZNS1_24adjacent_difference_implIS3_Lb0ELb0EPsS7_N6thrust23THRUST_200600_302600_NS4plusIsEEEE10hipError_tPvRmT2_T3_mT4_P12ihipStream_tbEUlT_E_NS1_11comp_targetILNS1_3genE10ELNS1_11target_archE1201ELNS1_3gpuE5ELNS1_3repE0EEENS1_30default_config_static_selectorELNS0_4arch9wavefront6targetE1EEEvT1_
                                        ; -- End function
	.section	.AMDGPU.csdata,"",@progbits
; Kernel info:
; codeLenInByte = 0
; NumSgprs: 4
; NumVgprs: 0
; NumAgprs: 0
; TotalNumVgprs: 0
; ScratchSize: 0
; MemoryBound: 0
; FloatMode: 240
; IeeeMode: 1
; LDSByteSize: 0 bytes/workgroup (compile time only)
; SGPRBlocks: 0
; VGPRBlocks: 0
; NumSGPRsForWavesPerEU: 4
; NumVGPRsForWavesPerEU: 1
; AccumOffset: 4
; Occupancy: 8
; WaveLimiterHint : 0
; COMPUTE_PGM_RSRC2:SCRATCH_EN: 0
; COMPUTE_PGM_RSRC2:USER_SGPR: 6
; COMPUTE_PGM_RSRC2:TRAP_HANDLER: 0
; COMPUTE_PGM_RSRC2:TGID_X_EN: 1
; COMPUTE_PGM_RSRC2:TGID_Y_EN: 0
; COMPUTE_PGM_RSRC2:TGID_Z_EN: 0
; COMPUTE_PGM_RSRC2:TIDIG_COMP_CNT: 0
; COMPUTE_PGM_RSRC3_GFX90A:ACCUM_OFFSET: 0
; COMPUTE_PGM_RSRC3_GFX90A:TG_SPLIT: 0
	.section	.text._ZN7rocprim17ROCPRIM_400000_NS6detail17trampoline_kernelINS0_14default_configENS1_35adjacent_difference_config_selectorILb0EsEEZNS1_24adjacent_difference_implIS3_Lb0ELb0EPsS7_N6thrust23THRUST_200600_302600_NS4plusIsEEEE10hipError_tPvRmT2_T3_mT4_P12ihipStream_tbEUlT_E_NS1_11comp_targetILNS1_3genE5ELNS1_11target_archE942ELNS1_3gpuE9ELNS1_3repE0EEENS1_30default_config_static_selectorELNS0_4arch9wavefront6targetE1EEEvT1_,"axG",@progbits,_ZN7rocprim17ROCPRIM_400000_NS6detail17trampoline_kernelINS0_14default_configENS1_35adjacent_difference_config_selectorILb0EsEEZNS1_24adjacent_difference_implIS3_Lb0ELb0EPsS7_N6thrust23THRUST_200600_302600_NS4plusIsEEEE10hipError_tPvRmT2_T3_mT4_P12ihipStream_tbEUlT_E_NS1_11comp_targetILNS1_3genE5ELNS1_11target_archE942ELNS1_3gpuE9ELNS1_3repE0EEENS1_30default_config_static_selectorELNS0_4arch9wavefront6targetE1EEEvT1_,comdat
	.protected	_ZN7rocprim17ROCPRIM_400000_NS6detail17trampoline_kernelINS0_14default_configENS1_35adjacent_difference_config_selectorILb0EsEEZNS1_24adjacent_difference_implIS3_Lb0ELb0EPsS7_N6thrust23THRUST_200600_302600_NS4plusIsEEEE10hipError_tPvRmT2_T3_mT4_P12ihipStream_tbEUlT_E_NS1_11comp_targetILNS1_3genE5ELNS1_11target_archE942ELNS1_3gpuE9ELNS1_3repE0EEENS1_30default_config_static_selectorELNS0_4arch9wavefront6targetE1EEEvT1_ ; -- Begin function _ZN7rocprim17ROCPRIM_400000_NS6detail17trampoline_kernelINS0_14default_configENS1_35adjacent_difference_config_selectorILb0EsEEZNS1_24adjacent_difference_implIS3_Lb0ELb0EPsS7_N6thrust23THRUST_200600_302600_NS4plusIsEEEE10hipError_tPvRmT2_T3_mT4_P12ihipStream_tbEUlT_E_NS1_11comp_targetILNS1_3genE5ELNS1_11target_archE942ELNS1_3gpuE9ELNS1_3repE0EEENS1_30default_config_static_selectorELNS0_4arch9wavefront6targetE1EEEvT1_
	.globl	_ZN7rocprim17ROCPRIM_400000_NS6detail17trampoline_kernelINS0_14default_configENS1_35adjacent_difference_config_selectorILb0EsEEZNS1_24adjacent_difference_implIS3_Lb0ELb0EPsS7_N6thrust23THRUST_200600_302600_NS4plusIsEEEE10hipError_tPvRmT2_T3_mT4_P12ihipStream_tbEUlT_E_NS1_11comp_targetILNS1_3genE5ELNS1_11target_archE942ELNS1_3gpuE9ELNS1_3repE0EEENS1_30default_config_static_selectorELNS0_4arch9wavefront6targetE1EEEvT1_
	.p2align	8
	.type	_ZN7rocprim17ROCPRIM_400000_NS6detail17trampoline_kernelINS0_14default_configENS1_35adjacent_difference_config_selectorILb0EsEEZNS1_24adjacent_difference_implIS3_Lb0ELb0EPsS7_N6thrust23THRUST_200600_302600_NS4plusIsEEEE10hipError_tPvRmT2_T3_mT4_P12ihipStream_tbEUlT_E_NS1_11comp_targetILNS1_3genE5ELNS1_11target_archE942ELNS1_3gpuE9ELNS1_3repE0EEENS1_30default_config_static_selectorELNS0_4arch9wavefront6targetE1EEEvT1_,@function
_ZN7rocprim17ROCPRIM_400000_NS6detail17trampoline_kernelINS0_14default_configENS1_35adjacent_difference_config_selectorILb0EsEEZNS1_24adjacent_difference_implIS3_Lb0ELb0EPsS7_N6thrust23THRUST_200600_302600_NS4plusIsEEEE10hipError_tPvRmT2_T3_mT4_P12ihipStream_tbEUlT_E_NS1_11comp_targetILNS1_3genE5ELNS1_11target_archE942ELNS1_3gpuE9ELNS1_3repE0EEENS1_30default_config_static_selectorELNS0_4arch9wavefront6targetE1EEEvT1_: ; @_ZN7rocprim17ROCPRIM_400000_NS6detail17trampoline_kernelINS0_14default_configENS1_35adjacent_difference_config_selectorILb0EsEEZNS1_24adjacent_difference_implIS3_Lb0ELb0EPsS7_N6thrust23THRUST_200600_302600_NS4plusIsEEEE10hipError_tPvRmT2_T3_mT4_P12ihipStream_tbEUlT_E_NS1_11comp_targetILNS1_3genE5ELNS1_11target_archE942ELNS1_3gpuE9ELNS1_3repE0EEENS1_30default_config_static_selectorELNS0_4arch9wavefront6targetE1EEEvT1_
; %bb.0:
	.section	.rodata,"a",@progbits
	.p2align	6, 0x0
	.amdhsa_kernel _ZN7rocprim17ROCPRIM_400000_NS6detail17trampoline_kernelINS0_14default_configENS1_35adjacent_difference_config_selectorILb0EsEEZNS1_24adjacent_difference_implIS3_Lb0ELb0EPsS7_N6thrust23THRUST_200600_302600_NS4plusIsEEEE10hipError_tPvRmT2_T3_mT4_P12ihipStream_tbEUlT_E_NS1_11comp_targetILNS1_3genE5ELNS1_11target_archE942ELNS1_3gpuE9ELNS1_3repE0EEENS1_30default_config_static_selectorELNS0_4arch9wavefront6targetE1EEEvT1_
		.amdhsa_group_segment_fixed_size 0
		.amdhsa_private_segment_fixed_size 0
		.amdhsa_kernarg_size 56
		.amdhsa_user_sgpr_count 6
		.amdhsa_user_sgpr_private_segment_buffer 1
		.amdhsa_user_sgpr_dispatch_ptr 0
		.amdhsa_user_sgpr_queue_ptr 0
		.amdhsa_user_sgpr_kernarg_segment_ptr 1
		.amdhsa_user_sgpr_dispatch_id 0
		.amdhsa_user_sgpr_flat_scratch_init 0
		.amdhsa_user_sgpr_kernarg_preload_length 0
		.amdhsa_user_sgpr_kernarg_preload_offset 0
		.amdhsa_user_sgpr_private_segment_size 0
		.amdhsa_uses_dynamic_stack 0
		.amdhsa_system_sgpr_private_segment_wavefront_offset 0
		.amdhsa_system_sgpr_workgroup_id_x 1
		.amdhsa_system_sgpr_workgroup_id_y 0
		.amdhsa_system_sgpr_workgroup_id_z 0
		.amdhsa_system_sgpr_workgroup_info 0
		.amdhsa_system_vgpr_workitem_id 0
		.amdhsa_next_free_vgpr 1
		.amdhsa_next_free_sgpr 0
		.amdhsa_accum_offset 4
		.amdhsa_reserve_vcc 0
		.amdhsa_reserve_flat_scratch 0
		.amdhsa_float_round_mode_32 0
		.amdhsa_float_round_mode_16_64 0
		.amdhsa_float_denorm_mode_32 3
		.amdhsa_float_denorm_mode_16_64 3
		.amdhsa_dx10_clamp 1
		.amdhsa_ieee_mode 1
		.amdhsa_fp16_overflow 0
		.amdhsa_tg_split 0
		.amdhsa_exception_fp_ieee_invalid_op 0
		.amdhsa_exception_fp_denorm_src 0
		.amdhsa_exception_fp_ieee_div_zero 0
		.amdhsa_exception_fp_ieee_overflow 0
		.amdhsa_exception_fp_ieee_underflow 0
		.amdhsa_exception_fp_ieee_inexact 0
		.amdhsa_exception_int_div_zero 0
	.end_amdhsa_kernel
	.section	.text._ZN7rocprim17ROCPRIM_400000_NS6detail17trampoline_kernelINS0_14default_configENS1_35adjacent_difference_config_selectorILb0EsEEZNS1_24adjacent_difference_implIS3_Lb0ELb0EPsS7_N6thrust23THRUST_200600_302600_NS4plusIsEEEE10hipError_tPvRmT2_T3_mT4_P12ihipStream_tbEUlT_E_NS1_11comp_targetILNS1_3genE5ELNS1_11target_archE942ELNS1_3gpuE9ELNS1_3repE0EEENS1_30default_config_static_selectorELNS0_4arch9wavefront6targetE1EEEvT1_,"axG",@progbits,_ZN7rocprim17ROCPRIM_400000_NS6detail17trampoline_kernelINS0_14default_configENS1_35adjacent_difference_config_selectorILb0EsEEZNS1_24adjacent_difference_implIS3_Lb0ELb0EPsS7_N6thrust23THRUST_200600_302600_NS4plusIsEEEE10hipError_tPvRmT2_T3_mT4_P12ihipStream_tbEUlT_E_NS1_11comp_targetILNS1_3genE5ELNS1_11target_archE942ELNS1_3gpuE9ELNS1_3repE0EEENS1_30default_config_static_selectorELNS0_4arch9wavefront6targetE1EEEvT1_,comdat
.Lfunc_end79:
	.size	_ZN7rocprim17ROCPRIM_400000_NS6detail17trampoline_kernelINS0_14default_configENS1_35adjacent_difference_config_selectorILb0EsEEZNS1_24adjacent_difference_implIS3_Lb0ELb0EPsS7_N6thrust23THRUST_200600_302600_NS4plusIsEEEE10hipError_tPvRmT2_T3_mT4_P12ihipStream_tbEUlT_E_NS1_11comp_targetILNS1_3genE5ELNS1_11target_archE942ELNS1_3gpuE9ELNS1_3repE0EEENS1_30default_config_static_selectorELNS0_4arch9wavefront6targetE1EEEvT1_, .Lfunc_end79-_ZN7rocprim17ROCPRIM_400000_NS6detail17trampoline_kernelINS0_14default_configENS1_35adjacent_difference_config_selectorILb0EsEEZNS1_24adjacent_difference_implIS3_Lb0ELb0EPsS7_N6thrust23THRUST_200600_302600_NS4plusIsEEEE10hipError_tPvRmT2_T3_mT4_P12ihipStream_tbEUlT_E_NS1_11comp_targetILNS1_3genE5ELNS1_11target_archE942ELNS1_3gpuE9ELNS1_3repE0EEENS1_30default_config_static_selectorELNS0_4arch9wavefront6targetE1EEEvT1_
                                        ; -- End function
	.section	.AMDGPU.csdata,"",@progbits
; Kernel info:
; codeLenInByte = 0
; NumSgprs: 4
; NumVgprs: 0
; NumAgprs: 0
; TotalNumVgprs: 0
; ScratchSize: 0
; MemoryBound: 0
; FloatMode: 240
; IeeeMode: 1
; LDSByteSize: 0 bytes/workgroup (compile time only)
; SGPRBlocks: 0
; VGPRBlocks: 0
; NumSGPRsForWavesPerEU: 4
; NumVGPRsForWavesPerEU: 1
; AccumOffset: 4
; Occupancy: 8
; WaveLimiterHint : 0
; COMPUTE_PGM_RSRC2:SCRATCH_EN: 0
; COMPUTE_PGM_RSRC2:USER_SGPR: 6
; COMPUTE_PGM_RSRC2:TRAP_HANDLER: 0
; COMPUTE_PGM_RSRC2:TGID_X_EN: 1
; COMPUTE_PGM_RSRC2:TGID_Y_EN: 0
; COMPUTE_PGM_RSRC2:TGID_Z_EN: 0
; COMPUTE_PGM_RSRC2:TIDIG_COMP_CNT: 0
; COMPUTE_PGM_RSRC3_GFX90A:ACCUM_OFFSET: 0
; COMPUTE_PGM_RSRC3_GFX90A:TG_SPLIT: 0
	.section	.text._ZN7rocprim17ROCPRIM_400000_NS6detail17trampoline_kernelINS0_14default_configENS1_35adjacent_difference_config_selectorILb0EsEEZNS1_24adjacent_difference_implIS3_Lb0ELb0EPsS7_N6thrust23THRUST_200600_302600_NS4plusIsEEEE10hipError_tPvRmT2_T3_mT4_P12ihipStream_tbEUlT_E_NS1_11comp_targetILNS1_3genE4ELNS1_11target_archE910ELNS1_3gpuE8ELNS1_3repE0EEENS1_30default_config_static_selectorELNS0_4arch9wavefront6targetE1EEEvT1_,"axG",@progbits,_ZN7rocprim17ROCPRIM_400000_NS6detail17trampoline_kernelINS0_14default_configENS1_35adjacent_difference_config_selectorILb0EsEEZNS1_24adjacent_difference_implIS3_Lb0ELb0EPsS7_N6thrust23THRUST_200600_302600_NS4plusIsEEEE10hipError_tPvRmT2_T3_mT4_P12ihipStream_tbEUlT_E_NS1_11comp_targetILNS1_3genE4ELNS1_11target_archE910ELNS1_3gpuE8ELNS1_3repE0EEENS1_30default_config_static_selectorELNS0_4arch9wavefront6targetE1EEEvT1_,comdat
	.protected	_ZN7rocprim17ROCPRIM_400000_NS6detail17trampoline_kernelINS0_14default_configENS1_35adjacent_difference_config_selectorILb0EsEEZNS1_24adjacent_difference_implIS3_Lb0ELb0EPsS7_N6thrust23THRUST_200600_302600_NS4plusIsEEEE10hipError_tPvRmT2_T3_mT4_P12ihipStream_tbEUlT_E_NS1_11comp_targetILNS1_3genE4ELNS1_11target_archE910ELNS1_3gpuE8ELNS1_3repE0EEENS1_30default_config_static_selectorELNS0_4arch9wavefront6targetE1EEEvT1_ ; -- Begin function _ZN7rocprim17ROCPRIM_400000_NS6detail17trampoline_kernelINS0_14default_configENS1_35adjacent_difference_config_selectorILb0EsEEZNS1_24adjacent_difference_implIS3_Lb0ELb0EPsS7_N6thrust23THRUST_200600_302600_NS4plusIsEEEE10hipError_tPvRmT2_T3_mT4_P12ihipStream_tbEUlT_E_NS1_11comp_targetILNS1_3genE4ELNS1_11target_archE910ELNS1_3gpuE8ELNS1_3repE0EEENS1_30default_config_static_selectorELNS0_4arch9wavefront6targetE1EEEvT1_
	.globl	_ZN7rocprim17ROCPRIM_400000_NS6detail17trampoline_kernelINS0_14default_configENS1_35adjacent_difference_config_selectorILb0EsEEZNS1_24adjacent_difference_implIS3_Lb0ELb0EPsS7_N6thrust23THRUST_200600_302600_NS4plusIsEEEE10hipError_tPvRmT2_T3_mT4_P12ihipStream_tbEUlT_E_NS1_11comp_targetILNS1_3genE4ELNS1_11target_archE910ELNS1_3gpuE8ELNS1_3repE0EEENS1_30default_config_static_selectorELNS0_4arch9wavefront6targetE1EEEvT1_
	.p2align	8
	.type	_ZN7rocprim17ROCPRIM_400000_NS6detail17trampoline_kernelINS0_14default_configENS1_35adjacent_difference_config_selectorILb0EsEEZNS1_24adjacent_difference_implIS3_Lb0ELb0EPsS7_N6thrust23THRUST_200600_302600_NS4plusIsEEEE10hipError_tPvRmT2_T3_mT4_P12ihipStream_tbEUlT_E_NS1_11comp_targetILNS1_3genE4ELNS1_11target_archE910ELNS1_3gpuE8ELNS1_3repE0EEENS1_30default_config_static_selectorELNS0_4arch9wavefront6targetE1EEEvT1_,@function
_ZN7rocprim17ROCPRIM_400000_NS6detail17trampoline_kernelINS0_14default_configENS1_35adjacent_difference_config_selectorILb0EsEEZNS1_24adjacent_difference_implIS3_Lb0ELb0EPsS7_N6thrust23THRUST_200600_302600_NS4plusIsEEEE10hipError_tPvRmT2_T3_mT4_P12ihipStream_tbEUlT_E_NS1_11comp_targetILNS1_3genE4ELNS1_11target_archE910ELNS1_3gpuE8ELNS1_3repE0EEENS1_30default_config_static_selectorELNS0_4arch9wavefront6targetE1EEEvT1_: ; @_ZN7rocprim17ROCPRIM_400000_NS6detail17trampoline_kernelINS0_14default_configENS1_35adjacent_difference_config_selectorILb0EsEEZNS1_24adjacent_difference_implIS3_Lb0ELb0EPsS7_N6thrust23THRUST_200600_302600_NS4plusIsEEEE10hipError_tPvRmT2_T3_mT4_P12ihipStream_tbEUlT_E_NS1_11comp_targetILNS1_3genE4ELNS1_11target_archE910ELNS1_3gpuE8ELNS1_3repE0EEENS1_30default_config_static_selectorELNS0_4arch9wavefront6targetE1EEEvT1_
; %bb.0:
	s_load_dwordx8 s[8:15], s[4:5], 0x0
	s_mov_b32 s2, 0xfc3c3710
	s_movk_i32 s7, 0x440
	s_load_dwordx2 s[0:1], s[4:5], 0x30
	s_mul_i32 s4, s6, 0x440
	s_waitcnt lgkmcnt(0)
	s_lshl_b64 s[10:11], s[10:11], 1
	s_add_u32 s20, s8, s10
	s_addc_u32 s21, s9, s11
	s_add_u32 s2, 0x10c, s2
	s_addc_u32 s8, 0, 0
	v_add_co_u32_e64 v1, s[2:3], s2, 2.0
	s_cmp_lg_u64 s[2:3], 0
	s_addc_u32 s2, s8, 0x3c3c3b
	v_readfirstlane_b32 s8, v1
	s_mul_hi_u32 s9, s8, 0xfffffbc0
	s_mul_i32 s3, s2, 0xfffffbc0
	s_sub_i32 s9, s9, s8
	s_add_i32 s9, s9, s3
	s_mul_i32 s17, s8, 0xfffffbc0
	s_mul_hi_u32 s3, s8, s9
	s_mul_i32 s16, s8, s9
	s_mul_hi_u32 s8, s8, s17
	s_add_u32 s8, s8, s16
	s_addc_u32 s3, 0, s3
	s_mul_hi_u32 s18, s2, s17
	s_mul_i32 s17, s2, s17
	s_add_u32 s8, s8, s17
	s_mul_hi_u32 s16, s2, s9
	s_addc_u32 s3, s3, s18
	s_addc_u32 s8, s16, 0
	s_mul_i32 s9, s2, s9
	s_add_u32 s3, s3, s9
	s_addc_u32 s8, 0, s8
	v_add_co_u32_e32 v1, vcc, s3, v1
	s_cmp_lg_u64 vcc, 0
	s_addc_u32 s2, s2, s8
	v_readfirstlane_b32 s9, v1
	s_mul_i32 s8, s14, s2
	s_mul_hi_u32 s16, s14, s9
	s_mul_hi_u32 s3, s14, s2
	s_add_u32 s8, s16, s8
	s_addc_u32 s3, 0, s3
	s_mul_hi_u32 s17, s15, s9
	s_mul_i32 s9, s15, s9
	s_add_u32 s8, s8, s9
	s_mul_hi_u32 s16, s15, s2
	s_addc_u32 s3, s3, s17
	s_addc_u32 s8, s16, 0
	s_mul_i32 s2, s15, s2
	s_add_u32 s2, s3, s2
	s_addc_u32 s3, 0, s8
	s_add_u32 s8, s2, 1
	s_addc_u32 s9, s3, 0
	s_add_u32 s16, s2, 2
	s_mul_i32 s18, s3, 0x440
	s_mul_hi_u32 s19, s2, 0x440
	s_addc_u32 s17, s3, 0
	s_add_i32 s19, s19, s18
	s_mul_i32 s18, s2, 0x440
	v_mov_b32_e32 v1, s18
	v_sub_co_u32_e32 v1, vcc, s14, v1
	s_cmp_lg_u64 vcc, 0
	s_subb_u32 s18, s15, s19
	v_subrev_co_u32_e32 v2, vcc, s7, v1
	s_cmp_lg_u64 vcc, 0
	s_subb_u32 s7, s18, 0
	v_readfirstlane_b32 s19, v2
	s_cmpk_gt_u32 s19, 0x43f
	s_cselect_b32 s19, -1, 0
	s_cmp_eq_u32 s7, 0
	s_cselect_b32 s7, s19, -1
	s_cmp_lg_u32 s7, 0
	s_cselect_b32 s7, s16, s8
	s_cselect_b32 s8, s17, s9
	v_readfirstlane_b32 s9, v1
	s_cmpk_gt_u32 s9, 0x43f
	s_cselect_b32 s9, -1, 0
	s_cmp_eq_u32 s18, 0
	s_cselect_b32 s9, s9, -1
	s_cmp_lg_u32 s9, 0
	s_cselect_b32 s8, s8, s3
	s_cselect_b32 s7, s7, s2
	s_mul_i32 s2, s8, 0x440
	s_mul_hi_u32 s3, s7, 0x440
	s_add_i32 s3, s3, s2
	s_mul_i32 s2, s7, 0x440
	s_sub_u32 s2, s14, s2
	s_subb_u32 s3, s15, s3
	s_cmp_lg_u64 s[2:3], 0
	s_cselect_b64 s[2:3], -1, 0
	v_cndmask_b32_e64 v1, 0, 1, s[2:3]
	v_readfirstlane_b32 s2, v1
	s_add_u32 s2, s7, s2
	s_addc_u32 s3, s8, 0
	s_add_u32 s6, s0, s6
	s_addc_u32 s7, s1, 0
	s_add_u32 s8, s2, -1
	s_addc_u32 s9, s3, -1
	v_pk_mov_b32 v[2:3], s[8:9], s[8:9] op_sel:[0,1]
	v_cmp_ge_u64_e64 s[0:1], s[6:7], v[2:3]
	s_mov_b32 s5, 0
	s_mov_b64 s[16:17], -1
	s_and_b64 vcc, exec, s[0:1]
	s_mul_i32 s15, s8, 0xfffffbc0
	s_cbranch_vccz .LBB80_36
; %bb.1:
	s_add_i32 s22, s15, s14
	s_lshl_b64 s[16:17], s[4:5], 1
	s_add_u32 s16, s20, s16
	s_addc_u32 s17, s21, s17
	v_cmp_gt_u32_e32 vcc, s22, v0
                                        ; implicit-def: $vgpr1
	s_and_saveexec_b64 s[18:19], vcc
	s_cbranch_execz .LBB80_3
; %bb.2:
	v_lshlrev_b32_e32 v1, 1, v0
	global_load_ushort v1, v1, s[16:17]
.LBB80_3:
	s_or_b64 exec, exec, s[18:19]
	v_or_b32_e32 v2, 64, v0
	v_cmp_gt_u32_e32 vcc, s22, v2
                                        ; implicit-def: $vgpr2
	s_and_saveexec_b64 s[18:19], vcc
	s_cbranch_execz .LBB80_5
; %bb.4:
	v_lshlrev_b32_e32 v2, 1, v0
	global_load_ushort v2, v2, s[16:17] offset:128
.LBB80_5:
	s_or_b64 exec, exec, s[18:19]
	v_or_b32_e32 v3, 0x80, v0
	v_cmp_gt_u32_e32 vcc, s22, v3
                                        ; implicit-def: $vgpr3
	s_and_saveexec_b64 s[18:19], vcc
	s_cbranch_execz .LBB80_7
; %bb.6:
	v_lshlrev_b32_e32 v3, 1, v0
	global_load_ushort v3, v3, s[16:17] offset:256
.LBB80_7:
	s_or_b64 exec, exec, s[18:19]
	v_or_b32_e32 v4, 0xc0, v0
	v_cmp_gt_u32_e32 vcc, s22, v4
                                        ; implicit-def: $vgpr4
	s_and_saveexec_b64 s[18:19], vcc
	s_cbranch_execz .LBB80_9
; %bb.8:
	v_lshlrev_b32_e32 v4, 1, v0
	global_load_ushort v4, v4, s[16:17] offset:384
.LBB80_9:
	s_or_b64 exec, exec, s[18:19]
	v_or_b32_e32 v5, 0x100, v0
	v_cmp_gt_u32_e32 vcc, s22, v5
                                        ; implicit-def: $vgpr5
	s_and_saveexec_b64 s[18:19], vcc
	s_cbranch_execz .LBB80_11
; %bb.10:
	v_lshlrev_b32_e32 v5, 1, v0
	global_load_ushort v5, v5, s[16:17] offset:512
.LBB80_11:
	s_or_b64 exec, exec, s[18:19]
	v_or_b32_e32 v6, 0x140, v0
	v_cmp_gt_u32_e32 vcc, s22, v6
                                        ; implicit-def: $vgpr6
	s_and_saveexec_b64 s[18:19], vcc
	s_cbranch_execz .LBB80_13
; %bb.12:
	v_lshlrev_b32_e32 v6, 1, v0
	global_load_ushort v6, v6, s[16:17] offset:640
.LBB80_13:
	s_or_b64 exec, exec, s[18:19]
	v_or_b32_e32 v7, 0x180, v0
	v_cmp_gt_u32_e32 vcc, s22, v7
                                        ; implicit-def: $vgpr7
	s_and_saveexec_b64 s[18:19], vcc
	s_cbranch_execz .LBB80_15
; %bb.14:
	v_lshlrev_b32_e32 v7, 1, v0
	global_load_ushort v7, v7, s[16:17] offset:768
.LBB80_15:
	s_or_b64 exec, exec, s[18:19]
	v_or_b32_e32 v8, 0x1c0, v0
	v_cmp_gt_u32_e32 vcc, s22, v8
                                        ; implicit-def: $vgpr8
	s_and_saveexec_b64 s[18:19], vcc
	s_cbranch_execz .LBB80_17
; %bb.16:
	v_lshlrev_b32_e32 v8, 1, v0
	global_load_ushort v8, v8, s[16:17] offset:896
.LBB80_17:
	s_or_b64 exec, exec, s[18:19]
	v_or_b32_e32 v9, 0x200, v0
	v_cmp_gt_u32_e32 vcc, s22, v9
                                        ; implicit-def: $vgpr9
	s_and_saveexec_b64 s[18:19], vcc
	s_cbranch_execz .LBB80_19
; %bb.18:
	v_lshlrev_b32_e32 v9, 1, v0
	global_load_ushort v9, v9, s[16:17] offset:1024
.LBB80_19:
	s_or_b64 exec, exec, s[18:19]
	v_or_b32_e32 v10, 0x240, v0
	v_cmp_gt_u32_e32 vcc, s22, v10
                                        ; implicit-def: $vgpr10
	s_and_saveexec_b64 s[18:19], vcc
	s_cbranch_execz .LBB80_21
; %bb.20:
	v_lshlrev_b32_e32 v10, 1, v0
	global_load_ushort v10, v10, s[16:17] offset:1152
.LBB80_21:
	s_or_b64 exec, exec, s[18:19]
	v_or_b32_e32 v11, 0x280, v0
	v_cmp_gt_u32_e32 vcc, s22, v11
                                        ; implicit-def: $vgpr11
	s_and_saveexec_b64 s[18:19], vcc
	s_cbranch_execz .LBB80_23
; %bb.22:
	v_lshlrev_b32_e32 v11, 1, v0
	global_load_ushort v11, v11, s[16:17] offset:1280
.LBB80_23:
	s_or_b64 exec, exec, s[18:19]
	v_or_b32_e32 v12, 0x2c0, v0
	v_cmp_gt_u32_e32 vcc, s22, v12
                                        ; implicit-def: $vgpr12
	s_and_saveexec_b64 s[18:19], vcc
	s_cbranch_execz .LBB80_25
; %bb.24:
	v_lshlrev_b32_e32 v12, 1, v0
	global_load_ushort v12, v12, s[16:17] offset:1408
.LBB80_25:
	s_or_b64 exec, exec, s[18:19]
	v_or_b32_e32 v13, 0x300, v0
	v_cmp_gt_u32_e32 vcc, s22, v13
                                        ; implicit-def: $vgpr13
	s_and_saveexec_b64 s[18:19], vcc
	s_cbranch_execz .LBB80_27
; %bb.26:
	v_lshlrev_b32_e32 v13, 1, v0
	global_load_ushort v13, v13, s[16:17] offset:1536
.LBB80_27:
	s_or_b64 exec, exec, s[18:19]
	v_or_b32_e32 v14, 0x340, v0
	v_cmp_gt_u32_e32 vcc, s22, v14
                                        ; implicit-def: $vgpr14
	s_and_saveexec_b64 s[18:19], vcc
	s_cbranch_execz .LBB80_29
; %bb.28:
	v_lshlrev_b32_e32 v14, 1, v0
	global_load_ushort v14, v14, s[16:17] offset:1664
.LBB80_29:
	s_or_b64 exec, exec, s[18:19]
	v_or_b32_e32 v15, 0x380, v0
	v_cmp_gt_u32_e32 vcc, s22, v15
                                        ; implicit-def: $vgpr15
	s_and_saveexec_b64 s[18:19], vcc
	s_cbranch_execz .LBB80_31
; %bb.30:
	v_lshlrev_b32_e32 v15, 1, v0
	global_load_ushort v15, v15, s[16:17] offset:1792
.LBB80_31:
	s_or_b64 exec, exec, s[18:19]
	v_or_b32_e32 v16, 0x3c0, v0
	v_cmp_gt_u32_e32 vcc, s22, v16
                                        ; implicit-def: $vgpr16
	s_and_saveexec_b64 s[18:19], vcc
	s_cbranch_execz .LBB80_33
; %bb.32:
	v_lshlrev_b32_e32 v16, 1, v0
	global_load_ushort v16, v16, s[16:17] offset:1920
.LBB80_33:
	s_or_b64 exec, exec, s[18:19]
	v_or_b32_e32 v17, 0x400, v0
	v_cmp_gt_u32_e32 vcc, s22, v17
                                        ; implicit-def: $vgpr17
	s_and_saveexec_b64 s[18:19], vcc
	s_cbranch_execz .LBB80_35
; %bb.34:
	v_lshlrev_b32_e32 v17, 1, v0
	global_load_ushort v17, v17, s[16:17] offset:2048
.LBB80_35:
	s_or_b64 exec, exec, s[18:19]
	v_lshlrev_b32_e32 v18, 1, v0
	s_mov_b64 s[16:17], 0
	s_waitcnt vmcnt(0)
	ds_write_b16 v18, v1
	ds_write_b16 v18, v2 offset:128
	ds_write_b16 v18, v3 offset:256
	;; [unrolled: 1-line block ×16, first 2 shown]
	s_waitcnt lgkmcnt(0)
	; wave barrier
.LBB80_36:
	s_and_b64 vcc, exec, s[16:17]
	v_lshlrev_b32_e32 v1, 1, v0
	s_cbranch_vccz .LBB80_38
; %bb.37:
	s_lshl_b64 s[16:17], s[4:5], 1
	s_add_u32 s16, s20, s16
	s_addc_u32 s17, s21, s17
	global_load_ushort v2, v1, s[16:17]
	global_load_ushort v3, v1, s[16:17] offset:128
	global_load_ushort v4, v1, s[16:17] offset:256
	;; [unrolled: 1-line block ×16, first 2 shown]
	s_waitcnt vmcnt(16)
	ds_write_b16 v1, v2
	s_waitcnt vmcnt(15)
	ds_write_b16 v1, v3 offset:128
	s_waitcnt vmcnt(14)
	ds_write_b16 v1, v4 offset:256
	;; [unrolled: 2-line block ×16, first 2 shown]
	s_waitcnt lgkmcnt(0)
	; wave barrier
.LBB80_38:
	v_mul_u32_u24_e32 v2, 17, v0
	v_lshlrev_b32_e32 v10, 1, v2
	s_waitcnt lgkmcnt(0)
	ds_read_b128 v[6:9], v10
	ds_read_b128 v[2:5], v10 offset:16
	ds_read_u16 v18, v10 offset:32
	s_cmp_eq_u64 s[6:7], 0
	s_waitcnt lgkmcnt(0)
	; wave barrier
	s_waitcnt lgkmcnt(0)
	s_cbranch_scc1 .LBB80_43
; %bb.39:
	s_lshl_b64 s[16:17], s[4:5], 1
	s_add_u32 s16, s20, s16
	s_addc_u32 s17, s21, s17
	v_mov_b32_e32 v10, 0
	global_load_ushort v20, v10, s[16:17] offset:-2
	s_cmp_eq_u64 s[6:7], s[8:9]
	s_cbranch_scc1 .LBB80_44
; %bb.40:
	v_cmp_ne_u32_e32 vcc, 0, v0
	s_waitcnt vmcnt(0)
	v_mov_b32_e32 v10, v20
	ds_write_b16 v1, v18
	s_waitcnt lgkmcnt(0)
	; wave barrier
	s_waitcnt lgkmcnt(0)
	s_and_saveexec_b64 s[8:9], vcc
	s_cbranch_execz .LBB80_42
; %bb.41:
	v_add_u32_e32 v10, -2, v1
	ds_read_u16 v10, v10
.LBB80_42:
	s_or_b64 exec, exec, s[8:9]
	s_waitcnt lgkmcnt(0)
	v_add_u16_e32 v19, v10, v6
	s_mov_b64 s[8:9], 0
	s_branch .LBB80_45
.LBB80_43:
                                        ; implicit-def: $vgpr10_vgpr11
                                        ; implicit-def: $vgpr12_vgpr13
                                        ; implicit-def: $vgpr14_vgpr15
                                        ; implicit-def: $vgpr16_vgpr17
                                        ; implicit-def: $vgpr19
	s_branch .LBB80_50
.LBB80_44:
	s_mov_b64 s[8:9], -1
                                        ; implicit-def: $vgpr19
.LBB80_45:
	s_and_b64 vcc, exec, s[8:9]
	v_pk_mov_b32 v[10:11], v[4:5], v[4:5] op_sel:[0,1]
	v_pk_mov_b32 v[12:13], v[2:3], v[2:3] op_sel:[0,1]
	v_pk_mov_b32 v[14:15], v[8:9], v[8:9] op_sel:[0,1]
	v_pk_mov_b32 v[16:17], v[6:7], v[6:7] op_sel:[0,1]
	s_cbranch_vccz .LBB80_49
; %bb.46:
	v_mul_u32_u24_e32 v19, 17, v0
	v_cmp_ne_u32_e32 vcc, 0, v0
	ds_write_b16 v1, v18
	s_waitcnt lgkmcnt(0)
	; wave barrier
	s_waitcnt lgkmcnt(0)
	s_and_saveexec_b64 s[8:9], vcc
	s_cbranch_execz .LBB80_48
; %bb.47:
	v_add_u32_e32 v10, -2, v1
	s_waitcnt vmcnt(0)
	ds_read_u16 v20, v10
.LBB80_48:
	s_or_b64 exec, exec, s[8:9]
	s_mul_i32 s5, s6, 0xfffffbc0
	s_add_i32 s5, s5, s14
	v_add_u32_e32 v10, 15, v19
	v_add_u32_e32 v11, 16, v19
	v_cmp_gt_u32_e32 vcc, s5, v10
	v_add_u32_e32 v12, 13, v19
	v_cndmask_b32_e32 v10, 0, v5, vcc
	v_lshrrev_b32_e32 v14, 16, v5
	v_cmp_gt_u32_e32 vcc, s5, v11
	v_add_u32_e32 v13, 14, v19
	v_cndmask_b32_e32 v11, 0, v14, vcc
	s_mov_b32 s6, 0x5040100
	v_cmp_gt_u32_e32 vcc, s5, v12
	v_perm_b32 v11, v11, v10, s6
	v_cndmask_b32_e32 v10, 0, v4, vcc
	v_lshrrev_b32_e32 v12, 16, v4
	v_cmp_gt_u32_e32 vcc, s5, v13
	v_cndmask_b32_e32 v12, 0, v12, vcc
	v_perm_b32 v10, v12, v10, s6
	v_add_u32_e32 v12, 11, v19
	v_add_u32_e32 v13, 12, v19
	v_cmp_gt_u32_e32 vcc, s5, v12
	v_add_u32_e32 v14, 9, v19
	v_cndmask_b32_e32 v12, 0, v3, vcc
	v_lshrrev_b32_e32 v16, 16, v3
	v_cmp_gt_u32_e32 vcc, s5, v13
	v_add_u32_e32 v15, 10, v19
	v_cndmask_b32_e32 v13, 0, v16, vcc
	v_cmp_gt_u32_e32 vcc, s5, v14
	v_perm_b32 v13, v13, v12, s6
	v_cndmask_b32_e32 v12, 0, v2, vcc
	v_lshrrev_b32_e32 v14, 16, v2
	v_cmp_gt_u32_e32 vcc, s5, v15
	v_cndmask_b32_e32 v14, 0, v14, vcc
	v_perm_b32 v12, v14, v12, s6
	v_add_u32_e32 v14, 7, v19
	v_add_u32_e32 v15, 8, v19
	v_cmp_gt_u32_e32 vcc, s5, v14
	v_add_u32_e32 v16, 5, v19
	v_cndmask_b32_e32 v14, 0, v9, vcc
	v_lshrrev_b32_e32 v21, 16, v9
	v_cmp_gt_u32_e32 vcc, s5, v15
	v_add_u32_e32 v17, 6, v19
	v_cndmask_b32_e32 v15, 0, v21, vcc
	;; [unrolled: 16-line block ×3, first 2 shown]
	v_cmp_gt_u32_e32 vcc, s5, v21
	v_perm_b32 v17, v17, v16, s6
	v_cndmask_b32_e32 v16, 0, v6, vcc
	v_lshrrev_b32_e32 v21, 16, v6
	v_cmp_gt_u32_e32 vcc, s5, v22
	v_cndmask_b32_e32 v21, 0, v21, vcc
	v_cmp_gt_u32_e32 vcc, s5, v19
	s_waitcnt vmcnt(0) lgkmcnt(0)
	v_cndmask_b32_e32 v19, 0, v20, vcc
	v_perm_b32 v16, v21, v16, s6
	v_add_u16_e32 v19, v19, v6
.LBB80_49:
	s_cbranch_execnz .LBB80_59
.LBB80_50:
	s_cmp_eq_u64 s[2:3], 1
	v_cmp_ne_u32_e32 vcc, 0, v0
	s_cbranch_scc1 .LBB80_54
; %bb.51:
	v_mov_b32_e32 v19, v6
	ds_write_b16 v1, v18
	s_waitcnt lgkmcnt(0)
	; wave barrier
	s_waitcnt lgkmcnt(0)
	s_and_saveexec_b64 s[2:3], vcc
	s_cbranch_execz .LBB80_53
; %bb.52:
	v_add_u32_e32 v10, -2, v1
	ds_read_u16 v10, v10
	s_waitcnt lgkmcnt(0)
	v_add_u16_e32 v19, v10, v6
.LBB80_53:
	s_or_b64 exec, exec, s[2:3]
	s_mov_b64 s[2:3], 0
	s_branch .LBB80_55
.LBB80_54:
	s_mov_b64 s[2:3], -1
                                        ; implicit-def: $vgpr19
.LBB80_55:
	s_andn2_b64 vcc, exec, s[2:3]
	v_pk_mov_b32 v[10:11], v[4:5], v[4:5] op_sel:[0,1]
	v_pk_mov_b32 v[12:13], v[2:3], v[2:3] op_sel:[0,1]
	;; [unrolled: 1-line block ×4, first 2 shown]
	s_cbranch_vccnz .LBB80_59
; %bb.56:
	v_mad_u32_u24 v10, v0, 17, 15
	v_mad_u32_u24 v11, v0, 17, 16
	v_cmp_gt_u32_e32 vcc, s14, v10
	v_mad_u32_u24 v12, v0, 17, 13
	v_cndmask_b32_e32 v10, 0, v5, vcc
	v_lshrrev_b32_e32 v14, 16, v5
	v_cmp_gt_u32_e32 vcc, s14, v11
	v_mad_u32_u24 v13, v0, 17, 14
	v_cndmask_b32_e32 v11, 0, v14, vcc
	s_mov_b32 s2, 0x5040100
	v_cmp_gt_u32_e32 vcc, s14, v12
	v_perm_b32 v11, v11, v10, s2
	v_cndmask_b32_e32 v10, 0, v4, vcc
	v_lshrrev_b32_e32 v12, 16, v4
	v_cmp_gt_u32_e32 vcc, s14, v13
	v_cndmask_b32_e32 v12, 0, v12, vcc
	v_perm_b32 v10, v12, v10, s2
	v_mad_u32_u24 v12, v0, 17, 11
	v_mad_u32_u24 v13, v0, 17, 12
	v_cmp_gt_u32_e32 vcc, s14, v12
	v_mad_u32_u24 v14, v0, 17, 9
	v_cndmask_b32_e32 v12, 0, v3, vcc
	v_lshrrev_b32_e32 v16, 16, v3
	v_cmp_gt_u32_e32 vcc, s14, v13
	v_mad_u32_u24 v15, v0, 17, 10
	v_cndmask_b32_e32 v13, 0, v16, vcc
	v_cmp_gt_u32_e32 vcc, s14, v14
	v_perm_b32 v13, v13, v12, s2
	v_cndmask_b32_e32 v12, 0, v2, vcc
	v_lshrrev_b32_e32 v14, 16, v2
	v_cmp_gt_u32_e32 vcc, s14, v15
	v_cndmask_b32_e32 v14, 0, v14, vcc
	v_perm_b32 v12, v14, v12, s2
	v_mad_u32_u24 v14, v0, 17, 7
	v_mad_u32_u24 v15, v0, 17, 8
	v_cmp_gt_u32_e32 vcc, s14, v14
	v_mad_u32_u24 v16, v0, 17, 5
	v_cndmask_b32_e32 v14, 0, v9, vcc
	s_waitcnt vmcnt(0)
	v_lshrrev_b32_e32 v20, 16, v9
	v_cmp_gt_u32_e32 vcc, s14, v15
	v_mad_u32_u24 v17, v0, 17, 6
	v_cndmask_b32_e32 v15, 0, v20, vcc
	v_cmp_gt_u32_e32 vcc, s14, v16
	v_perm_b32 v15, v15, v14, s2
	v_cndmask_b32_e32 v14, 0, v8, vcc
	v_lshrrev_b32_e32 v16, 16, v8
	v_cmp_gt_u32_e32 vcc, s14, v17
	v_cndmask_b32_e32 v16, 0, v16, vcc
	v_perm_b32 v14, v16, v14, s2
	v_mad_u32_u24 v16, v0, 17, 3
	v_mad_u32_u24 v17, v0, 17, 4
	v_cmp_gt_u32_e32 vcc, s14, v16
	v_mad_u32_u24 v20, v0, 17, 1
	v_cndmask_b32_e32 v16, 0, v7, vcc
	v_lshrrev_b32_e32 v22, 16, v7
	v_cmp_gt_u32_e32 vcc, s14, v17
	v_mad_u32_u24 v21, v0, 17, 2
	v_cndmask_b32_e32 v17, 0, v22, vcc
	v_cmp_gt_u32_e32 vcc, s14, v20
	v_perm_b32 v17, v17, v16, s2
	v_cndmask_b32_e32 v16, 0, v6, vcc
	v_lshrrev_b32_e32 v20, 16, v6
	v_cmp_gt_u32_e32 vcc, s14, v21
	v_mul_u32_u24_e32 v19, 17, v0
	v_cndmask_b32_e32 v20, 0, v20, vcc
	v_perm_b32 v16, v20, v16, s2
	v_cmp_ne_u32_e32 vcc, 0, v0
	v_cmp_gt_u32_e64 s[2:3], s14, v19
	s_and_b64 s[6:7], vcc, s[2:3]
	v_mov_b32_e32 v19, v6
	ds_write_b16 v1, v18
	s_waitcnt lgkmcnt(0)
	; wave barrier
	s_waitcnt lgkmcnt(0)
	s_and_saveexec_b64 s[2:3], s[6:7]
	s_cbranch_execz .LBB80_58
; %bb.57:
	v_add_u32_e32 v19, -2, v1
	ds_read_u16 v19, v19
	s_waitcnt lgkmcnt(0)
	v_add_u16_e32 v19, v19, v6
.LBB80_58:
	s_or_b64 exec, exec, s[2:3]
.LBB80_59:
	s_add_u32 s6, s12, s10
	v_alignbit_b32 v6, v7, v6, 16
	v_alignbit_b32 v7, v8, v7, 16
	;; [unrolled: 1-line block ×8, first 2 shown]
	s_addc_u32 s7, s13, s11
	v_pk_add_u16 v7, v17, v7
	v_pk_add_u16 v6, v16, v6
	;; [unrolled: 1-line block ×8, first 2 shown]
	s_and_b64 vcc, exec, s[0:1]
	v_mul_u32_u24_e32 v12, 34, v0
	v_lshlrev_b32_e32 v13, 5, v0
	s_waitcnt lgkmcnt(0)
	; wave barrier
	s_cbranch_vccz .LBB80_93
; %bb.60:
	v_sub_u32_e32 v10, v12, v13
	ds_write_b16 v12, v19
	ds_write_b128 v12, v[6:9] offset:2
	ds_write_b128 v12, v[2:5] offset:18
	s_waitcnt lgkmcnt(0)
	; wave barrier
	s_waitcnt lgkmcnt(0)
	ds_read_u16 v30, v10 offset:128
	ds_read_u16 v29, v10 offset:256
	ds_read_u16 v28, v10 offset:384
	ds_read_u16 v27, v10 offset:512
	ds_read_u16 v26, v10 offset:640
	ds_read_u16 v25, v10 offset:768
	ds_read_u16 v24, v10 offset:896
	ds_read_u16 v23, v10 offset:1024
	ds_read_u16 v22, v10 offset:1152
	ds_read_u16 v21, v10 offset:1280
	s_waitcnt vmcnt(0)
	ds_read_u16 v20, v10 offset:1408
	ds_read_u16 v18, v10 offset:1536
	;; [unrolled: 1-line block ×6, first 2 shown]
	s_mov_b32 s5, 0
	s_add_i32 s15, s15, s14
	s_lshl_b64 s[0:1], s[4:5], 1
	s_add_u32 s0, s6, s0
	s_addc_u32 s1, s7, s1
	v_mov_b32_e32 v11, s1
	v_add_co_u32_e32 v10, vcc, s0, v1
	v_addc_co_u32_e32 v11, vcc, 0, v11, vcc
	v_cmp_gt_u32_e32 vcc, s15, v0
	s_and_saveexec_b64 s[0:1], vcc
	s_cbranch_execz .LBB80_62
; %bb.61:
	v_sub_u32_e32 v31, 0, v13
	v_add_u32_e32 v31, v12, v31
	ds_read_u16 v31, v31
	s_waitcnt lgkmcnt(0)
	global_store_short v[10:11], v31, off
.LBB80_62:
	s_or_b64 exec, exec, s[0:1]
	v_or_b32_e32 v31, 64, v0
	v_cmp_gt_u32_e32 vcc, s15, v31
	s_and_saveexec_b64 s[0:1], vcc
	s_cbranch_execz .LBB80_64
; %bb.63:
	s_waitcnt lgkmcnt(14)
	global_store_short v[10:11], v30, off offset:128
.LBB80_64:
	s_or_b64 exec, exec, s[0:1]
	s_waitcnt lgkmcnt(14)
	v_or_b32_e32 v30, 0x80, v0
	v_cmp_gt_u32_e32 vcc, s15, v30
	s_and_saveexec_b64 s[0:1], vcc
	s_cbranch_execz .LBB80_66
; %bb.65:
	global_store_short v[10:11], v29, off offset:256
.LBB80_66:
	s_or_b64 exec, exec, s[0:1]
	v_or_b32_e32 v29, 0xc0, v0
	v_cmp_gt_u32_e32 vcc, s15, v29
	s_and_saveexec_b64 s[0:1], vcc
	s_cbranch_execz .LBB80_68
; %bb.67:
	s_waitcnt lgkmcnt(13)
	global_store_short v[10:11], v28, off offset:384
.LBB80_68:
	s_or_b64 exec, exec, s[0:1]
	s_waitcnt lgkmcnt(13)
	v_or_b32_e32 v28, 0x100, v0
	v_cmp_gt_u32_e32 vcc, s15, v28
	s_and_saveexec_b64 s[0:1], vcc
	s_cbranch_execz .LBB80_70
; %bb.69:
	s_waitcnt lgkmcnt(12)
	global_store_short v[10:11], v27, off offset:512
.LBB80_70:
	s_or_b64 exec, exec, s[0:1]
	s_waitcnt lgkmcnt(12)
	;; [unrolled: 10-line block ×12, first 2 shown]
	v_or_b32_e32 v16, 0x3c0, v0
	v_cmp_gt_u32_e32 vcc, s15, v16
	s_and_saveexec_b64 s[0:1], vcc
	s_cbranch_execz .LBB80_92
; %bb.91:
	s_waitcnt lgkmcnt(1)
	global_store_short v[10:11], v15, off offset:1920
.LBB80_92:
	s_or_b64 exec, exec, s[0:1]
	v_or_b32_e32 v0, 0x400, v0
	v_cmp_gt_u32_e64 s[0:1], s15, v0
	s_branch .LBB80_95
.LBB80_93:
	s_mov_b64 s[0:1], 0
                                        ; implicit-def: $vgpr14
                                        ; implicit-def: $vgpr10_vgpr11
	s_cbranch_execz .LBB80_95
; %bb.94:
	s_mov_b32 s5, 0
	s_lshl_b64 s[2:3], s[4:5], 1
	v_sub_u32_e32 v0, v12, v13
	s_add_u32 s2, s6, s2
	ds_write_b16 v12, v19
	ds_write_b128 v12, v[6:9] offset:2
	ds_write_b128 v12, v[2:5] offset:18
	s_waitcnt lgkmcnt(0)
	; wave barrier
	s_waitcnt lgkmcnt(0)
	ds_read_u16 v2, v0
	ds_read_u16 v3, v0 offset:128
	ds_read_u16 v4, v0 offset:256
	ds_read_u16 v5, v0 offset:384
	ds_read_u16 v6, v0 offset:512
	ds_read_u16 v7, v0 offset:640
	ds_read_u16 v8, v0 offset:768
	ds_read_u16 v9, v0 offset:896
	ds_read_u16 v12, v0 offset:1024
	ds_read_u16 v13, v0 offset:1152
	ds_read_u16 v15, v0 offset:1280
	ds_read_u16 v16, v0 offset:1408
	ds_read_u16 v17, v0 offset:1536
	ds_read_u16 v18, v0 offset:1664
	ds_read_u16 v19, v0 offset:1792
	s_waitcnt vmcnt(0)
	ds_read_u16 v20, v0 offset:1920
	ds_read_u16 v14, v0 offset:2048
	s_addc_u32 s3, s7, s3
	v_mov_b32_e32 v0, s3
	v_add_co_u32_e32 v10, vcc, s2, v1
	v_addc_co_u32_e32 v11, vcc, 0, v0, vcc
	s_or_b64 s[0:1], s[0:1], exec
	s_waitcnt lgkmcnt(14)
	global_store_short v1, v2, s[2:3]
	global_store_short v1, v3, s[2:3] offset:128
	global_store_short v1, v4, s[2:3] offset:256
	s_waitcnt lgkmcnt(13)
	global_store_short v1, v5, s[2:3] offset:384
	s_waitcnt lgkmcnt(12)
	;; [unrolled: 2-line block ×13, first 2 shown]
	global_store_short v1, v20, s[2:3] offset:1920
.LBB80_95:
	s_and_saveexec_b64 s[2:3], s[0:1]
	s_cbranch_execnz .LBB80_97
; %bb.96:
	s_endpgm
.LBB80_97:
	s_waitcnt lgkmcnt(0)
	global_store_short v[10:11], v14, off offset:2048
	s_endpgm
	.section	.rodata,"a",@progbits
	.p2align	6, 0x0
	.amdhsa_kernel _ZN7rocprim17ROCPRIM_400000_NS6detail17trampoline_kernelINS0_14default_configENS1_35adjacent_difference_config_selectorILb0EsEEZNS1_24adjacent_difference_implIS3_Lb0ELb0EPsS7_N6thrust23THRUST_200600_302600_NS4plusIsEEEE10hipError_tPvRmT2_T3_mT4_P12ihipStream_tbEUlT_E_NS1_11comp_targetILNS1_3genE4ELNS1_11target_archE910ELNS1_3gpuE8ELNS1_3repE0EEENS1_30default_config_static_selectorELNS0_4arch9wavefront6targetE1EEEvT1_
		.amdhsa_group_segment_fixed_size 2176
		.amdhsa_private_segment_fixed_size 0
		.amdhsa_kernarg_size 56
		.amdhsa_user_sgpr_count 6
		.amdhsa_user_sgpr_private_segment_buffer 1
		.amdhsa_user_sgpr_dispatch_ptr 0
		.amdhsa_user_sgpr_queue_ptr 0
		.amdhsa_user_sgpr_kernarg_segment_ptr 1
		.amdhsa_user_sgpr_dispatch_id 0
		.amdhsa_user_sgpr_flat_scratch_init 0
		.amdhsa_user_sgpr_kernarg_preload_length 0
		.amdhsa_user_sgpr_kernarg_preload_offset 0
		.amdhsa_user_sgpr_private_segment_size 0
		.amdhsa_uses_dynamic_stack 0
		.amdhsa_system_sgpr_private_segment_wavefront_offset 0
		.amdhsa_system_sgpr_workgroup_id_x 1
		.amdhsa_system_sgpr_workgroup_id_y 0
		.amdhsa_system_sgpr_workgroup_id_z 0
		.amdhsa_system_sgpr_workgroup_info 0
		.amdhsa_system_vgpr_workitem_id 0
		.amdhsa_next_free_vgpr 32
		.amdhsa_next_free_sgpr 23
		.amdhsa_accum_offset 32
		.amdhsa_reserve_vcc 1
		.amdhsa_reserve_flat_scratch 0
		.amdhsa_float_round_mode_32 0
		.amdhsa_float_round_mode_16_64 0
		.amdhsa_float_denorm_mode_32 3
		.amdhsa_float_denorm_mode_16_64 3
		.amdhsa_dx10_clamp 1
		.amdhsa_ieee_mode 1
		.amdhsa_fp16_overflow 0
		.amdhsa_tg_split 0
		.amdhsa_exception_fp_ieee_invalid_op 0
		.amdhsa_exception_fp_denorm_src 0
		.amdhsa_exception_fp_ieee_div_zero 0
		.amdhsa_exception_fp_ieee_overflow 0
		.amdhsa_exception_fp_ieee_underflow 0
		.amdhsa_exception_fp_ieee_inexact 0
		.amdhsa_exception_int_div_zero 0
	.end_amdhsa_kernel
	.section	.text._ZN7rocprim17ROCPRIM_400000_NS6detail17trampoline_kernelINS0_14default_configENS1_35adjacent_difference_config_selectorILb0EsEEZNS1_24adjacent_difference_implIS3_Lb0ELb0EPsS7_N6thrust23THRUST_200600_302600_NS4plusIsEEEE10hipError_tPvRmT2_T3_mT4_P12ihipStream_tbEUlT_E_NS1_11comp_targetILNS1_3genE4ELNS1_11target_archE910ELNS1_3gpuE8ELNS1_3repE0EEENS1_30default_config_static_selectorELNS0_4arch9wavefront6targetE1EEEvT1_,"axG",@progbits,_ZN7rocprim17ROCPRIM_400000_NS6detail17trampoline_kernelINS0_14default_configENS1_35adjacent_difference_config_selectorILb0EsEEZNS1_24adjacent_difference_implIS3_Lb0ELb0EPsS7_N6thrust23THRUST_200600_302600_NS4plusIsEEEE10hipError_tPvRmT2_T3_mT4_P12ihipStream_tbEUlT_E_NS1_11comp_targetILNS1_3genE4ELNS1_11target_archE910ELNS1_3gpuE8ELNS1_3repE0EEENS1_30default_config_static_selectorELNS0_4arch9wavefront6targetE1EEEvT1_,comdat
.Lfunc_end80:
	.size	_ZN7rocprim17ROCPRIM_400000_NS6detail17trampoline_kernelINS0_14default_configENS1_35adjacent_difference_config_selectorILb0EsEEZNS1_24adjacent_difference_implIS3_Lb0ELb0EPsS7_N6thrust23THRUST_200600_302600_NS4plusIsEEEE10hipError_tPvRmT2_T3_mT4_P12ihipStream_tbEUlT_E_NS1_11comp_targetILNS1_3genE4ELNS1_11target_archE910ELNS1_3gpuE8ELNS1_3repE0EEENS1_30default_config_static_selectorELNS0_4arch9wavefront6targetE1EEEvT1_, .Lfunc_end80-_ZN7rocprim17ROCPRIM_400000_NS6detail17trampoline_kernelINS0_14default_configENS1_35adjacent_difference_config_selectorILb0EsEEZNS1_24adjacent_difference_implIS3_Lb0ELb0EPsS7_N6thrust23THRUST_200600_302600_NS4plusIsEEEE10hipError_tPvRmT2_T3_mT4_P12ihipStream_tbEUlT_E_NS1_11comp_targetILNS1_3genE4ELNS1_11target_archE910ELNS1_3gpuE8ELNS1_3repE0EEENS1_30default_config_static_selectorELNS0_4arch9wavefront6targetE1EEEvT1_
                                        ; -- End function
	.section	.AMDGPU.csdata,"",@progbits
; Kernel info:
; codeLenInByte = 4204
; NumSgprs: 27
; NumVgprs: 32
; NumAgprs: 0
; TotalNumVgprs: 32
; ScratchSize: 0
; MemoryBound: 0
; FloatMode: 240
; IeeeMode: 1
; LDSByteSize: 2176 bytes/workgroup (compile time only)
; SGPRBlocks: 3
; VGPRBlocks: 3
; NumSGPRsForWavesPerEU: 27
; NumVGPRsForWavesPerEU: 32
; AccumOffset: 32
; Occupancy: 8
; WaveLimiterHint : 1
; COMPUTE_PGM_RSRC2:SCRATCH_EN: 0
; COMPUTE_PGM_RSRC2:USER_SGPR: 6
; COMPUTE_PGM_RSRC2:TRAP_HANDLER: 0
; COMPUTE_PGM_RSRC2:TGID_X_EN: 1
; COMPUTE_PGM_RSRC2:TGID_Y_EN: 0
; COMPUTE_PGM_RSRC2:TGID_Z_EN: 0
; COMPUTE_PGM_RSRC2:TIDIG_COMP_CNT: 0
; COMPUTE_PGM_RSRC3_GFX90A:ACCUM_OFFSET: 7
; COMPUTE_PGM_RSRC3_GFX90A:TG_SPLIT: 0
	.section	.text._ZN7rocprim17ROCPRIM_400000_NS6detail17trampoline_kernelINS0_14default_configENS1_35adjacent_difference_config_selectorILb0EsEEZNS1_24adjacent_difference_implIS3_Lb0ELb0EPsS7_N6thrust23THRUST_200600_302600_NS4plusIsEEEE10hipError_tPvRmT2_T3_mT4_P12ihipStream_tbEUlT_E_NS1_11comp_targetILNS1_3genE3ELNS1_11target_archE908ELNS1_3gpuE7ELNS1_3repE0EEENS1_30default_config_static_selectorELNS0_4arch9wavefront6targetE1EEEvT1_,"axG",@progbits,_ZN7rocprim17ROCPRIM_400000_NS6detail17trampoline_kernelINS0_14default_configENS1_35adjacent_difference_config_selectorILb0EsEEZNS1_24adjacent_difference_implIS3_Lb0ELb0EPsS7_N6thrust23THRUST_200600_302600_NS4plusIsEEEE10hipError_tPvRmT2_T3_mT4_P12ihipStream_tbEUlT_E_NS1_11comp_targetILNS1_3genE3ELNS1_11target_archE908ELNS1_3gpuE7ELNS1_3repE0EEENS1_30default_config_static_selectorELNS0_4arch9wavefront6targetE1EEEvT1_,comdat
	.protected	_ZN7rocprim17ROCPRIM_400000_NS6detail17trampoline_kernelINS0_14default_configENS1_35adjacent_difference_config_selectorILb0EsEEZNS1_24adjacent_difference_implIS3_Lb0ELb0EPsS7_N6thrust23THRUST_200600_302600_NS4plusIsEEEE10hipError_tPvRmT2_T3_mT4_P12ihipStream_tbEUlT_E_NS1_11comp_targetILNS1_3genE3ELNS1_11target_archE908ELNS1_3gpuE7ELNS1_3repE0EEENS1_30default_config_static_selectorELNS0_4arch9wavefront6targetE1EEEvT1_ ; -- Begin function _ZN7rocprim17ROCPRIM_400000_NS6detail17trampoline_kernelINS0_14default_configENS1_35adjacent_difference_config_selectorILb0EsEEZNS1_24adjacent_difference_implIS3_Lb0ELb0EPsS7_N6thrust23THRUST_200600_302600_NS4plusIsEEEE10hipError_tPvRmT2_T3_mT4_P12ihipStream_tbEUlT_E_NS1_11comp_targetILNS1_3genE3ELNS1_11target_archE908ELNS1_3gpuE7ELNS1_3repE0EEENS1_30default_config_static_selectorELNS0_4arch9wavefront6targetE1EEEvT1_
	.globl	_ZN7rocprim17ROCPRIM_400000_NS6detail17trampoline_kernelINS0_14default_configENS1_35adjacent_difference_config_selectorILb0EsEEZNS1_24adjacent_difference_implIS3_Lb0ELb0EPsS7_N6thrust23THRUST_200600_302600_NS4plusIsEEEE10hipError_tPvRmT2_T3_mT4_P12ihipStream_tbEUlT_E_NS1_11comp_targetILNS1_3genE3ELNS1_11target_archE908ELNS1_3gpuE7ELNS1_3repE0EEENS1_30default_config_static_selectorELNS0_4arch9wavefront6targetE1EEEvT1_
	.p2align	8
	.type	_ZN7rocprim17ROCPRIM_400000_NS6detail17trampoline_kernelINS0_14default_configENS1_35adjacent_difference_config_selectorILb0EsEEZNS1_24adjacent_difference_implIS3_Lb0ELb0EPsS7_N6thrust23THRUST_200600_302600_NS4plusIsEEEE10hipError_tPvRmT2_T3_mT4_P12ihipStream_tbEUlT_E_NS1_11comp_targetILNS1_3genE3ELNS1_11target_archE908ELNS1_3gpuE7ELNS1_3repE0EEENS1_30default_config_static_selectorELNS0_4arch9wavefront6targetE1EEEvT1_,@function
_ZN7rocprim17ROCPRIM_400000_NS6detail17trampoline_kernelINS0_14default_configENS1_35adjacent_difference_config_selectorILb0EsEEZNS1_24adjacent_difference_implIS3_Lb0ELb0EPsS7_N6thrust23THRUST_200600_302600_NS4plusIsEEEE10hipError_tPvRmT2_T3_mT4_P12ihipStream_tbEUlT_E_NS1_11comp_targetILNS1_3genE3ELNS1_11target_archE908ELNS1_3gpuE7ELNS1_3repE0EEENS1_30default_config_static_selectorELNS0_4arch9wavefront6targetE1EEEvT1_: ; @_ZN7rocprim17ROCPRIM_400000_NS6detail17trampoline_kernelINS0_14default_configENS1_35adjacent_difference_config_selectorILb0EsEEZNS1_24adjacent_difference_implIS3_Lb0ELb0EPsS7_N6thrust23THRUST_200600_302600_NS4plusIsEEEE10hipError_tPvRmT2_T3_mT4_P12ihipStream_tbEUlT_E_NS1_11comp_targetILNS1_3genE3ELNS1_11target_archE908ELNS1_3gpuE7ELNS1_3repE0EEENS1_30default_config_static_selectorELNS0_4arch9wavefront6targetE1EEEvT1_
; %bb.0:
	.section	.rodata,"a",@progbits
	.p2align	6, 0x0
	.amdhsa_kernel _ZN7rocprim17ROCPRIM_400000_NS6detail17trampoline_kernelINS0_14default_configENS1_35adjacent_difference_config_selectorILb0EsEEZNS1_24adjacent_difference_implIS3_Lb0ELb0EPsS7_N6thrust23THRUST_200600_302600_NS4plusIsEEEE10hipError_tPvRmT2_T3_mT4_P12ihipStream_tbEUlT_E_NS1_11comp_targetILNS1_3genE3ELNS1_11target_archE908ELNS1_3gpuE7ELNS1_3repE0EEENS1_30default_config_static_selectorELNS0_4arch9wavefront6targetE1EEEvT1_
		.amdhsa_group_segment_fixed_size 0
		.amdhsa_private_segment_fixed_size 0
		.amdhsa_kernarg_size 56
		.amdhsa_user_sgpr_count 6
		.amdhsa_user_sgpr_private_segment_buffer 1
		.amdhsa_user_sgpr_dispatch_ptr 0
		.amdhsa_user_sgpr_queue_ptr 0
		.amdhsa_user_sgpr_kernarg_segment_ptr 1
		.amdhsa_user_sgpr_dispatch_id 0
		.amdhsa_user_sgpr_flat_scratch_init 0
		.amdhsa_user_sgpr_kernarg_preload_length 0
		.amdhsa_user_sgpr_kernarg_preload_offset 0
		.amdhsa_user_sgpr_private_segment_size 0
		.amdhsa_uses_dynamic_stack 0
		.amdhsa_system_sgpr_private_segment_wavefront_offset 0
		.amdhsa_system_sgpr_workgroup_id_x 1
		.amdhsa_system_sgpr_workgroup_id_y 0
		.amdhsa_system_sgpr_workgroup_id_z 0
		.amdhsa_system_sgpr_workgroup_info 0
		.amdhsa_system_vgpr_workitem_id 0
		.amdhsa_next_free_vgpr 1
		.amdhsa_next_free_sgpr 0
		.amdhsa_accum_offset 4
		.amdhsa_reserve_vcc 0
		.amdhsa_reserve_flat_scratch 0
		.amdhsa_float_round_mode_32 0
		.amdhsa_float_round_mode_16_64 0
		.amdhsa_float_denorm_mode_32 3
		.amdhsa_float_denorm_mode_16_64 3
		.amdhsa_dx10_clamp 1
		.amdhsa_ieee_mode 1
		.amdhsa_fp16_overflow 0
		.amdhsa_tg_split 0
		.amdhsa_exception_fp_ieee_invalid_op 0
		.amdhsa_exception_fp_denorm_src 0
		.amdhsa_exception_fp_ieee_div_zero 0
		.amdhsa_exception_fp_ieee_overflow 0
		.amdhsa_exception_fp_ieee_underflow 0
		.amdhsa_exception_fp_ieee_inexact 0
		.amdhsa_exception_int_div_zero 0
	.end_amdhsa_kernel
	.section	.text._ZN7rocprim17ROCPRIM_400000_NS6detail17trampoline_kernelINS0_14default_configENS1_35adjacent_difference_config_selectorILb0EsEEZNS1_24adjacent_difference_implIS3_Lb0ELb0EPsS7_N6thrust23THRUST_200600_302600_NS4plusIsEEEE10hipError_tPvRmT2_T3_mT4_P12ihipStream_tbEUlT_E_NS1_11comp_targetILNS1_3genE3ELNS1_11target_archE908ELNS1_3gpuE7ELNS1_3repE0EEENS1_30default_config_static_selectorELNS0_4arch9wavefront6targetE1EEEvT1_,"axG",@progbits,_ZN7rocprim17ROCPRIM_400000_NS6detail17trampoline_kernelINS0_14default_configENS1_35adjacent_difference_config_selectorILb0EsEEZNS1_24adjacent_difference_implIS3_Lb0ELb0EPsS7_N6thrust23THRUST_200600_302600_NS4plusIsEEEE10hipError_tPvRmT2_T3_mT4_P12ihipStream_tbEUlT_E_NS1_11comp_targetILNS1_3genE3ELNS1_11target_archE908ELNS1_3gpuE7ELNS1_3repE0EEENS1_30default_config_static_selectorELNS0_4arch9wavefront6targetE1EEEvT1_,comdat
.Lfunc_end81:
	.size	_ZN7rocprim17ROCPRIM_400000_NS6detail17trampoline_kernelINS0_14default_configENS1_35adjacent_difference_config_selectorILb0EsEEZNS1_24adjacent_difference_implIS3_Lb0ELb0EPsS7_N6thrust23THRUST_200600_302600_NS4plusIsEEEE10hipError_tPvRmT2_T3_mT4_P12ihipStream_tbEUlT_E_NS1_11comp_targetILNS1_3genE3ELNS1_11target_archE908ELNS1_3gpuE7ELNS1_3repE0EEENS1_30default_config_static_selectorELNS0_4arch9wavefront6targetE1EEEvT1_, .Lfunc_end81-_ZN7rocprim17ROCPRIM_400000_NS6detail17trampoline_kernelINS0_14default_configENS1_35adjacent_difference_config_selectorILb0EsEEZNS1_24adjacent_difference_implIS3_Lb0ELb0EPsS7_N6thrust23THRUST_200600_302600_NS4plusIsEEEE10hipError_tPvRmT2_T3_mT4_P12ihipStream_tbEUlT_E_NS1_11comp_targetILNS1_3genE3ELNS1_11target_archE908ELNS1_3gpuE7ELNS1_3repE0EEENS1_30default_config_static_selectorELNS0_4arch9wavefront6targetE1EEEvT1_
                                        ; -- End function
	.section	.AMDGPU.csdata,"",@progbits
; Kernel info:
; codeLenInByte = 0
; NumSgprs: 4
; NumVgprs: 0
; NumAgprs: 0
; TotalNumVgprs: 0
; ScratchSize: 0
; MemoryBound: 0
; FloatMode: 240
; IeeeMode: 1
; LDSByteSize: 0 bytes/workgroup (compile time only)
; SGPRBlocks: 0
; VGPRBlocks: 0
; NumSGPRsForWavesPerEU: 4
; NumVGPRsForWavesPerEU: 1
; AccumOffset: 4
; Occupancy: 8
; WaveLimiterHint : 0
; COMPUTE_PGM_RSRC2:SCRATCH_EN: 0
; COMPUTE_PGM_RSRC2:USER_SGPR: 6
; COMPUTE_PGM_RSRC2:TRAP_HANDLER: 0
; COMPUTE_PGM_RSRC2:TGID_X_EN: 1
; COMPUTE_PGM_RSRC2:TGID_Y_EN: 0
; COMPUTE_PGM_RSRC2:TGID_Z_EN: 0
; COMPUTE_PGM_RSRC2:TIDIG_COMP_CNT: 0
; COMPUTE_PGM_RSRC3_GFX90A:ACCUM_OFFSET: 0
; COMPUTE_PGM_RSRC3_GFX90A:TG_SPLIT: 0
	.section	.text._ZN7rocprim17ROCPRIM_400000_NS6detail17trampoline_kernelINS0_14default_configENS1_35adjacent_difference_config_selectorILb0EsEEZNS1_24adjacent_difference_implIS3_Lb0ELb0EPsS7_N6thrust23THRUST_200600_302600_NS4plusIsEEEE10hipError_tPvRmT2_T3_mT4_P12ihipStream_tbEUlT_E_NS1_11comp_targetILNS1_3genE2ELNS1_11target_archE906ELNS1_3gpuE6ELNS1_3repE0EEENS1_30default_config_static_selectorELNS0_4arch9wavefront6targetE1EEEvT1_,"axG",@progbits,_ZN7rocprim17ROCPRIM_400000_NS6detail17trampoline_kernelINS0_14default_configENS1_35adjacent_difference_config_selectorILb0EsEEZNS1_24adjacent_difference_implIS3_Lb0ELb0EPsS7_N6thrust23THRUST_200600_302600_NS4plusIsEEEE10hipError_tPvRmT2_T3_mT4_P12ihipStream_tbEUlT_E_NS1_11comp_targetILNS1_3genE2ELNS1_11target_archE906ELNS1_3gpuE6ELNS1_3repE0EEENS1_30default_config_static_selectorELNS0_4arch9wavefront6targetE1EEEvT1_,comdat
	.protected	_ZN7rocprim17ROCPRIM_400000_NS6detail17trampoline_kernelINS0_14default_configENS1_35adjacent_difference_config_selectorILb0EsEEZNS1_24adjacent_difference_implIS3_Lb0ELb0EPsS7_N6thrust23THRUST_200600_302600_NS4plusIsEEEE10hipError_tPvRmT2_T3_mT4_P12ihipStream_tbEUlT_E_NS1_11comp_targetILNS1_3genE2ELNS1_11target_archE906ELNS1_3gpuE6ELNS1_3repE0EEENS1_30default_config_static_selectorELNS0_4arch9wavefront6targetE1EEEvT1_ ; -- Begin function _ZN7rocprim17ROCPRIM_400000_NS6detail17trampoline_kernelINS0_14default_configENS1_35adjacent_difference_config_selectorILb0EsEEZNS1_24adjacent_difference_implIS3_Lb0ELb0EPsS7_N6thrust23THRUST_200600_302600_NS4plusIsEEEE10hipError_tPvRmT2_T3_mT4_P12ihipStream_tbEUlT_E_NS1_11comp_targetILNS1_3genE2ELNS1_11target_archE906ELNS1_3gpuE6ELNS1_3repE0EEENS1_30default_config_static_selectorELNS0_4arch9wavefront6targetE1EEEvT1_
	.globl	_ZN7rocprim17ROCPRIM_400000_NS6detail17trampoline_kernelINS0_14default_configENS1_35adjacent_difference_config_selectorILb0EsEEZNS1_24adjacent_difference_implIS3_Lb0ELb0EPsS7_N6thrust23THRUST_200600_302600_NS4plusIsEEEE10hipError_tPvRmT2_T3_mT4_P12ihipStream_tbEUlT_E_NS1_11comp_targetILNS1_3genE2ELNS1_11target_archE906ELNS1_3gpuE6ELNS1_3repE0EEENS1_30default_config_static_selectorELNS0_4arch9wavefront6targetE1EEEvT1_
	.p2align	8
	.type	_ZN7rocprim17ROCPRIM_400000_NS6detail17trampoline_kernelINS0_14default_configENS1_35adjacent_difference_config_selectorILb0EsEEZNS1_24adjacent_difference_implIS3_Lb0ELb0EPsS7_N6thrust23THRUST_200600_302600_NS4plusIsEEEE10hipError_tPvRmT2_T3_mT4_P12ihipStream_tbEUlT_E_NS1_11comp_targetILNS1_3genE2ELNS1_11target_archE906ELNS1_3gpuE6ELNS1_3repE0EEENS1_30default_config_static_selectorELNS0_4arch9wavefront6targetE1EEEvT1_,@function
_ZN7rocprim17ROCPRIM_400000_NS6detail17trampoline_kernelINS0_14default_configENS1_35adjacent_difference_config_selectorILb0EsEEZNS1_24adjacent_difference_implIS3_Lb0ELb0EPsS7_N6thrust23THRUST_200600_302600_NS4plusIsEEEE10hipError_tPvRmT2_T3_mT4_P12ihipStream_tbEUlT_E_NS1_11comp_targetILNS1_3genE2ELNS1_11target_archE906ELNS1_3gpuE6ELNS1_3repE0EEENS1_30default_config_static_selectorELNS0_4arch9wavefront6targetE1EEEvT1_: ; @_ZN7rocprim17ROCPRIM_400000_NS6detail17trampoline_kernelINS0_14default_configENS1_35adjacent_difference_config_selectorILb0EsEEZNS1_24adjacent_difference_implIS3_Lb0ELb0EPsS7_N6thrust23THRUST_200600_302600_NS4plusIsEEEE10hipError_tPvRmT2_T3_mT4_P12ihipStream_tbEUlT_E_NS1_11comp_targetILNS1_3genE2ELNS1_11target_archE906ELNS1_3gpuE6ELNS1_3repE0EEENS1_30default_config_static_selectorELNS0_4arch9wavefront6targetE1EEEvT1_
; %bb.0:
	.section	.rodata,"a",@progbits
	.p2align	6, 0x0
	.amdhsa_kernel _ZN7rocprim17ROCPRIM_400000_NS6detail17trampoline_kernelINS0_14default_configENS1_35adjacent_difference_config_selectorILb0EsEEZNS1_24adjacent_difference_implIS3_Lb0ELb0EPsS7_N6thrust23THRUST_200600_302600_NS4plusIsEEEE10hipError_tPvRmT2_T3_mT4_P12ihipStream_tbEUlT_E_NS1_11comp_targetILNS1_3genE2ELNS1_11target_archE906ELNS1_3gpuE6ELNS1_3repE0EEENS1_30default_config_static_selectorELNS0_4arch9wavefront6targetE1EEEvT1_
		.amdhsa_group_segment_fixed_size 0
		.amdhsa_private_segment_fixed_size 0
		.amdhsa_kernarg_size 56
		.amdhsa_user_sgpr_count 6
		.amdhsa_user_sgpr_private_segment_buffer 1
		.amdhsa_user_sgpr_dispatch_ptr 0
		.amdhsa_user_sgpr_queue_ptr 0
		.amdhsa_user_sgpr_kernarg_segment_ptr 1
		.amdhsa_user_sgpr_dispatch_id 0
		.amdhsa_user_sgpr_flat_scratch_init 0
		.amdhsa_user_sgpr_kernarg_preload_length 0
		.amdhsa_user_sgpr_kernarg_preload_offset 0
		.amdhsa_user_sgpr_private_segment_size 0
		.amdhsa_uses_dynamic_stack 0
		.amdhsa_system_sgpr_private_segment_wavefront_offset 0
		.amdhsa_system_sgpr_workgroup_id_x 1
		.amdhsa_system_sgpr_workgroup_id_y 0
		.amdhsa_system_sgpr_workgroup_id_z 0
		.amdhsa_system_sgpr_workgroup_info 0
		.amdhsa_system_vgpr_workitem_id 0
		.amdhsa_next_free_vgpr 1
		.amdhsa_next_free_sgpr 0
		.amdhsa_accum_offset 4
		.amdhsa_reserve_vcc 0
		.amdhsa_reserve_flat_scratch 0
		.amdhsa_float_round_mode_32 0
		.amdhsa_float_round_mode_16_64 0
		.amdhsa_float_denorm_mode_32 3
		.amdhsa_float_denorm_mode_16_64 3
		.amdhsa_dx10_clamp 1
		.amdhsa_ieee_mode 1
		.amdhsa_fp16_overflow 0
		.amdhsa_tg_split 0
		.amdhsa_exception_fp_ieee_invalid_op 0
		.amdhsa_exception_fp_denorm_src 0
		.amdhsa_exception_fp_ieee_div_zero 0
		.amdhsa_exception_fp_ieee_overflow 0
		.amdhsa_exception_fp_ieee_underflow 0
		.amdhsa_exception_fp_ieee_inexact 0
		.amdhsa_exception_int_div_zero 0
	.end_amdhsa_kernel
	.section	.text._ZN7rocprim17ROCPRIM_400000_NS6detail17trampoline_kernelINS0_14default_configENS1_35adjacent_difference_config_selectorILb0EsEEZNS1_24adjacent_difference_implIS3_Lb0ELb0EPsS7_N6thrust23THRUST_200600_302600_NS4plusIsEEEE10hipError_tPvRmT2_T3_mT4_P12ihipStream_tbEUlT_E_NS1_11comp_targetILNS1_3genE2ELNS1_11target_archE906ELNS1_3gpuE6ELNS1_3repE0EEENS1_30default_config_static_selectorELNS0_4arch9wavefront6targetE1EEEvT1_,"axG",@progbits,_ZN7rocprim17ROCPRIM_400000_NS6detail17trampoline_kernelINS0_14default_configENS1_35adjacent_difference_config_selectorILb0EsEEZNS1_24adjacent_difference_implIS3_Lb0ELb0EPsS7_N6thrust23THRUST_200600_302600_NS4plusIsEEEE10hipError_tPvRmT2_T3_mT4_P12ihipStream_tbEUlT_E_NS1_11comp_targetILNS1_3genE2ELNS1_11target_archE906ELNS1_3gpuE6ELNS1_3repE0EEENS1_30default_config_static_selectorELNS0_4arch9wavefront6targetE1EEEvT1_,comdat
.Lfunc_end82:
	.size	_ZN7rocprim17ROCPRIM_400000_NS6detail17trampoline_kernelINS0_14default_configENS1_35adjacent_difference_config_selectorILb0EsEEZNS1_24adjacent_difference_implIS3_Lb0ELb0EPsS7_N6thrust23THRUST_200600_302600_NS4plusIsEEEE10hipError_tPvRmT2_T3_mT4_P12ihipStream_tbEUlT_E_NS1_11comp_targetILNS1_3genE2ELNS1_11target_archE906ELNS1_3gpuE6ELNS1_3repE0EEENS1_30default_config_static_selectorELNS0_4arch9wavefront6targetE1EEEvT1_, .Lfunc_end82-_ZN7rocprim17ROCPRIM_400000_NS6detail17trampoline_kernelINS0_14default_configENS1_35adjacent_difference_config_selectorILb0EsEEZNS1_24adjacent_difference_implIS3_Lb0ELb0EPsS7_N6thrust23THRUST_200600_302600_NS4plusIsEEEE10hipError_tPvRmT2_T3_mT4_P12ihipStream_tbEUlT_E_NS1_11comp_targetILNS1_3genE2ELNS1_11target_archE906ELNS1_3gpuE6ELNS1_3repE0EEENS1_30default_config_static_selectorELNS0_4arch9wavefront6targetE1EEEvT1_
                                        ; -- End function
	.section	.AMDGPU.csdata,"",@progbits
; Kernel info:
; codeLenInByte = 0
; NumSgprs: 4
; NumVgprs: 0
; NumAgprs: 0
; TotalNumVgprs: 0
; ScratchSize: 0
; MemoryBound: 0
; FloatMode: 240
; IeeeMode: 1
; LDSByteSize: 0 bytes/workgroup (compile time only)
; SGPRBlocks: 0
; VGPRBlocks: 0
; NumSGPRsForWavesPerEU: 4
; NumVGPRsForWavesPerEU: 1
; AccumOffset: 4
; Occupancy: 8
; WaveLimiterHint : 0
; COMPUTE_PGM_RSRC2:SCRATCH_EN: 0
; COMPUTE_PGM_RSRC2:USER_SGPR: 6
; COMPUTE_PGM_RSRC2:TRAP_HANDLER: 0
; COMPUTE_PGM_RSRC2:TGID_X_EN: 1
; COMPUTE_PGM_RSRC2:TGID_Y_EN: 0
; COMPUTE_PGM_RSRC2:TGID_Z_EN: 0
; COMPUTE_PGM_RSRC2:TIDIG_COMP_CNT: 0
; COMPUTE_PGM_RSRC3_GFX90A:ACCUM_OFFSET: 0
; COMPUTE_PGM_RSRC3_GFX90A:TG_SPLIT: 0
	.section	.text._ZN7rocprim17ROCPRIM_400000_NS6detail17trampoline_kernelINS0_14default_configENS1_35adjacent_difference_config_selectorILb0EsEEZNS1_24adjacent_difference_implIS3_Lb0ELb0EPsS7_N6thrust23THRUST_200600_302600_NS4plusIsEEEE10hipError_tPvRmT2_T3_mT4_P12ihipStream_tbEUlT_E_NS1_11comp_targetILNS1_3genE9ELNS1_11target_archE1100ELNS1_3gpuE3ELNS1_3repE0EEENS1_30default_config_static_selectorELNS0_4arch9wavefront6targetE1EEEvT1_,"axG",@progbits,_ZN7rocprim17ROCPRIM_400000_NS6detail17trampoline_kernelINS0_14default_configENS1_35adjacent_difference_config_selectorILb0EsEEZNS1_24adjacent_difference_implIS3_Lb0ELb0EPsS7_N6thrust23THRUST_200600_302600_NS4plusIsEEEE10hipError_tPvRmT2_T3_mT4_P12ihipStream_tbEUlT_E_NS1_11comp_targetILNS1_3genE9ELNS1_11target_archE1100ELNS1_3gpuE3ELNS1_3repE0EEENS1_30default_config_static_selectorELNS0_4arch9wavefront6targetE1EEEvT1_,comdat
	.protected	_ZN7rocprim17ROCPRIM_400000_NS6detail17trampoline_kernelINS0_14default_configENS1_35adjacent_difference_config_selectorILb0EsEEZNS1_24adjacent_difference_implIS3_Lb0ELb0EPsS7_N6thrust23THRUST_200600_302600_NS4plusIsEEEE10hipError_tPvRmT2_T3_mT4_P12ihipStream_tbEUlT_E_NS1_11comp_targetILNS1_3genE9ELNS1_11target_archE1100ELNS1_3gpuE3ELNS1_3repE0EEENS1_30default_config_static_selectorELNS0_4arch9wavefront6targetE1EEEvT1_ ; -- Begin function _ZN7rocprim17ROCPRIM_400000_NS6detail17trampoline_kernelINS0_14default_configENS1_35adjacent_difference_config_selectorILb0EsEEZNS1_24adjacent_difference_implIS3_Lb0ELb0EPsS7_N6thrust23THRUST_200600_302600_NS4plusIsEEEE10hipError_tPvRmT2_T3_mT4_P12ihipStream_tbEUlT_E_NS1_11comp_targetILNS1_3genE9ELNS1_11target_archE1100ELNS1_3gpuE3ELNS1_3repE0EEENS1_30default_config_static_selectorELNS0_4arch9wavefront6targetE1EEEvT1_
	.globl	_ZN7rocprim17ROCPRIM_400000_NS6detail17trampoline_kernelINS0_14default_configENS1_35adjacent_difference_config_selectorILb0EsEEZNS1_24adjacent_difference_implIS3_Lb0ELb0EPsS7_N6thrust23THRUST_200600_302600_NS4plusIsEEEE10hipError_tPvRmT2_T3_mT4_P12ihipStream_tbEUlT_E_NS1_11comp_targetILNS1_3genE9ELNS1_11target_archE1100ELNS1_3gpuE3ELNS1_3repE0EEENS1_30default_config_static_selectorELNS0_4arch9wavefront6targetE1EEEvT1_
	.p2align	8
	.type	_ZN7rocprim17ROCPRIM_400000_NS6detail17trampoline_kernelINS0_14default_configENS1_35adjacent_difference_config_selectorILb0EsEEZNS1_24adjacent_difference_implIS3_Lb0ELb0EPsS7_N6thrust23THRUST_200600_302600_NS4plusIsEEEE10hipError_tPvRmT2_T3_mT4_P12ihipStream_tbEUlT_E_NS1_11comp_targetILNS1_3genE9ELNS1_11target_archE1100ELNS1_3gpuE3ELNS1_3repE0EEENS1_30default_config_static_selectorELNS0_4arch9wavefront6targetE1EEEvT1_,@function
_ZN7rocprim17ROCPRIM_400000_NS6detail17trampoline_kernelINS0_14default_configENS1_35adjacent_difference_config_selectorILb0EsEEZNS1_24adjacent_difference_implIS3_Lb0ELb0EPsS7_N6thrust23THRUST_200600_302600_NS4plusIsEEEE10hipError_tPvRmT2_T3_mT4_P12ihipStream_tbEUlT_E_NS1_11comp_targetILNS1_3genE9ELNS1_11target_archE1100ELNS1_3gpuE3ELNS1_3repE0EEENS1_30default_config_static_selectorELNS0_4arch9wavefront6targetE1EEEvT1_: ; @_ZN7rocprim17ROCPRIM_400000_NS6detail17trampoline_kernelINS0_14default_configENS1_35adjacent_difference_config_selectorILb0EsEEZNS1_24adjacent_difference_implIS3_Lb0ELb0EPsS7_N6thrust23THRUST_200600_302600_NS4plusIsEEEE10hipError_tPvRmT2_T3_mT4_P12ihipStream_tbEUlT_E_NS1_11comp_targetILNS1_3genE9ELNS1_11target_archE1100ELNS1_3gpuE3ELNS1_3repE0EEENS1_30default_config_static_selectorELNS0_4arch9wavefront6targetE1EEEvT1_
; %bb.0:
	.section	.rodata,"a",@progbits
	.p2align	6, 0x0
	.amdhsa_kernel _ZN7rocprim17ROCPRIM_400000_NS6detail17trampoline_kernelINS0_14default_configENS1_35adjacent_difference_config_selectorILb0EsEEZNS1_24adjacent_difference_implIS3_Lb0ELb0EPsS7_N6thrust23THRUST_200600_302600_NS4plusIsEEEE10hipError_tPvRmT2_T3_mT4_P12ihipStream_tbEUlT_E_NS1_11comp_targetILNS1_3genE9ELNS1_11target_archE1100ELNS1_3gpuE3ELNS1_3repE0EEENS1_30default_config_static_selectorELNS0_4arch9wavefront6targetE1EEEvT1_
		.amdhsa_group_segment_fixed_size 0
		.amdhsa_private_segment_fixed_size 0
		.amdhsa_kernarg_size 56
		.amdhsa_user_sgpr_count 6
		.amdhsa_user_sgpr_private_segment_buffer 1
		.amdhsa_user_sgpr_dispatch_ptr 0
		.amdhsa_user_sgpr_queue_ptr 0
		.amdhsa_user_sgpr_kernarg_segment_ptr 1
		.amdhsa_user_sgpr_dispatch_id 0
		.amdhsa_user_sgpr_flat_scratch_init 0
		.amdhsa_user_sgpr_kernarg_preload_length 0
		.amdhsa_user_sgpr_kernarg_preload_offset 0
		.amdhsa_user_sgpr_private_segment_size 0
		.amdhsa_uses_dynamic_stack 0
		.amdhsa_system_sgpr_private_segment_wavefront_offset 0
		.amdhsa_system_sgpr_workgroup_id_x 1
		.amdhsa_system_sgpr_workgroup_id_y 0
		.amdhsa_system_sgpr_workgroup_id_z 0
		.amdhsa_system_sgpr_workgroup_info 0
		.amdhsa_system_vgpr_workitem_id 0
		.amdhsa_next_free_vgpr 1
		.amdhsa_next_free_sgpr 0
		.amdhsa_accum_offset 4
		.amdhsa_reserve_vcc 0
		.amdhsa_reserve_flat_scratch 0
		.amdhsa_float_round_mode_32 0
		.amdhsa_float_round_mode_16_64 0
		.amdhsa_float_denorm_mode_32 3
		.amdhsa_float_denorm_mode_16_64 3
		.amdhsa_dx10_clamp 1
		.amdhsa_ieee_mode 1
		.amdhsa_fp16_overflow 0
		.amdhsa_tg_split 0
		.amdhsa_exception_fp_ieee_invalid_op 0
		.amdhsa_exception_fp_denorm_src 0
		.amdhsa_exception_fp_ieee_div_zero 0
		.amdhsa_exception_fp_ieee_overflow 0
		.amdhsa_exception_fp_ieee_underflow 0
		.amdhsa_exception_fp_ieee_inexact 0
		.amdhsa_exception_int_div_zero 0
	.end_amdhsa_kernel
	.section	.text._ZN7rocprim17ROCPRIM_400000_NS6detail17trampoline_kernelINS0_14default_configENS1_35adjacent_difference_config_selectorILb0EsEEZNS1_24adjacent_difference_implIS3_Lb0ELb0EPsS7_N6thrust23THRUST_200600_302600_NS4plusIsEEEE10hipError_tPvRmT2_T3_mT4_P12ihipStream_tbEUlT_E_NS1_11comp_targetILNS1_3genE9ELNS1_11target_archE1100ELNS1_3gpuE3ELNS1_3repE0EEENS1_30default_config_static_selectorELNS0_4arch9wavefront6targetE1EEEvT1_,"axG",@progbits,_ZN7rocprim17ROCPRIM_400000_NS6detail17trampoline_kernelINS0_14default_configENS1_35adjacent_difference_config_selectorILb0EsEEZNS1_24adjacent_difference_implIS3_Lb0ELb0EPsS7_N6thrust23THRUST_200600_302600_NS4plusIsEEEE10hipError_tPvRmT2_T3_mT4_P12ihipStream_tbEUlT_E_NS1_11comp_targetILNS1_3genE9ELNS1_11target_archE1100ELNS1_3gpuE3ELNS1_3repE0EEENS1_30default_config_static_selectorELNS0_4arch9wavefront6targetE1EEEvT1_,comdat
.Lfunc_end83:
	.size	_ZN7rocprim17ROCPRIM_400000_NS6detail17trampoline_kernelINS0_14default_configENS1_35adjacent_difference_config_selectorILb0EsEEZNS1_24adjacent_difference_implIS3_Lb0ELb0EPsS7_N6thrust23THRUST_200600_302600_NS4plusIsEEEE10hipError_tPvRmT2_T3_mT4_P12ihipStream_tbEUlT_E_NS1_11comp_targetILNS1_3genE9ELNS1_11target_archE1100ELNS1_3gpuE3ELNS1_3repE0EEENS1_30default_config_static_selectorELNS0_4arch9wavefront6targetE1EEEvT1_, .Lfunc_end83-_ZN7rocprim17ROCPRIM_400000_NS6detail17trampoline_kernelINS0_14default_configENS1_35adjacent_difference_config_selectorILb0EsEEZNS1_24adjacent_difference_implIS3_Lb0ELb0EPsS7_N6thrust23THRUST_200600_302600_NS4plusIsEEEE10hipError_tPvRmT2_T3_mT4_P12ihipStream_tbEUlT_E_NS1_11comp_targetILNS1_3genE9ELNS1_11target_archE1100ELNS1_3gpuE3ELNS1_3repE0EEENS1_30default_config_static_selectorELNS0_4arch9wavefront6targetE1EEEvT1_
                                        ; -- End function
	.section	.AMDGPU.csdata,"",@progbits
; Kernel info:
; codeLenInByte = 0
; NumSgprs: 4
; NumVgprs: 0
; NumAgprs: 0
; TotalNumVgprs: 0
; ScratchSize: 0
; MemoryBound: 0
; FloatMode: 240
; IeeeMode: 1
; LDSByteSize: 0 bytes/workgroup (compile time only)
; SGPRBlocks: 0
; VGPRBlocks: 0
; NumSGPRsForWavesPerEU: 4
; NumVGPRsForWavesPerEU: 1
; AccumOffset: 4
; Occupancy: 8
; WaveLimiterHint : 0
; COMPUTE_PGM_RSRC2:SCRATCH_EN: 0
; COMPUTE_PGM_RSRC2:USER_SGPR: 6
; COMPUTE_PGM_RSRC2:TRAP_HANDLER: 0
; COMPUTE_PGM_RSRC2:TGID_X_EN: 1
; COMPUTE_PGM_RSRC2:TGID_Y_EN: 0
; COMPUTE_PGM_RSRC2:TGID_Z_EN: 0
; COMPUTE_PGM_RSRC2:TIDIG_COMP_CNT: 0
; COMPUTE_PGM_RSRC3_GFX90A:ACCUM_OFFSET: 0
; COMPUTE_PGM_RSRC3_GFX90A:TG_SPLIT: 0
	.section	.text._ZN7rocprim17ROCPRIM_400000_NS6detail17trampoline_kernelINS0_14default_configENS1_35adjacent_difference_config_selectorILb0EsEEZNS1_24adjacent_difference_implIS3_Lb0ELb0EPsS7_N6thrust23THRUST_200600_302600_NS4plusIsEEEE10hipError_tPvRmT2_T3_mT4_P12ihipStream_tbEUlT_E_NS1_11comp_targetILNS1_3genE8ELNS1_11target_archE1030ELNS1_3gpuE2ELNS1_3repE0EEENS1_30default_config_static_selectorELNS0_4arch9wavefront6targetE1EEEvT1_,"axG",@progbits,_ZN7rocprim17ROCPRIM_400000_NS6detail17trampoline_kernelINS0_14default_configENS1_35adjacent_difference_config_selectorILb0EsEEZNS1_24adjacent_difference_implIS3_Lb0ELb0EPsS7_N6thrust23THRUST_200600_302600_NS4plusIsEEEE10hipError_tPvRmT2_T3_mT4_P12ihipStream_tbEUlT_E_NS1_11comp_targetILNS1_3genE8ELNS1_11target_archE1030ELNS1_3gpuE2ELNS1_3repE0EEENS1_30default_config_static_selectorELNS0_4arch9wavefront6targetE1EEEvT1_,comdat
	.protected	_ZN7rocprim17ROCPRIM_400000_NS6detail17trampoline_kernelINS0_14default_configENS1_35adjacent_difference_config_selectorILb0EsEEZNS1_24adjacent_difference_implIS3_Lb0ELb0EPsS7_N6thrust23THRUST_200600_302600_NS4plusIsEEEE10hipError_tPvRmT2_T3_mT4_P12ihipStream_tbEUlT_E_NS1_11comp_targetILNS1_3genE8ELNS1_11target_archE1030ELNS1_3gpuE2ELNS1_3repE0EEENS1_30default_config_static_selectorELNS0_4arch9wavefront6targetE1EEEvT1_ ; -- Begin function _ZN7rocprim17ROCPRIM_400000_NS6detail17trampoline_kernelINS0_14default_configENS1_35adjacent_difference_config_selectorILb0EsEEZNS1_24adjacent_difference_implIS3_Lb0ELb0EPsS7_N6thrust23THRUST_200600_302600_NS4plusIsEEEE10hipError_tPvRmT2_T3_mT4_P12ihipStream_tbEUlT_E_NS1_11comp_targetILNS1_3genE8ELNS1_11target_archE1030ELNS1_3gpuE2ELNS1_3repE0EEENS1_30default_config_static_selectorELNS0_4arch9wavefront6targetE1EEEvT1_
	.globl	_ZN7rocprim17ROCPRIM_400000_NS6detail17trampoline_kernelINS0_14default_configENS1_35adjacent_difference_config_selectorILb0EsEEZNS1_24adjacent_difference_implIS3_Lb0ELb0EPsS7_N6thrust23THRUST_200600_302600_NS4plusIsEEEE10hipError_tPvRmT2_T3_mT4_P12ihipStream_tbEUlT_E_NS1_11comp_targetILNS1_3genE8ELNS1_11target_archE1030ELNS1_3gpuE2ELNS1_3repE0EEENS1_30default_config_static_selectorELNS0_4arch9wavefront6targetE1EEEvT1_
	.p2align	8
	.type	_ZN7rocprim17ROCPRIM_400000_NS6detail17trampoline_kernelINS0_14default_configENS1_35adjacent_difference_config_selectorILb0EsEEZNS1_24adjacent_difference_implIS3_Lb0ELb0EPsS7_N6thrust23THRUST_200600_302600_NS4plusIsEEEE10hipError_tPvRmT2_T3_mT4_P12ihipStream_tbEUlT_E_NS1_11comp_targetILNS1_3genE8ELNS1_11target_archE1030ELNS1_3gpuE2ELNS1_3repE0EEENS1_30default_config_static_selectorELNS0_4arch9wavefront6targetE1EEEvT1_,@function
_ZN7rocprim17ROCPRIM_400000_NS6detail17trampoline_kernelINS0_14default_configENS1_35adjacent_difference_config_selectorILb0EsEEZNS1_24adjacent_difference_implIS3_Lb0ELb0EPsS7_N6thrust23THRUST_200600_302600_NS4plusIsEEEE10hipError_tPvRmT2_T3_mT4_P12ihipStream_tbEUlT_E_NS1_11comp_targetILNS1_3genE8ELNS1_11target_archE1030ELNS1_3gpuE2ELNS1_3repE0EEENS1_30default_config_static_selectorELNS0_4arch9wavefront6targetE1EEEvT1_: ; @_ZN7rocprim17ROCPRIM_400000_NS6detail17trampoline_kernelINS0_14default_configENS1_35adjacent_difference_config_selectorILb0EsEEZNS1_24adjacent_difference_implIS3_Lb0ELb0EPsS7_N6thrust23THRUST_200600_302600_NS4plusIsEEEE10hipError_tPvRmT2_T3_mT4_P12ihipStream_tbEUlT_E_NS1_11comp_targetILNS1_3genE8ELNS1_11target_archE1030ELNS1_3gpuE2ELNS1_3repE0EEENS1_30default_config_static_selectorELNS0_4arch9wavefront6targetE1EEEvT1_
; %bb.0:
	.section	.rodata,"a",@progbits
	.p2align	6, 0x0
	.amdhsa_kernel _ZN7rocprim17ROCPRIM_400000_NS6detail17trampoline_kernelINS0_14default_configENS1_35adjacent_difference_config_selectorILb0EsEEZNS1_24adjacent_difference_implIS3_Lb0ELb0EPsS7_N6thrust23THRUST_200600_302600_NS4plusIsEEEE10hipError_tPvRmT2_T3_mT4_P12ihipStream_tbEUlT_E_NS1_11comp_targetILNS1_3genE8ELNS1_11target_archE1030ELNS1_3gpuE2ELNS1_3repE0EEENS1_30default_config_static_selectorELNS0_4arch9wavefront6targetE1EEEvT1_
		.amdhsa_group_segment_fixed_size 0
		.amdhsa_private_segment_fixed_size 0
		.amdhsa_kernarg_size 56
		.amdhsa_user_sgpr_count 6
		.amdhsa_user_sgpr_private_segment_buffer 1
		.amdhsa_user_sgpr_dispatch_ptr 0
		.amdhsa_user_sgpr_queue_ptr 0
		.amdhsa_user_sgpr_kernarg_segment_ptr 1
		.amdhsa_user_sgpr_dispatch_id 0
		.amdhsa_user_sgpr_flat_scratch_init 0
		.amdhsa_user_sgpr_kernarg_preload_length 0
		.amdhsa_user_sgpr_kernarg_preload_offset 0
		.amdhsa_user_sgpr_private_segment_size 0
		.amdhsa_uses_dynamic_stack 0
		.amdhsa_system_sgpr_private_segment_wavefront_offset 0
		.amdhsa_system_sgpr_workgroup_id_x 1
		.amdhsa_system_sgpr_workgroup_id_y 0
		.amdhsa_system_sgpr_workgroup_id_z 0
		.amdhsa_system_sgpr_workgroup_info 0
		.amdhsa_system_vgpr_workitem_id 0
		.amdhsa_next_free_vgpr 1
		.amdhsa_next_free_sgpr 0
		.amdhsa_accum_offset 4
		.amdhsa_reserve_vcc 0
		.amdhsa_reserve_flat_scratch 0
		.amdhsa_float_round_mode_32 0
		.amdhsa_float_round_mode_16_64 0
		.amdhsa_float_denorm_mode_32 3
		.amdhsa_float_denorm_mode_16_64 3
		.amdhsa_dx10_clamp 1
		.amdhsa_ieee_mode 1
		.amdhsa_fp16_overflow 0
		.amdhsa_tg_split 0
		.amdhsa_exception_fp_ieee_invalid_op 0
		.amdhsa_exception_fp_denorm_src 0
		.amdhsa_exception_fp_ieee_div_zero 0
		.amdhsa_exception_fp_ieee_overflow 0
		.amdhsa_exception_fp_ieee_underflow 0
		.amdhsa_exception_fp_ieee_inexact 0
		.amdhsa_exception_int_div_zero 0
	.end_amdhsa_kernel
	.section	.text._ZN7rocprim17ROCPRIM_400000_NS6detail17trampoline_kernelINS0_14default_configENS1_35adjacent_difference_config_selectorILb0EsEEZNS1_24adjacent_difference_implIS3_Lb0ELb0EPsS7_N6thrust23THRUST_200600_302600_NS4plusIsEEEE10hipError_tPvRmT2_T3_mT4_P12ihipStream_tbEUlT_E_NS1_11comp_targetILNS1_3genE8ELNS1_11target_archE1030ELNS1_3gpuE2ELNS1_3repE0EEENS1_30default_config_static_selectorELNS0_4arch9wavefront6targetE1EEEvT1_,"axG",@progbits,_ZN7rocprim17ROCPRIM_400000_NS6detail17trampoline_kernelINS0_14default_configENS1_35adjacent_difference_config_selectorILb0EsEEZNS1_24adjacent_difference_implIS3_Lb0ELb0EPsS7_N6thrust23THRUST_200600_302600_NS4plusIsEEEE10hipError_tPvRmT2_T3_mT4_P12ihipStream_tbEUlT_E_NS1_11comp_targetILNS1_3genE8ELNS1_11target_archE1030ELNS1_3gpuE2ELNS1_3repE0EEENS1_30default_config_static_selectorELNS0_4arch9wavefront6targetE1EEEvT1_,comdat
.Lfunc_end84:
	.size	_ZN7rocprim17ROCPRIM_400000_NS6detail17trampoline_kernelINS0_14default_configENS1_35adjacent_difference_config_selectorILb0EsEEZNS1_24adjacent_difference_implIS3_Lb0ELb0EPsS7_N6thrust23THRUST_200600_302600_NS4plusIsEEEE10hipError_tPvRmT2_T3_mT4_P12ihipStream_tbEUlT_E_NS1_11comp_targetILNS1_3genE8ELNS1_11target_archE1030ELNS1_3gpuE2ELNS1_3repE0EEENS1_30default_config_static_selectorELNS0_4arch9wavefront6targetE1EEEvT1_, .Lfunc_end84-_ZN7rocprim17ROCPRIM_400000_NS6detail17trampoline_kernelINS0_14default_configENS1_35adjacent_difference_config_selectorILb0EsEEZNS1_24adjacent_difference_implIS3_Lb0ELb0EPsS7_N6thrust23THRUST_200600_302600_NS4plusIsEEEE10hipError_tPvRmT2_T3_mT4_P12ihipStream_tbEUlT_E_NS1_11comp_targetILNS1_3genE8ELNS1_11target_archE1030ELNS1_3gpuE2ELNS1_3repE0EEENS1_30default_config_static_selectorELNS0_4arch9wavefront6targetE1EEEvT1_
                                        ; -- End function
	.section	.AMDGPU.csdata,"",@progbits
; Kernel info:
; codeLenInByte = 0
; NumSgprs: 4
; NumVgprs: 0
; NumAgprs: 0
; TotalNumVgprs: 0
; ScratchSize: 0
; MemoryBound: 0
; FloatMode: 240
; IeeeMode: 1
; LDSByteSize: 0 bytes/workgroup (compile time only)
; SGPRBlocks: 0
; VGPRBlocks: 0
; NumSGPRsForWavesPerEU: 4
; NumVGPRsForWavesPerEU: 1
; AccumOffset: 4
; Occupancy: 8
; WaveLimiterHint : 0
; COMPUTE_PGM_RSRC2:SCRATCH_EN: 0
; COMPUTE_PGM_RSRC2:USER_SGPR: 6
; COMPUTE_PGM_RSRC2:TRAP_HANDLER: 0
; COMPUTE_PGM_RSRC2:TGID_X_EN: 1
; COMPUTE_PGM_RSRC2:TGID_Y_EN: 0
; COMPUTE_PGM_RSRC2:TGID_Z_EN: 0
; COMPUTE_PGM_RSRC2:TIDIG_COMP_CNT: 0
; COMPUTE_PGM_RSRC3_GFX90A:ACCUM_OFFSET: 0
; COMPUTE_PGM_RSRC3_GFX90A:TG_SPLIT: 0
	.section	.text._ZN7rocprim17ROCPRIM_400000_NS6detail17trampoline_kernelINS0_14default_configENS1_25transform_config_selectorIsLb0EEEZNS1_14transform_implILb0ES3_S5_NS0_18transform_iteratorINS0_17counting_iteratorImlEEZNS1_24adjacent_difference_implIS3_Lb1ELb0EPsSB_N6thrust23THRUST_200600_302600_NS4plusIsEEEE10hipError_tPvRmT2_T3_mT4_P12ihipStream_tbEUlmE_sEESB_NS0_8identityIvEEEESG_SJ_SK_mSL_SN_bEUlT_E_NS1_11comp_targetILNS1_3genE0ELNS1_11target_archE4294967295ELNS1_3gpuE0ELNS1_3repE0EEENS1_30default_config_static_selectorELNS0_4arch9wavefront6targetE1EEEvT1_,"axG",@progbits,_ZN7rocprim17ROCPRIM_400000_NS6detail17trampoline_kernelINS0_14default_configENS1_25transform_config_selectorIsLb0EEEZNS1_14transform_implILb0ES3_S5_NS0_18transform_iteratorINS0_17counting_iteratorImlEEZNS1_24adjacent_difference_implIS3_Lb1ELb0EPsSB_N6thrust23THRUST_200600_302600_NS4plusIsEEEE10hipError_tPvRmT2_T3_mT4_P12ihipStream_tbEUlmE_sEESB_NS0_8identityIvEEEESG_SJ_SK_mSL_SN_bEUlT_E_NS1_11comp_targetILNS1_3genE0ELNS1_11target_archE4294967295ELNS1_3gpuE0ELNS1_3repE0EEENS1_30default_config_static_selectorELNS0_4arch9wavefront6targetE1EEEvT1_,comdat
	.protected	_ZN7rocprim17ROCPRIM_400000_NS6detail17trampoline_kernelINS0_14default_configENS1_25transform_config_selectorIsLb0EEEZNS1_14transform_implILb0ES3_S5_NS0_18transform_iteratorINS0_17counting_iteratorImlEEZNS1_24adjacent_difference_implIS3_Lb1ELb0EPsSB_N6thrust23THRUST_200600_302600_NS4plusIsEEEE10hipError_tPvRmT2_T3_mT4_P12ihipStream_tbEUlmE_sEESB_NS0_8identityIvEEEESG_SJ_SK_mSL_SN_bEUlT_E_NS1_11comp_targetILNS1_3genE0ELNS1_11target_archE4294967295ELNS1_3gpuE0ELNS1_3repE0EEENS1_30default_config_static_selectorELNS0_4arch9wavefront6targetE1EEEvT1_ ; -- Begin function _ZN7rocprim17ROCPRIM_400000_NS6detail17trampoline_kernelINS0_14default_configENS1_25transform_config_selectorIsLb0EEEZNS1_14transform_implILb0ES3_S5_NS0_18transform_iteratorINS0_17counting_iteratorImlEEZNS1_24adjacent_difference_implIS3_Lb1ELb0EPsSB_N6thrust23THRUST_200600_302600_NS4plusIsEEEE10hipError_tPvRmT2_T3_mT4_P12ihipStream_tbEUlmE_sEESB_NS0_8identityIvEEEESG_SJ_SK_mSL_SN_bEUlT_E_NS1_11comp_targetILNS1_3genE0ELNS1_11target_archE4294967295ELNS1_3gpuE0ELNS1_3repE0EEENS1_30default_config_static_selectorELNS0_4arch9wavefront6targetE1EEEvT1_
	.globl	_ZN7rocprim17ROCPRIM_400000_NS6detail17trampoline_kernelINS0_14default_configENS1_25transform_config_selectorIsLb0EEEZNS1_14transform_implILb0ES3_S5_NS0_18transform_iteratorINS0_17counting_iteratorImlEEZNS1_24adjacent_difference_implIS3_Lb1ELb0EPsSB_N6thrust23THRUST_200600_302600_NS4plusIsEEEE10hipError_tPvRmT2_T3_mT4_P12ihipStream_tbEUlmE_sEESB_NS0_8identityIvEEEESG_SJ_SK_mSL_SN_bEUlT_E_NS1_11comp_targetILNS1_3genE0ELNS1_11target_archE4294967295ELNS1_3gpuE0ELNS1_3repE0EEENS1_30default_config_static_selectorELNS0_4arch9wavefront6targetE1EEEvT1_
	.p2align	8
	.type	_ZN7rocprim17ROCPRIM_400000_NS6detail17trampoline_kernelINS0_14default_configENS1_25transform_config_selectorIsLb0EEEZNS1_14transform_implILb0ES3_S5_NS0_18transform_iteratorINS0_17counting_iteratorImlEEZNS1_24adjacent_difference_implIS3_Lb1ELb0EPsSB_N6thrust23THRUST_200600_302600_NS4plusIsEEEE10hipError_tPvRmT2_T3_mT4_P12ihipStream_tbEUlmE_sEESB_NS0_8identityIvEEEESG_SJ_SK_mSL_SN_bEUlT_E_NS1_11comp_targetILNS1_3genE0ELNS1_11target_archE4294967295ELNS1_3gpuE0ELNS1_3repE0EEENS1_30default_config_static_selectorELNS0_4arch9wavefront6targetE1EEEvT1_,@function
_ZN7rocprim17ROCPRIM_400000_NS6detail17trampoline_kernelINS0_14default_configENS1_25transform_config_selectorIsLb0EEEZNS1_14transform_implILb0ES3_S5_NS0_18transform_iteratorINS0_17counting_iteratorImlEEZNS1_24adjacent_difference_implIS3_Lb1ELb0EPsSB_N6thrust23THRUST_200600_302600_NS4plusIsEEEE10hipError_tPvRmT2_T3_mT4_P12ihipStream_tbEUlmE_sEESB_NS0_8identityIvEEEESG_SJ_SK_mSL_SN_bEUlT_E_NS1_11comp_targetILNS1_3genE0ELNS1_11target_archE4294967295ELNS1_3gpuE0ELNS1_3repE0EEENS1_30default_config_static_selectorELNS0_4arch9wavefront6targetE1EEEvT1_: ; @_ZN7rocprim17ROCPRIM_400000_NS6detail17trampoline_kernelINS0_14default_configENS1_25transform_config_selectorIsLb0EEEZNS1_14transform_implILb0ES3_S5_NS0_18transform_iteratorINS0_17counting_iteratorImlEEZNS1_24adjacent_difference_implIS3_Lb1ELb0EPsSB_N6thrust23THRUST_200600_302600_NS4plusIsEEEE10hipError_tPvRmT2_T3_mT4_P12ihipStream_tbEUlmE_sEESB_NS0_8identityIvEEEESG_SJ_SK_mSL_SN_bEUlT_E_NS1_11comp_targetILNS1_3genE0ELNS1_11target_archE4294967295ELNS1_3gpuE0ELNS1_3repE0EEENS1_30default_config_static_selectorELNS0_4arch9wavefront6targetE1EEEvT1_
; %bb.0:
	.section	.rodata,"a",@progbits
	.p2align	6, 0x0
	.amdhsa_kernel _ZN7rocprim17ROCPRIM_400000_NS6detail17trampoline_kernelINS0_14default_configENS1_25transform_config_selectorIsLb0EEEZNS1_14transform_implILb0ES3_S5_NS0_18transform_iteratorINS0_17counting_iteratorImlEEZNS1_24adjacent_difference_implIS3_Lb1ELb0EPsSB_N6thrust23THRUST_200600_302600_NS4plusIsEEEE10hipError_tPvRmT2_T3_mT4_P12ihipStream_tbEUlmE_sEESB_NS0_8identityIvEEEESG_SJ_SK_mSL_SN_bEUlT_E_NS1_11comp_targetILNS1_3genE0ELNS1_11target_archE4294967295ELNS1_3gpuE0ELNS1_3repE0EEENS1_30default_config_static_selectorELNS0_4arch9wavefront6targetE1EEEvT1_
		.amdhsa_group_segment_fixed_size 0
		.amdhsa_private_segment_fixed_size 0
		.amdhsa_kernarg_size 56
		.amdhsa_user_sgpr_count 6
		.amdhsa_user_sgpr_private_segment_buffer 1
		.amdhsa_user_sgpr_dispatch_ptr 0
		.amdhsa_user_sgpr_queue_ptr 0
		.amdhsa_user_sgpr_kernarg_segment_ptr 1
		.amdhsa_user_sgpr_dispatch_id 0
		.amdhsa_user_sgpr_flat_scratch_init 0
		.amdhsa_user_sgpr_kernarg_preload_length 0
		.amdhsa_user_sgpr_kernarg_preload_offset 0
		.amdhsa_user_sgpr_private_segment_size 0
		.amdhsa_uses_dynamic_stack 0
		.amdhsa_system_sgpr_private_segment_wavefront_offset 0
		.amdhsa_system_sgpr_workgroup_id_x 1
		.amdhsa_system_sgpr_workgroup_id_y 0
		.amdhsa_system_sgpr_workgroup_id_z 0
		.amdhsa_system_sgpr_workgroup_info 0
		.amdhsa_system_vgpr_workitem_id 0
		.amdhsa_next_free_vgpr 1
		.amdhsa_next_free_sgpr 0
		.amdhsa_accum_offset 4
		.amdhsa_reserve_vcc 0
		.amdhsa_reserve_flat_scratch 0
		.amdhsa_float_round_mode_32 0
		.amdhsa_float_round_mode_16_64 0
		.amdhsa_float_denorm_mode_32 3
		.amdhsa_float_denorm_mode_16_64 3
		.amdhsa_dx10_clamp 1
		.amdhsa_ieee_mode 1
		.amdhsa_fp16_overflow 0
		.amdhsa_tg_split 0
		.amdhsa_exception_fp_ieee_invalid_op 0
		.amdhsa_exception_fp_denorm_src 0
		.amdhsa_exception_fp_ieee_div_zero 0
		.amdhsa_exception_fp_ieee_overflow 0
		.amdhsa_exception_fp_ieee_underflow 0
		.amdhsa_exception_fp_ieee_inexact 0
		.amdhsa_exception_int_div_zero 0
	.end_amdhsa_kernel
	.section	.text._ZN7rocprim17ROCPRIM_400000_NS6detail17trampoline_kernelINS0_14default_configENS1_25transform_config_selectorIsLb0EEEZNS1_14transform_implILb0ES3_S5_NS0_18transform_iteratorINS0_17counting_iteratorImlEEZNS1_24adjacent_difference_implIS3_Lb1ELb0EPsSB_N6thrust23THRUST_200600_302600_NS4plusIsEEEE10hipError_tPvRmT2_T3_mT4_P12ihipStream_tbEUlmE_sEESB_NS0_8identityIvEEEESG_SJ_SK_mSL_SN_bEUlT_E_NS1_11comp_targetILNS1_3genE0ELNS1_11target_archE4294967295ELNS1_3gpuE0ELNS1_3repE0EEENS1_30default_config_static_selectorELNS0_4arch9wavefront6targetE1EEEvT1_,"axG",@progbits,_ZN7rocprim17ROCPRIM_400000_NS6detail17trampoline_kernelINS0_14default_configENS1_25transform_config_selectorIsLb0EEEZNS1_14transform_implILb0ES3_S5_NS0_18transform_iteratorINS0_17counting_iteratorImlEEZNS1_24adjacent_difference_implIS3_Lb1ELb0EPsSB_N6thrust23THRUST_200600_302600_NS4plusIsEEEE10hipError_tPvRmT2_T3_mT4_P12ihipStream_tbEUlmE_sEESB_NS0_8identityIvEEEESG_SJ_SK_mSL_SN_bEUlT_E_NS1_11comp_targetILNS1_3genE0ELNS1_11target_archE4294967295ELNS1_3gpuE0ELNS1_3repE0EEENS1_30default_config_static_selectorELNS0_4arch9wavefront6targetE1EEEvT1_,comdat
.Lfunc_end85:
	.size	_ZN7rocprim17ROCPRIM_400000_NS6detail17trampoline_kernelINS0_14default_configENS1_25transform_config_selectorIsLb0EEEZNS1_14transform_implILb0ES3_S5_NS0_18transform_iteratorINS0_17counting_iteratorImlEEZNS1_24adjacent_difference_implIS3_Lb1ELb0EPsSB_N6thrust23THRUST_200600_302600_NS4plusIsEEEE10hipError_tPvRmT2_T3_mT4_P12ihipStream_tbEUlmE_sEESB_NS0_8identityIvEEEESG_SJ_SK_mSL_SN_bEUlT_E_NS1_11comp_targetILNS1_3genE0ELNS1_11target_archE4294967295ELNS1_3gpuE0ELNS1_3repE0EEENS1_30default_config_static_selectorELNS0_4arch9wavefront6targetE1EEEvT1_, .Lfunc_end85-_ZN7rocprim17ROCPRIM_400000_NS6detail17trampoline_kernelINS0_14default_configENS1_25transform_config_selectorIsLb0EEEZNS1_14transform_implILb0ES3_S5_NS0_18transform_iteratorINS0_17counting_iteratorImlEEZNS1_24adjacent_difference_implIS3_Lb1ELb0EPsSB_N6thrust23THRUST_200600_302600_NS4plusIsEEEE10hipError_tPvRmT2_T3_mT4_P12ihipStream_tbEUlmE_sEESB_NS0_8identityIvEEEESG_SJ_SK_mSL_SN_bEUlT_E_NS1_11comp_targetILNS1_3genE0ELNS1_11target_archE4294967295ELNS1_3gpuE0ELNS1_3repE0EEENS1_30default_config_static_selectorELNS0_4arch9wavefront6targetE1EEEvT1_
                                        ; -- End function
	.section	.AMDGPU.csdata,"",@progbits
; Kernel info:
; codeLenInByte = 0
; NumSgprs: 4
; NumVgprs: 0
; NumAgprs: 0
; TotalNumVgprs: 0
; ScratchSize: 0
; MemoryBound: 0
; FloatMode: 240
; IeeeMode: 1
; LDSByteSize: 0 bytes/workgroup (compile time only)
; SGPRBlocks: 0
; VGPRBlocks: 0
; NumSGPRsForWavesPerEU: 4
; NumVGPRsForWavesPerEU: 1
; AccumOffset: 4
; Occupancy: 8
; WaveLimiterHint : 0
; COMPUTE_PGM_RSRC2:SCRATCH_EN: 0
; COMPUTE_PGM_RSRC2:USER_SGPR: 6
; COMPUTE_PGM_RSRC2:TRAP_HANDLER: 0
; COMPUTE_PGM_RSRC2:TGID_X_EN: 1
; COMPUTE_PGM_RSRC2:TGID_Y_EN: 0
; COMPUTE_PGM_RSRC2:TGID_Z_EN: 0
; COMPUTE_PGM_RSRC2:TIDIG_COMP_CNT: 0
; COMPUTE_PGM_RSRC3_GFX90A:ACCUM_OFFSET: 0
; COMPUTE_PGM_RSRC3_GFX90A:TG_SPLIT: 0
	.section	.text._ZN7rocprim17ROCPRIM_400000_NS6detail17trampoline_kernelINS0_14default_configENS1_25transform_config_selectorIsLb0EEEZNS1_14transform_implILb0ES3_S5_NS0_18transform_iteratorINS0_17counting_iteratorImlEEZNS1_24adjacent_difference_implIS3_Lb1ELb0EPsSB_N6thrust23THRUST_200600_302600_NS4plusIsEEEE10hipError_tPvRmT2_T3_mT4_P12ihipStream_tbEUlmE_sEESB_NS0_8identityIvEEEESG_SJ_SK_mSL_SN_bEUlT_E_NS1_11comp_targetILNS1_3genE5ELNS1_11target_archE942ELNS1_3gpuE9ELNS1_3repE0EEENS1_30default_config_static_selectorELNS0_4arch9wavefront6targetE1EEEvT1_,"axG",@progbits,_ZN7rocprim17ROCPRIM_400000_NS6detail17trampoline_kernelINS0_14default_configENS1_25transform_config_selectorIsLb0EEEZNS1_14transform_implILb0ES3_S5_NS0_18transform_iteratorINS0_17counting_iteratorImlEEZNS1_24adjacent_difference_implIS3_Lb1ELb0EPsSB_N6thrust23THRUST_200600_302600_NS4plusIsEEEE10hipError_tPvRmT2_T3_mT4_P12ihipStream_tbEUlmE_sEESB_NS0_8identityIvEEEESG_SJ_SK_mSL_SN_bEUlT_E_NS1_11comp_targetILNS1_3genE5ELNS1_11target_archE942ELNS1_3gpuE9ELNS1_3repE0EEENS1_30default_config_static_selectorELNS0_4arch9wavefront6targetE1EEEvT1_,comdat
	.protected	_ZN7rocprim17ROCPRIM_400000_NS6detail17trampoline_kernelINS0_14default_configENS1_25transform_config_selectorIsLb0EEEZNS1_14transform_implILb0ES3_S5_NS0_18transform_iteratorINS0_17counting_iteratorImlEEZNS1_24adjacent_difference_implIS3_Lb1ELb0EPsSB_N6thrust23THRUST_200600_302600_NS4plusIsEEEE10hipError_tPvRmT2_T3_mT4_P12ihipStream_tbEUlmE_sEESB_NS0_8identityIvEEEESG_SJ_SK_mSL_SN_bEUlT_E_NS1_11comp_targetILNS1_3genE5ELNS1_11target_archE942ELNS1_3gpuE9ELNS1_3repE0EEENS1_30default_config_static_selectorELNS0_4arch9wavefront6targetE1EEEvT1_ ; -- Begin function _ZN7rocprim17ROCPRIM_400000_NS6detail17trampoline_kernelINS0_14default_configENS1_25transform_config_selectorIsLb0EEEZNS1_14transform_implILb0ES3_S5_NS0_18transform_iteratorINS0_17counting_iteratorImlEEZNS1_24adjacent_difference_implIS3_Lb1ELb0EPsSB_N6thrust23THRUST_200600_302600_NS4plusIsEEEE10hipError_tPvRmT2_T3_mT4_P12ihipStream_tbEUlmE_sEESB_NS0_8identityIvEEEESG_SJ_SK_mSL_SN_bEUlT_E_NS1_11comp_targetILNS1_3genE5ELNS1_11target_archE942ELNS1_3gpuE9ELNS1_3repE0EEENS1_30default_config_static_selectorELNS0_4arch9wavefront6targetE1EEEvT1_
	.globl	_ZN7rocprim17ROCPRIM_400000_NS6detail17trampoline_kernelINS0_14default_configENS1_25transform_config_selectorIsLb0EEEZNS1_14transform_implILb0ES3_S5_NS0_18transform_iteratorINS0_17counting_iteratorImlEEZNS1_24adjacent_difference_implIS3_Lb1ELb0EPsSB_N6thrust23THRUST_200600_302600_NS4plusIsEEEE10hipError_tPvRmT2_T3_mT4_P12ihipStream_tbEUlmE_sEESB_NS0_8identityIvEEEESG_SJ_SK_mSL_SN_bEUlT_E_NS1_11comp_targetILNS1_3genE5ELNS1_11target_archE942ELNS1_3gpuE9ELNS1_3repE0EEENS1_30default_config_static_selectorELNS0_4arch9wavefront6targetE1EEEvT1_
	.p2align	8
	.type	_ZN7rocprim17ROCPRIM_400000_NS6detail17trampoline_kernelINS0_14default_configENS1_25transform_config_selectorIsLb0EEEZNS1_14transform_implILb0ES3_S5_NS0_18transform_iteratorINS0_17counting_iteratorImlEEZNS1_24adjacent_difference_implIS3_Lb1ELb0EPsSB_N6thrust23THRUST_200600_302600_NS4plusIsEEEE10hipError_tPvRmT2_T3_mT4_P12ihipStream_tbEUlmE_sEESB_NS0_8identityIvEEEESG_SJ_SK_mSL_SN_bEUlT_E_NS1_11comp_targetILNS1_3genE5ELNS1_11target_archE942ELNS1_3gpuE9ELNS1_3repE0EEENS1_30default_config_static_selectorELNS0_4arch9wavefront6targetE1EEEvT1_,@function
_ZN7rocprim17ROCPRIM_400000_NS6detail17trampoline_kernelINS0_14default_configENS1_25transform_config_selectorIsLb0EEEZNS1_14transform_implILb0ES3_S5_NS0_18transform_iteratorINS0_17counting_iteratorImlEEZNS1_24adjacent_difference_implIS3_Lb1ELb0EPsSB_N6thrust23THRUST_200600_302600_NS4plusIsEEEE10hipError_tPvRmT2_T3_mT4_P12ihipStream_tbEUlmE_sEESB_NS0_8identityIvEEEESG_SJ_SK_mSL_SN_bEUlT_E_NS1_11comp_targetILNS1_3genE5ELNS1_11target_archE942ELNS1_3gpuE9ELNS1_3repE0EEENS1_30default_config_static_selectorELNS0_4arch9wavefront6targetE1EEEvT1_: ; @_ZN7rocprim17ROCPRIM_400000_NS6detail17trampoline_kernelINS0_14default_configENS1_25transform_config_selectorIsLb0EEEZNS1_14transform_implILb0ES3_S5_NS0_18transform_iteratorINS0_17counting_iteratorImlEEZNS1_24adjacent_difference_implIS3_Lb1ELb0EPsSB_N6thrust23THRUST_200600_302600_NS4plusIsEEEE10hipError_tPvRmT2_T3_mT4_P12ihipStream_tbEUlmE_sEESB_NS0_8identityIvEEEESG_SJ_SK_mSL_SN_bEUlT_E_NS1_11comp_targetILNS1_3genE5ELNS1_11target_archE942ELNS1_3gpuE9ELNS1_3repE0EEENS1_30default_config_static_selectorELNS0_4arch9wavefront6targetE1EEEvT1_
; %bb.0:
	.section	.rodata,"a",@progbits
	.p2align	6, 0x0
	.amdhsa_kernel _ZN7rocprim17ROCPRIM_400000_NS6detail17trampoline_kernelINS0_14default_configENS1_25transform_config_selectorIsLb0EEEZNS1_14transform_implILb0ES3_S5_NS0_18transform_iteratorINS0_17counting_iteratorImlEEZNS1_24adjacent_difference_implIS3_Lb1ELb0EPsSB_N6thrust23THRUST_200600_302600_NS4plusIsEEEE10hipError_tPvRmT2_T3_mT4_P12ihipStream_tbEUlmE_sEESB_NS0_8identityIvEEEESG_SJ_SK_mSL_SN_bEUlT_E_NS1_11comp_targetILNS1_3genE5ELNS1_11target_archE942ELNS1_3gpuE9ELNS1_3repE0EEENS1_30default_config_static_selectorELNS0_4arch9wavefront6targetE1EEEvT1_
		.amdhsa_group_segment_fixed_size 0
		.amdhsa_private_segment_fixed_size 0
		.amdhsa_kernarg_size 56
		.amdhsa_user_sgpr_count 6
		.amdhsa_user_sgpr_private_segment_buffer 1
		.amdhsa_user_sgpr_dispatch_ptr 0
		.amdhsa_user_sgpr_queue_ptr 0
		.amdhsa_user_sgpr_kernarg_segment_ptr 1
		.amdhsa_user_sgpr_dispatch_id 0
		.amdhsa_user_sgpr_flat_scratch_init 0
		.amdhsa_user_sgpr_kernarg_preload_length 0
		.amdhsa_user_sgpr_kernarg_preload_offset 0
		.amdhsa_user_sgpr_private_segment_size 0
		.amdhsa_uses_dynamic_stack 0
		.amdhsa_system_sgpr_private_segment_wavefront_offset 0
		.amdhsa_system_sgpr_workgroup_id_x 1
		.amdhsa_system_sgpr_workgroup_id_y 0
		.amdhsa_system_sgpr_workgroup_id_z 0
		.amdhsa_system_sgpr_workgroup_info 0
		.amdhsa_system_vgpr_workitem_id 0
		.amdhsa_next_free_vgpr 1
		.amdhsa_next_free_sgpr 0
		.amdhsa_accum_offset 4
		.amdhsa_reserve_vcc 0
		.amdhsa_reserve_flat_scratch 0
		.amdhsa_float_round_mode_32 0
		.amdhsa_float_round_mode_16_64 0
		.amdhsa_float_denorm_mode_32 3
		.amdhsa_float_denorm_mode_16_64 3
		.amdhsa_dx10_clamp 1
		.amdhsa_ieee_mode 1
		.amdhsa_fp16_overflow 0
		.amdhsa_tg_split 0
		.amdhsa_exception_fp_ieee_invalid_op 0
		.amdhsa_exception_fp_denorm_src 0
		.amdhsa_exception_fp_ieee_div_zero 0
		.amdhsa_exception_fp_ieee_overflow 0
		.amdhsa_exception_fp_ieee_underflow 0
		.amdhsa_exception_fp_ieee_inexact 0
		.amdhsa_exception_int_div_zero 0
	.end_amdhsa_kernel
	.section	.text._ZN7rocprim17ROCPRIM_400000_NS6detail17trampoline_kernelINS0_14default_configENS1_25transform_config_selectorIsLb0EEEZNS1_14transform_implILb0ES3_S5_NS0_18transform_iteratorINS0_17counting_iteratorImlEEZNS1_24adjacent_difference_implIS3_Lb1ELb0EPsSB_N6thrust23THRUST_200600_302600_NS4plusIsEEEE10hipError_tPvRmT2_T3_mT4_P12ihipStream_tbEUlmE_sEESB_NS0_8identityIvEEEESG_SJ_SK_mSL_SN_bEUlT_E_NS1_11comp_targetILNS1_3genE5ELNS1_11target_archE942ELNS1_3gpuE9ELNS1_3repE0EEENS1_30default_config_static_selectorELNS0_4arch9wavefront6targetE1EEEvT1_,"axG",@progbits,_ZN7rocprim17ROCPRIM_400000_NS6detail17trampoline_kernelINS0_14default_configENS1_25transform_config_selectorIsLb0EEEZNS1_14transform_implILb0ES3_S5_NS0_18transform_iteratorINS0_17counting_iteratorImlEEZNS1_24adjacent_difference_implIS3_Lb1ELb0EPsSB_N6thrust23THRUST_200600_302600_NS4plusIsEEEE10hipError_tPvRmT2_T3_mT4_P12ihipStream_tbEUlmE_sEESB_NS0_8identityIvEEEESG_SJ_SK_mSL_SN_bEUlT_E_NS1_11comp_targetILNS1_3genE5ELNS1_11target_archE942ELNS1_3gpuE9ELNS1_3repE0EEENS1_30default_config_static_selectorELNS0_4arch9wavefront6targetE1EEEvT1_,comdat
.Lfunc_end86:
	.size	_ZN7rocprim17ROCPRIM_400000_NS6detail17trampoline_kernelINS0_14default_configENS1_25transform_config_selectorIsLb0EEEZNS1_14transform_implILb0ES3_S5_NS0_18transform_iteratorINS0_17counting_iteratorImlEEZNS1_24adjacent_difference_implIS3_Lb1ELb0EPsSB_N6thrust23THRUST_200600_302600_NS4plusIsEEEE10hipError_tPvRmT2_T3_mT4_P12ihipStream_tbEUlmE_sEESB_NS0_8identityIvEEEESG_SJ_SK_mSL_SN_bEUlT_E_NS1_11comp_targetILNS1_3genE5ELNS1_11target_archE942ELNS1_3gpuE9ELNS1_3repE0EEENS1_30default_config_static_selectorELNS0_4arch9wavefront6targetE1EEEvT1_, .Lfunc_end86-_ZN7rocprim17ROCPRIM_400000_NS6detail17trampoline_kernelINS0_14default_configENS1_25transform_config_selectorIsLb0EEEZNS1_14transform_implILb0ES3_S5_NS0_18transform_iteratorINS0_17counting_iteratorImlEEZNS1_24adjacent_difference_implIS3_Lb1ELb0EPsSB_N6thrust23THRUST_200600_302600_NS4plusIsEEEE10hipError_tPvRmT2_T3_mT4_P12ihipStream_tbEUlmE_sEESB_NS0_8identityIvEEEESG_SJ_SK_mSL_SN_bEUlT_E_NS1_11comp_targetILNS1_3genE5ELNS1_11target_archE942ELNS1_3gpuE9ELNS1_3repE0EEENS1_30default_config_static_selectorELNS0_4arch9wavefront6targetE1EEEvT1_
                                        ; -- End function
	.section	.AMDGPU.csdata,"",@progbits
; Kernel info:
; codeLenInByte = 0
; NumSgprs: 4
; NumVgprs: 0
; NumAgprs: 0
; TotalNumVgprs: 0
; ScratchSize: 0
; MemoryBound: 0
; FloatMode: 240
; IeeeMode: 1
; LDSByteSize: 0 bytes/workgroup (compile time only)
; SGPRBlocks: 0
; VGPRBlocks: 0
; NumSGPRsForWavesPerEU: 4
; NumVGPRsForWavesPerEU: 1
; AccumOffset: 4
; Occupancy: 8
; WaveLimiterHint : 0
; COMPUTE_PGM_RSRC2:SCRATCH_EN: 0
; COMPUTE_PGM_RSRC2:USER_SGPR: 6
; COMPUTE_PGM_RSRC2:TRAP_HANDLER: 0
; COMPUTE_PGM_RSRC2:TGID_X_EN: 1
; COMPUTE_PGM_RSRC2:TGID_Y_EN: 0
; COMPUTE_PGM_RSRC2:TGID_Z_EN: 0
; COMPUTE_PGM_RSRC2:TIDIG_COMP_CNT: 0
; COMPUTE_PGM_RSRC3_GFX90A:ACCUM_OFFSET: 0
; COMPUTE_PGM_RSRC3_GFX90A:TG_SPLIT: 0
	.section	.text._ZN7rocprim17ROCPRIM_400000_NS6detail17trampoline_kernelINS0_14default_configENS1_25transform_config_selectorIsLb0EEEZNS1_14transform_implILb0ES3_S5_NS0_18transform_iteratorINS0_17counting_iteratorImlEEZNS1_24adjacent_difference_implIS3_Lb1ELb0EPsSB_N6thrust23THRUST_200600_302600_NS4plusIsEEEE10hipError_tPvRmT2_T3_mT4_P12ihipStream_tbEUlmE_sEESB_NS0_8identityIvEEEESG_SJ_SK_mSL_SN_bEUlT_E_NS1_11comp_targetILNS1_3genE4ELNS1_11target_archE910ELNS1_3gpuE8ELNS1_3repE0EEENS1_30default_config_static_selectorELNS0_4arch9wavefront6targetE1EEEvT1_,"axG",@progbits,_ZN7rocprim17ROCPRIM_400000_NS6detail17trampoline_kernelINS0_14default_configENS1_25transform_config_selectorIsLb0EEEZNS1_14transform_implILb0ES3_S5_NS0_18transform_iteratorINS0_17counting_iteratorImlEEZNS1_24adjacent_difference_implIS3_Lb1ELb0EPsSB_N6thrust23THRUST_200600_302600_NS4plusIsEEEE10hipError_tPvRmT2_T3_mT4_P12ihipStream_tbEUlmE_sEESB_NS0_8identityIvEEEESG_SJ_SK_mSL_SN_bEUlT_E_NS1_11comp_targetILNS1_3genE4ELNS1_11target_archE910ELNS1_3gpuE8ELNS1_3repE0EEENS1_30default_config_static_selectorELNS0_4arch9wavefront6targetE1EEEvT1_,comdat
	.protected	_ZN7rocprim17ROCPRIM_400000_NS6detail17trampoline_kernelINS0_14default_configENS1_25transform_config_selectorIsLb0EEEZNS1_14transform_implILb0ES3_S5_NS0_18transform_iteratorINS0_17counting_iteratorImlEEZNS1_24adjacent_difference_implIS3_Lb1ELb0EPsSB_N6thrust23THRUST_200600_302600_NS4plusIsEEEE10hipError_tPvRmT2_T3_mT4_P12ihipStream_tbEUlmE_sEESB_NS0_8identityIvEEEESG_SJ_SK_mSL_SN_bEUlT_E_NS1_11comp_targetILNS1_3genE4ELNS1_11target_archE910ELNS1_3gpuE8ELNS1_3repE0EEENS1_30default_config_static_selectorELNS0_4arch9wavefront6targetE1EEEvT1_ ; -- Begin function _ZN7rocprim17ROCPRIM_400000_NS6detail17trampoline_kernelINS0_14default_configENS1_25transform_config_selectorIsLb0EEEZNS1_14transform_implILb0ES3_S5_NS0_18transform_iteratorINS0_17counting_iteratorImlEEZNS1_24adjacent_difference_implIS3_Lb1ELb0EPsSB_N6thrust23THRUST_200600_302600_NS4plusIsEEEE10hipError_tPvRmT2_T3_mT4_P12ihipStream_tbEUlmE_sEESB_NS0_8identityIvEEEESG_SJ_SK_mSL_SN_bEUlT_E_NS1_11comp_targetILNS1_3genE4ELNS1_11target_archE910ELNS1_3gpuE8ELNS1_3repE0EEENS1_30default_config_static_selectorELNS0_4arch9wavefront6targetE1EEEvT1_
	.globl	_ZN7rocprim17ROCPRIM_400000_NS6detail17trampoline_kernelINS0_14default_configENS1_25transform_config_selectorIsLb0EEEZNS1_14transform_implILb0ES3_S5_NS0_18transform_iteratorINS0_17counting_iteratorImlEEZNS1_24adjacent_difference_implIS3_Lb1ELb0EPsSB_N6thrust23THRUST_200600_302600_NS4plusIsEEEE10hipError_tPvRmT2_T3_mT4_P12ihipStream_tbEUlmE_sEESB_NS0_8identityIvEEEESG_SJ_SK_mSL_SN_bEUlT_E_NS1_11comp_targetILNS1_3genE4ELNS1_11target_archE910ELNS1_3gpuE8ELNS1_3repE0EEENS1_30default_config_static_selectorELNS0_4arch9wavefront6targetE1EEEvT1_
	.p2align	8
	.type	_ZN7rocprim17ROCPRIM_400000_NS6detail17trampoline_kernelINS0_14default_configENS1_25transform_config_selectorIsLb0EEEZNS1_14transform_implILb0ES3_S5_NS0_18transform_iteratorINS0_17counting_iteratorImlEEZNS1_24adjacent_difference_implIS3_Lb1ELb0EPsSB_N6thrust23THRUST_200600_302600_NS4plusIsEEEE10hipError_tPvRmT2_T3_mT4_P12ihipStream_tbEUlmE_sEESB_NS0_8identityIvEEEESG_SJ_SK_mSL_SN_bEUlT_E_NS1_11comp_targetILNS1_3genE4ELNS1_11target_archE910ELNS1_3gpuE8ELNS1_3repE0EEENS1_30default_config_static_selectorELNS0_4arch9wavefront6targetE1EEEvT1_,@function
_ZN7rocprim17ROCPRIM_400000_NS6detail17trampoline_kernelINS0_14default_configENS1_25transform_config_selectorIsLb0EEEZNS1_14transform_implILb0ES3_S5_NS0_18transform_iteratorINS0_17counting_iteratorImlEEZNS1_24adjacent_difference_implIS3_Lb1ELb0EPsSB_N6thrust23THRUST_200600_302600_NS4plusIsEEEE10hipError_tPvRmT2_T3_mT4_P12ihipStream_tbEUlmE_sEESB_NS0_8identityIvEEEESG_SJ_SK_mSL_SN_bEUlT_E_NS1_11comp_targetILNS1_3genE4ELNS1_11target_archE910ELNS1_3gpuE8ELNS1_3repE0EEENS1_30default_config_static_selectorELNS0_4arch9wavefront6targetE1EEEvT1_: ; @_ZN7rocprim17ROCPRIM_400000_NS6detail17trampoline_kernelINS0_14default_configENS1_25transform_config_selectorIsLb0EEEZNS1_14transform_implILb0ES3_S5_NS0_18transform_iteratorINS0_17counting_iteratorImlEEZNS1_24adjacent_difference_implIS3_Lb1ELb0EPsSB_N6thrust23THRUST_200600_302600_NS4plusIsEEEE10hipError_tPvRmT2_T3_mT4_P12ihipStream_tbEUlmE_sEESB_NS0_8identityIvEEEESG_SJ_SK_mSL_SN_bEUlT_E_NS1_11comp_targetILNS1_3genE4ELNS1_11target_archE910ELNS1_3gpuE8ELNS1_3repE0EEENS1_30default_config_static_selectorELNS0_4arch9wavefront6targetE1EEEvT1_
; %bb.0:
	s_load_dwordx4 s[0:3], s[4:5], 0x18
	s_load_dwordx2 s[8:9], s[4:5], 0x28
	s_load_dwordx4 s[16:19], s[4:5], 0x0
	s_load_dword s22, s[4:5], 0x10
	s_waitcnt lgkmcnt(0)
	s_load_dword s3, s[4:5], 0x38
                                        ; kill: killed $sgpr4_sgpr5
	s_lshl_b64 s[4:5], s[0:1], 1
	s_add_u32 s26, s8, s4
	s_addc_u32 s27, s9, s5
	s_lshl_b32 s20, s6, 9
	s_waitcnt lgkmcnt(0)
	s_add_i32 s3, s3, -1
	s_add_u32 s4, s16, s20
	s_addc_u32 s5, s17, 0
	s_add_u32 s28, s4, s0
	s_addc_u32 s29, s5, s1
	s_mov_b32 s21, 0
	s_cmp_lg_u32 s6, s3
	v_lshlrev_b32_e32 v1, 1, v0
	s_cbranch_scc0 .LBB87_2
; %bb.1:
	v_mov_b32_e32 v2, s29
	v_add_co_u32_e32 v3, vcc, s28, v0
	v_addc_co_u32_e32 v5, vcc, 0, v2, vcc
	v_mad_u64_u32 v[2:3], s[0:1], v3, s22, 0
	v_mov_b32_e32 v4, v3
	v_mad_u64_u32 v[4:5], s[0:1], v5, s22, v[4:5]
	v_mov_b32_e32 v3, v4
	v_lshlrev_b64 v[2:3], 1, v[2:3]
	s_mov_b32 s23, s21
	v_mov_b32_e32 v4, s19
	v_add_co_u32_e32 v2, vcc, s18, v2
	v_addc_co_u32_e32 v3, vcc, v4, v3, vcc
	s_lshl_b64 s[0:1], s[22:23], 7
	v_mov_b32_e32 v12, s1
	v_add_co_u32_e32 v4, vcc, s0, v2
	v_addc_co_u32_e32 v5, vcc, v3, v12, vcc
	v_add_co_u32_e32 v6, vcc, s0, v4
	v_addc_co_u32_e32 v7, vcc, v5, v12, vcc
	;; [unrolled: 2-line block ×4, first 2 shown]
	global_load_ushort v13, v[2:3], off
	global_load_ushort v14, v[4:5], off
	;; [unrolled: 1-line block ×5, first 2 shown]
	v_add_co_u32_e32 v2, vcc, s0, v10
	v_addc_co_u32_e32 v3, vcc, v11, v12, vcc
	global_load_ushort v4, v[2:3], off
	v_add_co_u32_e32 v2, vcc, s0, v2
	v_addc_co_u32_e32 v3, vcc, v3, v12, vcc
	global_load_ushort v5, v[2:3], off
	;; [unrolled: 3-line block ×3, first 2 shown]
	s_lshl_b64 s[4:5], s[20:21], 1
	s_add_u32 s4, s26, s4
	s_addc_u32 s5, s27, s5
	v_mov_b32_e32 v3, s5
	v_add_co_u32_e32 v6, vcc, s4, v1
	v_addc_co_u32_e32 v7, vcc, 0, v3, vcc
	s_mov_b64 s[16:17], -1
	s_waitcnt vmcnt(7)
	global_store_short v1, v13, s[4:5]
	s_waitcnt vmcnt(7)
	global_store_short v1, v14, s[4:5] offset:128
	s_waitcnt vmcnt(7)
	global_store_short v1, v15, s[4:5] offset:256
	;; [unrolled: 2-line block ×6, first 2 shown]
	s_cbranch_execz .LBB87_3
	s_branch .LBB87_32
.LBB87_2:
	s_mov_b64 s[16:17], 0
                                        ; implicit-def: $vgpr2
                                        ; implicit-def: $vgpr6_vgpr7
.LBB87_3:
	s_sub_i32 s23, s2, s20
	v_cmp_gt_u32_e32 vcc, s23, v0
                                        ; implicit-def: $vgpr2_vgpr3_vgpr4_vgpr5
	s_and_saveexec_b64 s[2:3], vcc
	s_cbranch_execz .LBB87_5
; %bb.4:
	s_waitcnt vmcnt(7)
	v_mov_b32_e32 v2, s29
	v_add_co_u32_e64 v3, s[0:1], s28, v0
	v_addc_co_u32_e64 v5, s[0:1], 0, v2, s[0:1]
	v_mad_u64_u32 v[2:3], s[0:1], v3, s22, 0
	v_mov_b32_e32 v4, v3
	v_mad_u64_u32 v[4:5], s[0:1], v5, s22, v[4:5]
	v_mov_b32_e32 v3, v4
	v_lshlrev_b64 v[2:3], 1, v[2:3]
	v_mov_b32_e32 v4, s19
	v_add_co_u32_e64 v2, s[0:1], s18, v2
	v_addc_co_u32_e64 v3, s[0:1], v4, v3, s[0:1]
	global_load_ushort v2, v[2:3], off
.LBB87_5:
	s_or_b64 exec, exec, s[2:3]
	v_or_b32_e32 v6, 64, v0
	v_cmp_gt_u32_e64 s[0:1], s23, v6
	s_and_saveexec_b64 s[4:5], s[0:1]
	s_cbranch_execz .LBB87_7
; %bb.6:
	v_mov_b32_e32 v7, s29
	v_add_co_u32_e64 v6, s[2:3], s28, v6
	v_addc_co_u32_e64 v9, s[2:3], 0, v7, s[2:3]
	v_mad_u64_u32 v[6:7], s[2:3], v6, s22, 0
	v_mov_b32_e32 v8, v7
	v_mad_u64_u32 v[8:9], s[2:3], v9, s22, v[8:9]
	v_mov_b32_e32 v7, v8
	v_lshlrev_b64 v[6:7], 1, v[6:7]
	v_mov_b32_e32 v8, s19
	v_add_co_u32_e64 v6, s[2:3], s18, v6
	v_addc_co_u32_e64 v7, s[2:3], v8, v7, s[2:3]
	global_load_ushort v6, v[6:7], off
	s_mov_b32 s2, 0x5040100
	s_waitcnt vmcnt(0)
	v_perm_b32 v2, v6, v2, s2
.LBB87_7:
	s_or_b64 exec, exec, s[4:5]
	v_or_b32_e32 v6, 0x80, v0
	v_cmp_gt_u32_e64 s[2:3], s23, v6
	s_and_saveexec_b64 s[6:7], s[2:3]
	s_cbranch_execz .LBB87_9
; %bb.8:
	v_mov_b32_e32 v7, s29
	v_add_co_u32_e64 v6, s[4:5], s28, v6
	v_addc_co_u32_e64 v9, s[4:5], 0, v7, s[4:5]
	v_mad_u64_u32 v[6:7], s[4:5], v6, s22, 0
	v_mov_b32_e32 v8, v7
	v_mad_u64_u32 v[8:9], s[4:5], v9, s22, v[8:9]
	v_mov_b32_e32 v7, v8
	v_lshlrev_b64 v[6:7], 1, v[6:7]
	v_mov_b32_e32 v8, s19
	v_add_co_u32_e64 v6, s[4:5], s18, v6
	v_addc_co_u32_e64 v7, s[4:5], v8, v7, s[4:5]
	global_load_ushort v6, v[6:7], off
	s_mov_b32 s4, 0xffff
	s_waitcnt vmcnt(0)
	v_bfi_b32 v3, s4, v6, v3
.LBB87_9:
	s_or_b64 exec, exec, s[6:7]
	v_or_b32_e32 v6, 0xc0, v0
	v_cmp_gt_u32_e64 s[4:5], s23, v6
	s_and_saveexec_b64 s[8:9], s[4:5]
	s_cbranch_execz .LBB87_11
; %bb.10:
	v_mov_b32_e32 v7, s29
	v_add_co_u32_e64 v6, s[6:7], s28, v6
	v_addc_co_u32_e64 v9, s[6:7], 0, v7, s[6:7]
	v_mad_u64_u32 v[6:7], s[6:7], v6, s22, 0
	v_mov_b32_e32 v8, v7
	v_mad_u64_u32 v[8:9], s[6:7], v9, s22, v[8:9]
	v_mov_b32_e32 v7, v8
	v_lshlrev_b64 v[6:7], 1, v[6:7]
	v_mov_b32_e32 v8, s19
	v_add_co_u32_e64 v6, s[6:7], s18, v6
	v_addc_co_u32_e64 v7, s[6:7], v8, v7, s[6:7]
	global_load_ushort v6, v[6:7], off
	s_mov_b32 s6, 0x5040100
	s_waitcnt vmcnt(0)
	v_perm_b32 v3, v6, v3, s6
.LBB87_11:
	s_or_b64 exec, exec, s[8:9]
	v_or_b32_e32 v6, 0x100, v0
	v_cmp_gt_u32_e64 s[6:7], s23, v6
	s_and_saveexec_b64 s[10:11], s[6:7]
	s_cbranch_execz .LBB87_13
; %bb.12:
	v_mov_b32_e32 v7, s29
	v_add_co_u32_e64 v6, s[8:9], s28, v6
	v_addc_co_u32_e64 v9, s[8:9], 0, v7, s[8:9]
	v_mad_u64_u32 v[6:7], s[8:9], v6, s22, 0
	v_mov_b32_e32 v8, v7
	v_mad_u64_u32 v[8:9], s[8:9], v9, s22, v[8:9]
	v_mov_b32_e32 v7, v8
	v_lshlrev_b64 v[6:7], 1, v[6:7]
	v_mov_b32_e32 v8, s19
	v_add_co_u32_e64 v6, s[8:9], s18, v6
	v_addc_co_u32_e64 v7, s[8:9], v8, v7, s[8:9]
	global_load_ushort v6, v[6:7], off
	s_mov_b32 s8, 0xffff
	s_waitcnt vmcnt(0)
	v_bfi_b32 v4, s8, v6, v4
.LBB87_13:
	;; [unrolled: 44-line block ×3, first 2 shown]
	s_or_b64 exec, exec, s[14:15]
	v_or_b32_e32 v0, 0x1c0, v0
	v_cmp_gt_u32_e64 s[12:13], s23, v0
	s_and_saveexec_b64 s[24:25], s[12:13]
	s_cbranch_execz .LBB87_19
; %bb.18:
	v_mov_b32_e32 v6, s29
	v_add_co_u32_e64 v0, s[14:15], s28, v0
	v_addc_co_u32_e64 v8, s[14:15], 0, v6, s[14:15]
	v_mad_u64_u32 v[6:7], s[14:15], v0, s22, 0
	v_mov_b32_e32 v0, v7
	v_mad_u64_u32 v[8:9], s[14:15], v8, s22, v[0:1]
	v_mov_b32_e32 v7, v8
	v_lshlrev_b64 v[6:7], 1, v[6:7]
	v_mov_b32_e32 v0, s19
	v_add_co_u32_e64 v6, s[14:15], s18, v6
	v_addc_co_u32_e64 v7, s[14:15], v0, v7, s[14:15]
	global_load_ushort v0, v[6:7], off
	s_mov_b32 s14, 0x5040100
	s_waitcnt vmcnt(0)
	v_perm_b32 v5, v0, v5, s14
.LBB87_19:
	s_or_b64 exec, exec, s[24:25]
	s_lshl_b64 s[14:15], s[20:21], 1
	s_add_u32 s14, s26, s14
	s_addc_u32 s15, s27, s15
	v_mov_b32_e32 v0, s15
	v_add_co_u32_e64 v6, s[14:15], s14, v1
	v_addc_co_u32_e64 v7, s[14:15], 0, v0, s[14:15]
	s_and_saveexec_b64 s[14:15], vcc
	s_cbranch_execnz .LBB87_35
; %bb.20:
	s_or_b64 exec, exec, s[14:15]
	s_and_saveexec_b64 s[14:15], s[0:1]
	s_cbranch_execnz .LBB87_36
.LBB87_21:
	s_or_b64 exec, exec, s[14:15]
	s_mov_b32 s14, 0xffff
	s_and_saveexec_b64 s[0:1], s[2:3]
	s_cbranch_execz .LBB87_23
.LBB87_22:
	global_store_short v[6:7], v3, off offset:256
.LBB87_23:
	s_or_b64 exec, exec, s[0:1]
	v_bfi_b32 v0, s14, v3, v3
	v_cndmask_b32_e64 v0, v0, v3, s[4:5]
	s_and_saveexec_b64 s[0:1], s[4:5]
	s_cbranch_execz .LBB87_25
; %bb.24:
	global_store_short_d16_hi v[6:7], v0, off offset:384
.LBB87_25:
	s_or_b64 exec, exec, s[0:1]
	s_mov_b32 s2, 0xffff
	v_cndmask_b32_e64 v0, v4, v4, s[6:7]
	s_and_saveexec_b64 s[0:1], s[6:7]
	s_cbranch_execz .LBB87_27
; %bb.26:
	global_store_short v[6:7], v0, off offset:512
.LBB87_27:
	s_or_b64 exec, exec, s[0:1]
	v_bfi_b32 v0, s2, v0, v4
	v_cndmask_b32_e64 v0, v0, v4, s[8:9]
	s_and_saveexec_b64 s[0:1], s[8:9]
	s_cbranch_execnz .LBB87_37
; %bb.28:
	s_or_b64 exec, exec, s[0:1]
	s_and_saveexec_b64 s[0:1], s[10:11]
	s_cbranch_execnz .LBB87_38
.LBB87_29:
	s_or_b64 exec, exec, s[0:1]
                                        ; implicit-def: $vgpr2
	s_and_saveexec_b64 s[0:1], s[12:13]
	s_cbranch_execz .LBB87_31
.LBB87_30:
	v_cndmask_b32_e64 v0, v5, v5, s[12:13]
	s_waitcnt vmcnt(0)
	v_lshrrev_b32_e32 v2, 16, v0
	s_or_b64 s[16:17], s[16:17], exec
.LBB87_31:
	s_or_b64 exec, exec, s[0:1]
.LBB87_32:
	s_and_saveexec_b64 s[0:1], s[16:17]
	s_cbranch_execnz .LBB87_34
; %bb.33:
	s_endpgm
.LBB87_34:
	s_waitcnt vmcnt(0)
	global_store_short v[6:7], v2, off offset:896
	s_endpgm
.LBB87_35:
	s_waitcnt vmcnt(0)
	global_store_short v[6:7], v2, off
	s_or_b64 exec, exec, s[14:15]
	s_and_saveexec_b64 s[14:15], s[0:1]
	s_cbranch_execz .LBB87_21
.LBB87_36:
	s_waitcnt vmcnt(0)
	global_store_short_d16_hi v[6:7], v2, off offset:128
	s_or_b64 exec, exec, s[14:15]
	s_mov_b32 s14, 0xffff
	s_and_saveexec_b64 s[0:1], s[2:3]
	s_cbranch_execnz .LBB87_22
	s_branch .LBB87_23
.LBB87_37:
	global_store_short_d16_hi v[6:7], v0, off offset:640
	s_or_b64 exec, exec, s[0:1]
	s_and_saveexec_b64 s[0:1], s[10:11]
	s_cbranch_execz .LBB87_29
.LBB87_38:
	v_cndmask_b32_e64 v0, v5, v5, s[10:11]
	global_store_short v[6:7], v0, off offset:768
	s_or_b64 exec, exec, s[0:1]
                                        ; implicit-def: $vgpr2
	s_and_saveexec_b64 s[0:1], s[12:13]
	s_cbranch_execnz .LBB87_30
	s_branch .LBB87_31
	.section	.rodata,"a",@progbits
	.p2align	6, 0x0
	.amdhsa_kernel _ZN7rocprim17ROCPRIM_400000_NS6detail17trampoline_kernelINS0_14default_configENS1_25transform_config_selectorIsLb0EEEZNS1_14transform_implILb0ES3_S5_NS0_18transform_iteratorINS0_17counting_iteratorImlEEZNS1_24adjacent_difference_implIS3_Lb1ELb0EPsSB_N6thrust23THRUST_200600_302600_NS4plusIsEEEE10hipError_tPvRmT2_T3_mT4_P12ihipStream_tbEUlmE_sEESB_NS0_8identityIvEEEESG_SJ_SK_mSL_SN_bEUlT_E_NS1_11comp_targetILNS1_3genE4ELNS1_11target_archE910ELNS1_3gpuE8ELNS1_3repE0EEENS1_30default_config_static_selectorELNS0_4arch9wavefront6targetE1EEEvT1_
		.amdhsa_group_segment_fixed_size 0
		.amdhsa_private_segment_fixed_size 0
		.amdhsa_kernarg_size 312
		.amdhsa_user_sgpr_count 6
		.amdhsa_user_sgpr_private_segment_buffer 1
		.amdhsa_user_sgpr_dispatch_ptr 0
		.amdhsa_user_sgpr_queue_ptr 0
		.amdhsa_user_sgpr_kernarg_segment_ptr 1
		.amdhsa_user_sgpr_dispatch_id 0
		.amdhsa_user_sgpr_flat_scratch_init 0
		.amdhsa_user_sgpr_kernarg_preload_length 0
		.amdhsa_user_sgpr_kernarg_preload_offset 0
		.amdhsa_user_sgpr_private_segment_size 0
		.amdhsa_uses_dynamic_stack 0
		.amdhsa_system_sgpr_private_segment_wavefront_offset 0
		.amdhsa_system_sgpr_workgroup_id_x 1
		.amdhsa_system_sgpr_workgroup_id_y 0
		.amdhsa_system_sgpr_workgroup_id_z 0
		.amdhsa_system_sgpr_workgroup_info 0
		.amdhsa_system_vgpr_workitem_id 0
		.amdhsa_next_free_vgpr 18
		.amdhsa_next_free_sgpr 30
		.amdhsa_accum_offset 20
		.amdhsa_reserve_vcc 1
		.amdhsa_reserve_flat_scratch 0
		.amdhsa_float_round_mode_32 0
		.amdhsa_float_round_mode_16_64 0
		.amdhsa_float_denorm_mode_32 3
		.amdhsa_float_denorm_mode_16_64 3
		.amdhsa_dx10_clamp 1
		.amdhsa_ieee_mode 1
		.amdhsa_fp16_overflow 0
		.amdhsa_tg_split 0
		.amdhsa_exception_fp_ieee_invalid_op 0
		.amdhsa_exception_fp_denorm_src 0
		.amdhsa_exception_fp_ieee_div_zero 0
		.amdhsa_exception_fp_ieee_overflow 0
		.amdhsa_exception_fp_ieee_underflow 0
		.amdhsa_exception_fp_ieee_inexact 0
		.amdhsa_exception_int_div_zero 0
	.end_amdhsa_kernel
	.section	.text._ZN7rocprim17ROCPRIM_400000_NS6detail17trampoline_kernelINS0_14default_configENS1_25transform_config_selectorIsLb0EEEZNS1_14transform_implILb0ES3_S5_NS0_18transform_iteratorINS0_17counting_iteratorImlEEZNS1_24adjacent_difference_implIS3_Lb1ELb0EPsSB_N6thrust23THRUST_200600_302600_NS4plusIsEEEE10hipError_tPvRmT2_T3_mT4_P12ihipStream_tbEUlmE_sEESB_NS0_8identityIvEEEESG_SJ_SK_mSL_SN_bEUlT_E_NS1_11comp_targetILNS1_3genE4ELNS1_11target_archE910ELNS1_3gpuE8ELNS1_3repE0EEENS1_30default_config_static_selectorELNS0_4arch9wavefront6targetE1EEEvT1_,"axG",@progbits,_ZN7rocprim17ROCPRIM_400000_NS6detail17trampoline_kernelINS0_14default_configENS1_25transform_config_selectorIsLb0EEEZNS1_14transform_implILb0ES3_S5_NS0_18transform_iteratorINS0_17counting_iteratorImlEEZNS1_24adjacent_difference_implIS3_Lb1ELb0EPsSB_N6thrust23THRUST_200600_302600_NS4plusIsEEEE10hipError_tPvRmT2_T3_mT4_P12ihipStream_tbEUlmE_sEESB_NS0_8identityIvEEEESG_SJ_SK_mSL_SN_bEUlT_E_NS1_11comp_targetILNS1_3genE4ELNS1_11target_archE910ELNS1_3gpuE8ELNS1_3repE0EEENS1_30default_config_static_selectorELNS0_4arch9wavefront6targetE1EEEvT1_,comdat
.Lfunc_end87:
	.size	_ZN7rocprim17ROCPRIM_400000_NS6detail17trampoline_kernelINS0_14default_configENS1_25transform_config_selectorIsLb0EEEZNS1_14transform_implILb0ES3_S5_NS0_18transform_iteratorINS0_17counting_iteratorImlEEZNS1_24adjacent_difference_implIS3_Lb1ELb0EPsSB_N6thrust23THRUST_200600_302600_NS4plusIsEEEE10hipError_tPvRmT2_T3_mT4_P12ihipStream_tbEUlmE_sEESB_NS0_8identityIvEEEESG_SJ_SK_mSL_SN_bEUlT_E_NS1_11comp_targetILNS1_3genE4ELNS1_11target_archE910ELNS1_3gpuE8ELNS1_3repE0EEENS1_30default_config_static_selectorELNS0_4arch9wavefront6targetE1EEEvT1_, .Lfunc_end87-_ZN7rocprim17ROCPRIM_400000_NS6detail17trampoline_kernelINS0_14default_configENS1_25transform_config_selectorIsLb0EEEZNS1_14transform_implILb0ES3_S5_NS0_18transform_iteratorINS0_17counting_iteratorImlEEZNS1_24adjacent_difference_implIS3_Lb1ELb0EPsSB_N6thrust23THRUST_200600_302600_NS4plusIsEEEE10hipError_tPvRmT2_T3_mT4_P12ihipStream_tbEUlmE_sEESB_NS0_8identityIvEEEESG_SJ_SK_mSL_SN_bEUlT_E_NS1_11comp_targetILNS1_3genE4ELNS1_11target_archE910ELNS1_3gpuE8ELNS1_3repE0EEENS1_30default_config_static_selectorELNS0_4arch9wavefront6targetE1EEEvT1_
                                        ; -- End function
	.section	.AMDGPU.csdata,"",@progbits
; Kernel info:
; codeLenInByte = 1776
; NumSgprs: 34
; NumVgprs: 18
; NumAgprs: 0
; TotalNumVgprs: 18
; ScratchSize: 0
; MemoryBound: 0
; FloatMode: 240
; IeeeMode: 1
; LDSByteSize: 0 bytes/workgroup (compile time only)
; SGPRBlocks: 4
; VGPRBlocks: 2
; NumSGPRsForWavesPerEU: 34
; NumVGPRsForWavesPerEU: 18
; AccumOffset: 20
; Occupancy: 8
; WaveLimiterHint : 1
; COMPUTE_PGM_RSRC2:SCRATCH_EN: 0
; COMPUTE_PGM_RSRC2:USER_SGPR: 6
; COMPUTE_PGM_RSRC2:TRAP_HANDLER: 0
; COMPUTE_PGM_RSRC2:TGID_X_EN: 1
; COMPUTE_PGM_RSRC2:TGID_Y_EN: 0
; COMPUTE_PGM_RSRC2:TGID_Z_EN: 0
; COMPUTE_PGM_RSRC2:TIDIG_COMP_CNT: 0
; COMPUTE_PGM_RSRC3_GFX90A:ACCUM_OFFSET: 4
; COMPUTE_PGM_RSRC3_GFX90A:TG_SPLIT: 0
	.section	.text._ZN7rocprim17ROCPRIM_400000_NS6detail17trampoline_kernelINS0_14default_configENS1_25transform_config_selectorIsLb0EEEZNS1_14transform_implILb0ES3_S5_NS0_18transform_iteratorINS0_17counting_iteratorImlEEZNS1_24adjacent_difference_implIS3_Lb1ELb0EPsSB_N6thrust23THRUST_200600_302600_NS4plusIsEEEE10hipError_tPvRmT2_T3_mT4_P12ihipStream_tbEUlmE_sEESB_NS0_8identityIvEEEESG_SJ_SK_mSL_SN_bEUlT_E_NS1_11comp_targetILNS1_3genE3ELNS1_11target_archE908ELNS1_3gpuE7ELNS1_3repE0EEENS1_30default_config_static_selectorELNS0_4arch9wavefront6targetE1EEEvT1_,"axG",@progbits,_ZN7rocprim17ROCPRIM_400000_NS6detail17trampoline_kernelINS0_14default_configENS1_25transform_config_selectorIsLb0EEEZNS1_14transform_implILb0ES3_S5_NS0_18transform_iteratorINS0_17counting_iteratorImlEEZNS1_24adjacent_difference_implIS3_Lb1ELb0EPsSB_N6thrust23THRUST_200600_302600_NS4plusIsEEEE10hipError_tPvRmT2_T3_mT4_P12ihipStream_tbEUlmE_sEESB_NS0_8identityIvEEEESG_SJ_SK_mSL_SN_bEUlT_E_NS1_11comp_targetILNS1_3genE3ELNS1_11target_archE908ELNS1_3gpuE7ELNS1_3repE0EEENS1_30default_config_static_selectorELNS0_4arch9wavefront6targetE1EEEvT1_,comdat
	.protected	_ZN7rocprim17ROCPRIM_400000_NS6detail17trampoline_kernelINS0_14default_configENS1_25transform_config_selectorIsLb0EEEZNS1_14transform_implILb0ES3_S5_NS0_18transform_iteratorINS0_17counting_iteratorImlEEZNS1_24adjacent_difference_implIS3_Lb1ELb0EPsSB_N6thrust23THRUST_200600_302600_NS4plusIsEEEE10hipError_tPvRmT2_T3_mT4_P12ihipStream_tbEUlmE_sEESB_NS0_8identityIvEEEESG_SJ_SK_mSL_SN_bEUlT_E_NS1_11comp_targetILNS1_3genE3ELNS1_11target_archE908ELNS1_3gpuE7ELNS1_3repE0EEENS1_30default_config_static_selectorELNS0_4arch9wavefront6targetE1EEEvT1_ ; -- Begin function _ZN7rocprim17ROCPRIM_400000_NS6detail17trampoline_kernelINS0_14default_configENS1_25transform_config_selectorIsLb0EEEZNS1_14transform_implILb0ES3_S5_NS0_18transform_iteratorINS0_17counting_iteratorImlEEZNS1_24adjacent_difference_implIS3_Lb1ELb0EPsSB_N6thrust23THRUST_200600_302600_NS4plusIsEEEE10hipError_tPvRmT2_T3_mT4_P12ihipStream_tbEUlmE_sEESB_NS0_8identityIvEEEESG_SJ_SK_mSL_SN_bEUlT_E_NS1_11comp_targetILNS1_3genE3ELNS1_11target_archE908ELNS1_3gpuE7ELNS1_3repE0EEENS1_30default_config_static_selectorELNS0_4arch9wavefront6targetE1EEEvT1_
	.globl	_ZN7rocprim17ROCPRIM_400000_NS6detail17trampoline_kernelINS0_14default_configENS1_25transform_config_selectorIsLb0EEEZNS1_14transform_implILb0ES3_S5_NS0_18transform_iteratorINS0_17counting_iteratorImlEEZNS1_24adjacent_difference_implIS3_Lb1ELb0EPsSB_N6thrust23THRUST_200600_302600_NS4plusIsEEEE10hipError_tPvRmT2_T3_mT4_P12ihipStream_tbEUlmE_sEESB_NS0_8identityIvEEEESG_SJ_SK_mSL_SN_bEUlT_E_NS1_11comp_targetILNS1_3genE3ELNS1_11target_archE908ELNS1_3gpuE7ELNS1_3repE0EEENS1_30default_config_static_selectorELNS0_4arch9wavefront6targetE1EEEvT1_
	.p2align	8
	.type	_ZN7rocprim17ROCPRIM_400000_NS6detail17trampoline_kernelINS0_14default_configENS1_25transform_config_selectorIsLb0EEEZNS1_14transform_implILb0ES3_S5_NS0_18transform_iteratorINS0_17counting_iteratorImlEEZNS1_24adjacent_difference_implIS3_Lb1ELb0EPsSB_N6thrust23THRUST_200600_302600_NS4plusIsEEEE10hipError_tPvRmT2_T3_mT4_P12ihipStream_tbEUlmE_sEESB_NS0_8identityIvEEEESG_SJ_SK_mSL_SN_bEUlT_E_NS1_11comp_targetILNS1_3genE3ELNS1_11target_archE908ELNS1_3gpuE7ELNS1_3repE0EEENS1_30default_config_static_selectorELNS0_4arch9wavefront6targetE1EEEvT1_,@function
_ZN7rocprim17ROCPRIM_400000_NS6detail17trampoline_kernelINS0_14default_configENS1_25transform_config_selectorIsLb0EEEZNS1_14transform_implILb0ES3_S5_NS0_18transform_iteratorINS0_17counting_iteratorImlEEZNS1_24adjacent_difference_implIS3_Lb1ELb0EPsSB_N6thrust23THRUST_200600_302600_NS4plusIsEEEE10hipError_tPvRmT2_T3_mT4_P12ihipStream_tbEUlmE_sEESB_NS0_8identityIvEEEESG_SJ_SK_mSL_SN_bEUlT_E_NS1_11comp_targetILNS1_3genE3ELNS1_11target_archE908ELNS1_3gpuE7ELNS1_3repE0EEENS1_30default_config_static_selectorELNS0_4arch9wavefront6targetE1EEEvT1_: ; @_ZN7rocprim17ROCPRIM_400000_NS6detail17trampoline_kernelINS0_14default_configENS1_25transform_config_selectorIsLb0EEEZNS1_14transform_implILb0ES3_S5_NS0_18transform_iteratorINS0_17counting_iteratorImlEEZNS1_24adjacent_difference_implIS3_Lb1ELb0EPsSB_N6thrust23THRUST_200600_302600_NS4plusIsEEEE10hipError_tPvRmT2_T3_mT4_P12ihipStream_tbEUlmE_sEESB_NS0_8identityIvEEEESG_SJ_SK_mSL_SN_bEUlT_E_NS1_11comp_targetILNS1_3genE3ELNS1_11target_archE908ELNS1_3gpuE7ELNS1_3repE0EEENS1_30default_config_static_selectorELNS0_4arch9wavefront6targetE1EEEvT1_
; %bb.0:
	.section	.rodata,"a",@progbits
	.p2align	6, 0x0
	.amdhsa_kernel _ZN7rocprim17ROCPRIM_400000_NS6detail17trampoline_kernelINS0_14default_configENS1_25transform_config_selectorIsLb0EEEZNS1_14transform_implILb0ES3_S5_NS0_18transform_iteratorINS0_17counting_iteratorImlEEZNS1_24adjacent_difference_implIS3_Lb1ELb0EPsSB_N6thrust23THRUST_200600_302600_NS4plusIsEEEE10hipError_tPvRmT2_T3_mT4_P12ihipStream_tbEUlmE_sEESB_NS0_8identityIvEEEESG_SJ_SK_mSL_SN_bEUlT_E_NS1_11comp_targetILNS1_3genE3ELNS1_11target_archE908ELNS1_3gpuE7ELNS1_3repE0EEENS1_30default_config_static_selectorELNS0_4arch9wavefront6targetE1EEEvT1_
		.amdhsa_group_segment_fixed_size 0
		.amdhsa_private_segment_fixed_size 0
		.amdhsa_kernarg_size 56
		.amdhsa_user_sgpr_count 6
		.amdhsa_user_sgpr_private_segment_buffer 1
		.amdhsa_user_sgpr_dispatch_ptr 0
		.amdhsa_user_sgpr_queue_ptr 0
		.amdhsa_user_sgpr_kernarg_segment_ptr 1
		.amdhsa_user_sgpr_dispatch_id 0
		.amdhsa_user_sgpr_flat_scratch_init 0
		.amdhsa_user_sgpr_kernarg_preload_length 0
		.amdhsa_user_sgpr_kernarg_preload_offset 0
		.amdhsa_user_sgpr_private_segment_size 0
		.amdhsa_uses_dynamic_stack 0
		.amdhsa_system_sgpr_private_segment_wavefront_offset 0
		.amdhsa_system_sgpr_workgroup_id_x 1
		.amdhsa_system_sgpr_workgroup_id_y 0
		.amdhsa_system_sgpr_workgroup_id_z 0
		.amdhsa_system_sgpr_workgroup_info 0
		.amdhsa_system_vgpr_workitem_id 0
		.amdhsa_next_free_vgpr 1
		.amdhsa_next_free_sgpr 0
		.amdhsa_accum_offset 4
		.amdhsa_reserve_vcc 0
		.amdhsa_reserve_flat_scratch 0
		.amdhsa_float_round_mode_32 0
		.amdhsa_float_round_mode_16_64 0
		.amdhsa_float_denorm_mode_32 3
		.amdhsa_float_denorm_mode_16_64 3
		.amdhsa_dx10_clamp 1
		.amdhsa_ieee_mode 1
		.amdhsa_fp16_overflow 0
		.amdhsa_tg_split 0
		.amdhsa_exception_fp_ieee_invalid_op 0
		.amdhsa_exception_fp_denorm_src 0
		.amdhsa_exception_fp_ieee_div_zero 0
		.amdhsa_exception_fp_ieee_overflow 0
		.amdhsa_exception_fp_ieee_underflow 0
		.amdhsa_exception_fp_ieee_inexact 0
		.amdhsa_exception_int_div_zero 0
	.end_amdhsa_kernel
	.section	.text._ZN7rocprim17ROCPRIM_400000_NS6detail17trampoline_kernelINS0_14default_configENS1_25transform_config_selectorIsLb0EEEZNS1_14transform_implILb0ES3_S5_NS0_18transform_iteratorINS0_17counting_iteratorImlEEZNS1_24adjacent_difference_implIS3_Lb1ELb0EPsSB_N6thrust23THRUST_200600_302600_NS4plusIsEEEE10hipError_tPvRmT2_T3_mT4_P12ihipStream_tbEUlmE_sEESB_NS0_8identityIvEEEESG_SJ_SK_mSL_SN_bEUlT_E_NS1_11comp_targetILNS1_3genE3ELNS1_11target_archE908ELNS1_3gpuE7ELNS1_3repE0EEENS1_30default_config_static_selectorELNS0_4arch9wavefront6targetE1EEEvT1_,"axG",@progbits,_ZN7rocprim17ROCPRIM_400000_NS6detail17trampoline_kernelINS0_14default_configENS1_25transform_config_selectorIsLb0EEEZNS1_14transform_implILb0ES3_S5_NS0_18transform_iteratorINS0_17counting_iteratorImlEEZNS1_24adjacent_difference_implIS3_Lb1ELb0EPsSB_N6thrust23THRUST_200600_302600_NS4plusIsEEEE10hipError_tPvRmT2_T3_mT4_P12ihipStream_tbEUlmE_sEESB_NS0_8identityIvEEEESG_SJ_SK_mSL_SN_bEUlT_E_NS1_11comp_targetILNS1_3genE3ELNS1_11target_archE908ELNS1_3gpuE7ELNS1_3repE0EEENS1_30default_config_static_selectorELNS0_4arch9wavefront6targetE1EEEvT1_,comdat
.Lfunc_end88:
	.size	_ZN7rocprim17ROCPRIM_400000_NS6detail17trampoline_kernelINS0_14default_configENS1_25transform_config_selectorIsLb0EEEZNS1_14transform_implILb0ES3_S5_NS0_18transform_iteratorINS0_17counting_iteratorImlEEZNS1_24adjacent_difference_implIS3_Lb1ELb0EPsSB_N6thrust23THRUST_200600_302600_NS4plusIsEEEE10hipError_tPvRmT2_T3_mT4_P12ihipStream_tbEUlmE_sEESB_NS0_8identityIvEEEESG_SJ_SK_mSL_SN_bEUlT_E_NS1_11comp_targetILNS1_3genE3ELNS1_11target_archE908ELNS1_3gpuE7ELNS1_3repE0EEENS1_30default_config_static_selectorELNS0_4arch9wavefront6targetE1EEEvT1_, .Lfunc_end88-_ZN7rocprim17ROCPRIM_400000_NS6detail17trampoline_kernelINS0_14default_configENS1_25transform_config_selectorIsLb0EEEZNS1_14transform_implILb0ES3_S5_NS0_18transform_iteratorINS0_17counting_iteratorImlEEZNS1_24adjacent_difference_implIS3_Lb1ELb0EPsSB_N6thrust23THRUST_200600_302600_NS4plusIsEEEE10hipError_tPvRmT2_T3_mT4_P12ihipStream_tbEUlmE_sEESB_NS0_8identityIvEEEESG_SJ_SK_mSL_SN_bEUlT_E_NS1_11comp_targetILNS1_3genE3ELNS1_11target_archE908ELNS1_3gpuE7ELNS1_3repE0EEENS1_30default_config_static_selectorELNS0_4arch9wavefront6targetE1EEEvT1_
                                        ; -- End function
	.section	.AMDGPU.csdata,"",@progbits
; Kernel info:
; codeLenInByte = 0
; NumSgprs: 4
; NumVgprs: 0
; NumAgprs: 0
; TotalNumVgprs: 0
; ScratchSize: 0
; MemoryBound: 0
; FloatMode: 240
; IeeeMode: 1
; LDSByteSize: 0 bytes/workgroup (compile time only)
; SGPRBlocks: 0
; VGPRBlocks: 0
; NumSGPRsForWavesPerEU: 4
; NumVGPRsForWavesPerEU: 1
; AccumOffset: 4
; Occupancy: 8
; WaveLimiterHint : 0
; COMPUTE_PGM_RSRC2:SCRATCH_EN: 0
; COMPUTE_PGM_RSRC2:USER_SGPR: 6
; COMPUTE_PGM_RSRC2:TRAP_HANDLER: 0
; COMPUTE_PGM_RSRC2:TGID_X_EN: 1
; COMPUTE_PGM_RSRC2:TGID_Y_EN: 0
; COMPUTE_PGM_RSRC2:TGID_Z_EN: 0
; COMPUTE_PGM_RSRC2:TIDIG_COMP_CNT: 0
; COMPUTE_PGM_RSRC3_GFX90A:ACCUM_OFFSET: 0
; COMPUTE_PGM_RSRC3_GFX90A:TG_SPLIT: 0
	.section	.text._ZN7rocprim17ROCPRIM_400000_NS6detail17trampoline_kernelINS0_14default_configENS1_25transform_config_selectorIsLb0EEEZNS1_14transform_implILb0ES3_S5_NS0_18transform_iteratorINS0_17counting_iteratorImlEEZNS1_24adjacent_difference_implIS3_Lb1ELb0EPsSB_N6thrust23THRUST_200600_302600_NS4plusIsEEEE10hipError_tPvRmT2_T3_mT4_P12ihipStream_tbEUlmE_sEESB_NS0_8identityIvEEEESG_SJ_SK_mSL_SN_bEUlT_E_NS1_11comp_targetILNS1_3genE2ELNS1_11target_archE906ELNS1_3gpuE6ELNS1_3repE0EEENS1_30default_config_static_selectorELNS0_4arch9wavefront6targetE1EEEvT1_,"axG",@progbits,_ZN7rocprim17ROCPRIM_400000_NS6detail17trampoline_kernelINS0_14default_configENS1_25transform_config_selectorIsLb0EEEZNS1_14transform_implILb0ES3_S5_NS0_18transform_iteratorINS0_17counting_iteratorImlEEZNS1_24adjacent_difference_implIS3_Lb1ELb0EPsSB_N6thrust23THRUST_200600_302600_NS4plusIsEEEE10hipError_tPvRmT2_T3_mT4_P12ihipStream_tbEUlmE_sEESB_NS0_8identityIvEEEESG_SJ_SK_mSL_SN_bEUlT_E_NS1_11comp_targetILNS1_3genE2ELNS1_11target_archE906ELNS1_3gpuE6ELNS1_3repE0EEENS1_30default_config_static_selectorELNS0_4arch9wavefront6targetE1EEEvT1_,comdat
	.protected	_ZN7rocprim17ROCPRIM_400000_NS6detail17trampoline_kernelINS0_14default_configENS1_25transform_config_selectorIsLb0EEEZNS1_14transform_implILb0ES3_S5_NS0_18transform_iteratorINS0_17counting_iteratorImlEEZNS1_24adjacent_difference_implIS3_Lb1ELb0EPsSB_N6thrust23THRUST_200600_302600_NS4plusIsEEEE10hipError_tPvRmT2_T3_mT4_P12ihipStream_tbEUlmE_sEESB_NS0_8identityIvEEEESG_SJ_SK_mSL_SN_bEUlT_E_NS1_11comp_targetILNS1_3genE2ELNS1_11target_archE906ELNS1_3gpuE6ELNS1_3repE0EEENS1_30default_config_static_selectorELNS0_4arch9wavefront6targetE1EEEvT1_ ; -- Begin function _ZN7rocprim17ROCPRIM_400000_NS6detail17trampoline_kernelINS0_14default_configENS1_25transform_config_selectorIsLb0EEEZNS1_14transform_implILb0ES3_S5_NS0_18transform_iteratorINS0_17counting_iteratorImlEEZNS1_24adjacent_difference_implIS3_Lb1ELb0EPsSB_N6thrust23THRUST_200600_302600_NS4plusIsEEEE10hipError_tPvRmT2_T3_mT4_P12ihipStream_tbEUlmE_sEESB_NS0_8identityIvEEEESG_SJ_SK_mSL_SN_bEUlT_E_NS1_11comp_targetILNS1_3genE2ELNS1_11target_archE906ELNS1_3gpuE6ELNS1_3repE0EEENS1_30default_config_static_selectorELNS0_4arch9wavefront6targetE1EEEvT1_
	.globl	_ZN7rocprim17ROCPRIM_400000_NS6detail17trampoline_kernelINS0_14default_configENS1_25transform_config_selectorIsLb0EEEZNS1_14transform_implILb0ES3_S5_NS0_18transform_iteratorINS0_17counting_iteratorImlEEZNS1_24adjacent_difference_implIS3_Lb1ELb0EPsSB_N6thrust23THRUST_200600_302600_NS4plusIsEEEE10hipError_tPvRmT2_T3_mT4_P12ihipStream_tbEUlmE_sEESB_NS0_8identityIvEEEESG_SJ_SK_mSL_SN_bEUlT_E_NS1_11comp_targetILNS1_3genE2ELNS1_11target_archE906ELNS1_3gpuE6ELNS1_3repE0EEENS1_30default_config_static_selectorELNS0_4arch9wavefront6targetE1EEEvT1_
	.p2align	8
	.type	_ZN7rocprim17ROCPRIM_400000_NS6detail17trampoline_kernelINS0_14default_configENS1_25transform_config_selectorIsLb0EEEZNS1_14transform_implILb0ES3_S5_NS0_18transform_iteratorINS0_17counting_iteratorImlEEZNS1_24adjacent_difference_implIS3_Lb1ELb0EPsSB_N6thrust23THRUST_200600_302600_NS4plusIsEEEE10hipError_tPvRmT2_T3_mT4_P12ihipStream_tbEUlmE_sEESB_NS0_8identityIvEEEESG_SJ_SK_mSL_SN_bEUlT_E_NS1_11comp_targetILNS1_3genE2ELNS1_11target_archE906ELNS1_3gpuE6ELNS1_3repE0EEENS1_30default_config_static_selectorELNS0_4arch9wavefront6targetE1EEEvT1_,@function
_ZN7rocprim17ROCPRIM_400000_NS6detail17trampoline_kernelINS0_14default_configENS1_25transform_config_selectorIsLb0EEEZNS1_14transform_implILb0ES3_S5_NS0_18transform_iteratorINS0_17counting_iteratorImlEEZNS1_24adjacent_difference_implIS3_Lb1ELb0EPsSB_N6thrust23THRUST_200600_302600_NS4plusIsEEEE10hipError_tPvRmT2_T3_mT4_P12ihipStream_tbEUlmE_sEESB_NS0_8identityIvEEEESG_SJ_SK_mSL_SN_bEUlT_E_NS1_11comp_targetILNS1_3genE2ELNS1_11target_archE906ELNS1_3gpuE6ELNS1_3repE0EEENS1_30default_config_static_selectorELNS0_4arch9wavefront6targetE1EEEvT1_: ; @_ZN7rocprim17ROCPRIM_400000_NS6detail17trampoline_kernelINS0_14default_configENS1_25transform_config_selectorIsLb0EEEZNS1_14transform_implILb0ES3_S5_NS0_18transform_iteratorINS0_17counting_iteratorImlEEZNS1_24adjacent_difference_implIS3_Lb1ELb0EPsSB_N6thrust23THRUST_200600_302600_NS4plusIsEEEE10hipError_tPvRmT2_T3_mT4_P12ihipStream_tbEUlmE_sEESB_NS0_8identityIvEEEESG_SJ_SK_mSL_SN_bEUlT_E_NS1_11comp_targetILNS1_3genE2ELNS1_11target_archE906ELNS1_3gpuE6ELNS1_3repE0EEENS1_30default_config_static_selectorELNS0_4arch9wavefront6targetE1EEEvT1_
; %bb.0:
	.section	.rodata,"a",@progbits
	.p2align	6, 0x0
	.amdhsa_kernel _ZN7rocprim17ROCPRIM_400000_NS6detail17trampoline_kernelINS0_14default_configENS1_25transform_config_selectorIsLb0EEEZNS1_14transform_implILb0ES3_S5_NS0_18transform_iteratorINS0_17counting_iteratorImlEEZNS1_24adjacent_difference_implIS3_Lb1ELb0EPsSB_N6thrust23THRUST_200600_302600_NS4plusIsEEEE10hipError_tPvRmT2_T3_mT4_P12ihipStream_tbEUlmE_sEESB_NS0_8identityIvEEEESG_SJ_SK_mSL_SN_bEUlT_E_NS1_11comp_targetILNS1_3genE2ELNS1_11target_archE906ELNS1_3gpuE6ELNS1_3repE0EEENS1_30default_config_static_selectorELNS0_4arch9wavefront6targetE1EEEvT1_
		.amdhsa_group_segment_fixed_size 0
		.amdhsa_private_segment_fixed_size 0
		.amdhsa_kernarg_size 56
		.amdhsa_user_sgpr_count 6
		.amdhsa_user_sgpr_private_segment_buffer 1
		.amdhsa_user_sgpr_dispatch_ptr 0
		.amdhsa_user_sgpr_queue_ptr 0
		.amdhsa_user_sgpr_kernarg_segment_ptr 1
		.amdhsa_user_sgpr_dispatch_id 0
		.amdhsa_user_sgpr_flat_scratch_init 0
		.amdhsa_user_sgpr_kernarg_preload_length 0
		.amdhsa_user_sgpr_kernarg_preload_offset 0
		.amdhsa_user_sgpr_private_segment_size 0
		.amdhsa_uses_dynamic_stack 0
		.amdhsa_system_sgpr_private_segment_wavefront_offset 0
		.amdhsa_system_sgpr_workgroup_id_x 1
		.amdhsa_system_sgpr_workgroup_id_y 0
		.amdhsa_system_sgpr_workgroup_id_z 0
		.amdhsa_system_sgpr_workgroup_info 0
		.amdhsa_system_vgpr_workitem_id 0
		.amdhsa_next_free_vgpr 1
		.amdhsa_next_free_sgpr 0
		.amdhsa_accum_offset 4
		.amdhsa_reserve_vcc 0
		.amdhsa_reserve_flat_scratch 0
		.amdhsa_float_round_mode_32 0
		.amdhsa_float_round_mode_16_64 0
		.amdhsa_float_denorm_mode_32 3
		.amdhsa_float_denorm_mode_16_64 3
		.amdhsa_dx10_clamp 1
		.amdhsa_ieee_mode 1
		.amdhsa_fp16_overflow 0
		.amdhsa_tg_split 0
		.amdhsa_exception_fp_ieee_invalid_op 0
		.amdhsa_exception_fp_denorm_src 0
		.amdhsa_exception_fp_ieee_div_zero 0
		.amdhsa_exception_fp_ieee_overflow 0
		.amdhsa_exception_fp_ieee_underflow 0
		.amdhsa_exception_fp_ieee_inexact 0
		.amdhsa_exception_int_div_zero 0
	.end_amdhsa_kernel
	.section	.text._ZN7rocprim17ROCPRIM_400000_NS6detail17trampoline_kernelINS0_14default_configENS1_25transform_config_selectorIsLb0EEEZNS1_14transform_implILb0ES3_S5_NS0_18transform_iteratorINS0_17counting_iteratorImlEEZNS1_24adjacent_difference_implIS3_Lb1ELb0EPsSB_N6thrust23THRUST_200600_302600_NS4plusIsEEEE10hipError_tPvRmT2_T3_mT4_P12ihipStream_tbEUlmE_sEESB_NS0_8identityIvEEEESG_SJ_SK_mSL_SN_bEUlT_E_NS1_11comp_targetILNS1_3genE2ELNS1_11target_archE906ELNS1_3gpuE6ELNS1_3repE0EEENS1_30default_config_static_selectorELNS0_4arch9wavefront6targetE1EEEvT1_,"axG",@progbits,_ZN7rocprim17ROCPRIM_400000_NS6detail17trampoline_kernelINS0_14default_configENS1_25transform_config_selectorIsLb0EEEZNS1_14transform_implILb0ES3_S5_NS0_18transform_iteratorINS0_17counting_iteratorImlEEZNS1_24adjacent_difference_implIS3_Lb1ELb0EPsSB_N6thrust23THRUST_200600_302600_NS4plusIsEEEE10hipError_tPvRmT2_T3_mT4_P12ihipStream_tbEUlmE_sEESB_NS0_8identityIvEEEESG_SJ_SK_mSL_SN_bEUlT_E_NS1_11comp_targetILNS1_3genE2ELNS1_11target_archE906ELNS1_3gpuE6ELNS1_3repE0EEENS1_30default_config_static_selectorELNS0_4arch9wavefront6targetE1EEEvT1_,comdat
.Lfunc_end89:
	.size	_ZN7rocprim17ROCPRIM_400000_NS6detail17trampoline_kernelINS0_14default_configENS1_25transform_config_selectorIsLb0EEEZNS1_14transform_implILb0ES3_S5_NS0_18transform_iteratorINS0_17counting_iteratorImlEEZNS1_24adjacent_difference_implIS3_Lb1ELb0EPsSB_N6thrust23THRUST_200600_302600_NS4plusIsEEEE10hipError_tPvRmT2_T3_mT4_P12ihipStream_tbEUlmE_sEESB_NS0_8identityIvEEEESG_SJ_SK_mSL_SN_bEUlT_E_NS1_11comp_targetILNS1_3genE2ELNS1_11target_archE906ELNS1_3gpuE6ELNS1_3repE0EEENS1_30default_config_static_selectorELNS0_4arch9wavefront6targetE1EEEvT1_, .Lfunc_end89-_ZN7rocprim17ROCPRIM_400000_NS6detail17trampoline_kernelINS0_14default_configENS1_25transform_config_selectorIsLb0EEEZNS1_14transform_implILb0ES3_S5_NS0_18transform_iteratorINS0_17counting_iteratorImlEEZNS1_24adjacent_difference_implIS3_Lb1ELb0EPsSB_N6thrust23THRUST_200600_302600_NS4plusIsEEEE10hipError_tPvRmT2_T3_mT4_P12ihipStream_tbEUlmE_sEESB_NS0_8identityIvEEEESG_SJ_SK_mSL_SN_bEUlT_E_NS1_11comp_targetILNS1_3genE2ELNS1_11target_archE906ELNS1_3gpuE6ELNS1_3repE0EEENS1_30default_config_static_selectorELNS0_4arch9wavefront6targetE1EEEvT1_
                                        ; -- End function
	.section	.AMDGPU.csdata,"",@progbits
; Kernel info:
; codeLenInByte = 0
; NumSgprs: 4
; NumVgprs: 0
; NumAgprs: 0
; TotalNumVgprs: 0
; ScratchSize: 0
; MemoryBound: 0
; FloatMode: 240
; IeeeMode: 1
; LDSByteSize: 0 bytes/workgroup (compile time only)
; SGPRBlocks: 0
; VGPRBlocks: 0
; NumSGPRsForWavesPerEU: 4
; NumVGPRsForWavesPerEU: 1
; AccumOffset: 4
; Occupancy: 8
; WaveLimiterHint : 0
; COMPUTE_PGM_RSRC2:SCRATCH_EN: 0
; COMPUTE_PGM_RSRC2:USER_SGPR: 6
; COMPUTE_PGM_RSRC2:TRAP_HANDLER: 0
; COMPUTE_PGM_RSRC2:TGID_X_EN: 1
; COMPUTE_PGM_RSRC2:TGID_Y_EN: 0
; COMPUTE_PGM_RSRC2:TGID_Z_EN: 0
; COMPUTE_PGM_RSRC2:TIDIG_COMP_CNT: 0
; COMPUTE_PGM_RSRC3_GFX90A:ACCUM_OFFSET: 0
; COMPUTE_PGM_RSRC3_GFX90A:TG_SPLIT: 0
	.section	.text._ZN7rocprim17ROCPRIM_400000_NS6detail17trampoline_kernelINS0_14default_configENS1_25transform_config_selectorIsLb0EEEZNS1_14transform_implILb0ES3_S5_NS0_18transform_iteratorINS0_17counting_iteratorImlEEZNS1_24adjacent_difference_implIS3_Lb1ELb0EPsSB_N6thrust23THRUST_200600_302600_NS4plusIsEEEE10hipError_tPvRmT2_T3_mT4_P12ihipStream_tbEUlmE_sEESB_NS0_8identityIvEEEESG_SJ_SK_mSL_SN_bEUlT_E_NS1_11comp_targetILNS1_3genE10ELNS1_11target_archE1201ELNS1_3gpuE5ELNS1_3repE0EEENS1_30default_config_static_selectorELNS0_4arch9wavefront6targetE1EEEvT1_,"axG",@progbits,_ZN7rocprim17ROCPRIM_400000_NS6detail17trampoline_kernelINS0_14default_configENS1_25transform_config_selectorIsLb0EEEZNS1_14transform_implILb0ES3_S5_NS0_18transform_iteratorINS0_17counting_iteratorImlEEZNS1_24adjacent_difference_implIS3_Lb1ELb0EPsSB_N6thrust23THRUST_200600_302600_NS4plusIsEEEE10hipError_tPvRmT2_T3_mT4_P12ihipStream_tbEUlmE_sEESB_NS0_8identityIvEEEESG_SJ_SK_mSL_SN_bEUlT_E_NS1_11comp_targetILNS1_3genE10ELNS1_11target_archE1201ELNS1_3gpuE5ELNS1_3repE0EEENS1_30default_config_static_selectorELNS0_4arch9wavefront6targetE1EEEvT1_,comdat
	.protected	_ZN7rocprim17ROCPRIM_400000_NS6detail17trampoline_kernelINS0_14default_configENS1_25transform_config_selectorIsLb0EEEZNS1_14transform_implILb0ES3_S5_NS0_18transform_iteratorINS0_17counting_iteratorImlEEZNS1_24adjacent_difference_implIS3_Lb1ELb0EPsSB_N6thrust23THRUST_200600_302600_NS4plusIsEEEE10hipError_tPvRmT2_T3_mT4_P12ihipStream_tbEUlmE_sEESB_NS0_8identityIvEEEESG_SJ_SK_mSL_SN_bEUlT_E_NS1_11comp_targetILNS1_3genE10ELNS1_11target_archE1201ELNS1_3gpuE5ELNS1_3repE0EEENS1_30default_config_static_selectorELNS0_4arch9wavefront6targetE1EEEvT1_ ; -- Begin function _ZN7rocprim17ROCPRIM_400000_NS6detail17trampoline_kernelINS0_14default_configENS1_25transform_config_selectorIsLb0EEEZNS1_14transform_implILb0ES3_S5_NS0_18transform_iteratorINS0_17counting_iteratorImlEEZNS1_24adjacent_difference_implIS3_Lb1ELb0EPsSB_N6thrust23THRUST_200600_302600_NS4plusIsEEEE10hipError_tPvRmT2_T3_mT4_P12ihipStream_tbEUlmE_sEESB_NS0_8identityIvEEEESG_SJ_SK_mSL_SN_bEUlT_E_NS1_11comp_targetILNS1_3genE10ELNS1_11target_archE1201ELNS1_3gpuE5ELNS1_3repE0EEENS1_30default_config_static_selectorELNS0_4arch9wavefront6targetE1EEEvT1_
	.globl	_ZN7rocprim17ROCPRIM_400000_NS6detail17trampoline_kernelINS0_14default_configENS1_25transform_config_selectorIsLb0EEEZNS1_14transform_implILb0ES3_S5_NS0_18transform_iteratorINS0_17counting_iteratorImlEEZNS1_24adjacent_difference_implIS3_Lb1ELb0EPsSB_N6thrust23THRUST_200600_302600_NS4plusIsEEEE10hipError_tPvRmT2_T3_mT4_P12ihipStream_tbEUlmE_sEESB_NS0_8identityIvEEEESG_SJ_SK_mSL_SN_bEUlT_E_NS1_11comp_targetILNS1_3genE10ELNS1_11target_archE1201ELNS1_3gpuE5ELNS1_3repE0EEENS1_30default_config_static_selectorELNS0_4arch9wavefront6targetE1EEEvT1_
	.p2align	8
	.type	_ZN7rocprim17ROCPRIM_400000_NS6detail17trampoline_kernelINS0_14default_configENS1_25transform_config_selectorIsLb0EEEZNS1_14transform_implILb0ES3_S5_NS0_18transform_iteratorINS0_17counting_iteratorImlEEZNS1_24adjacent_difference_implIS3_Lb1ELb0EPsSB_N6thrust23THRUST_200600_302600_NS4plusIsEEEE10hipError_tPvRmT2_T3_mT4_P12ihipStream_tbEUlmE_sEESB_NS0_8identityIvEEEESG_SJ_SK_mSL_SN_bEUlT_E_NS1_11comp_targetILNS1_3genE10ELNS1_11target_archE1201ELNS1_3gpuE5ELNS1_3repE0EEENS1_30default_config_static_selectorELNS0_4arch9wavefront6targetE1EEEvT1_,@function
_ZN7rocprim17ROCPRIM_400000_NS6detail17trampoline_kernelINS0_14default_configENS1_25transform_config_selectorIsLb0EEEZNS1_14transform_implILb0ES3_S5_NS0_18transform_iteratorINS0_17counting_iteratorImlEEZNS1_24adjacent_difference_implIS3_Lb1ELb0EPsSB_N6thrust23THRUST_200600_302600_NS4plusIsEEEE10hipError_tPvRmT2_T3_mT4_P12ihipStream_tbEUlmE_sEESB_NS0_8identityIvEEEESG_SJ_SK_mSL_SN_bEUlT_E_NS1_11comp_targetILNS1_3genE10ELNS1_11target_archE1201ELNS1_3gpuE5ELNS1_3repE0EEENS1_30default_config_static_selectorELNS0_4arch9wavefront6targetE1EEEvT1_: ; @_ZN7rocprim17ROCPRIM_400000_NS6detail17trampoline_kernelINS0_14default_configENS1_25transform_config_selectorIsLb0EEEZNS1_14transform_implILb0ES3_S5_NS0_18transform_iteratorINS0_17counting_iteratorImlEEZNS1_24adjacent_difference_implIS3_Lb1ELb0EPsSB_N6thrust23THRUST_200600_302600_NS4plusIsEEEE10hipError_tPvRmT2_T3_mT4_P12ihipStream_tbEUlmE_sEESB_NS0_8identityIvEEEESG_SJ_SK_mSL_SN_bEUlT_E_NS1_11comp_targetILNS1_3genE10ELNS1_11target_archE1201ELNS1_3gpuE5ELNS1_3repE0EEENS1_30default_config_static_selectorELNS0_4arch9wavefront6targetE1EEEvT1_
; %bb.0:
	.section	.rodata,"a",@progbits
	.p2align	6, 0x0
	.amdhsa_kernel _ZN7rocprim17ROCPRIM_400000_NS6detail17trampoline_kernelINS0_14default_configENS1_25transform_config_selectorIsLb0EEEZNS1_14transform_implILb0ES3_S5_NS0_18transform_iteratorINS0_17counting_iteratorImlEEZNS1_24adjacent_difference_implIS3_Lb1ELb0EPsSB_N6thrust23THRUST_200600_302600_NS4plusIsEEEE10hipError_tPvRmT2_T3_mT4_P12ihipStream_tbEUlmE_sEESB_NS0_8identityIvEEEESG_SJ_SK_mSL_SN_bEUlT_E_NS1_11comp_targetILNS1_3genE10ELNS1_11target_archE1201ELNS1_3gpuE5ELNS1_3repE0EEENS1_30default_config_static_selectorELNS0_4arch9wavefront6targetE1EEEvT1_
		.amdhsa_group_segment_fixed_size 0
		.amdhsa_private_segment_fixed_size 0
		.amdhsa_kernarg_size 56
		.amdhsa_user_sgpr_count 6
		.amdhsa_user_sgpr_private_segment_buffer 1
		.amdhsa_user_sgpr_dispatch_ptr 0
		.amdhsa_user_sgpr_queue_ptr 0
		.amdhsa_user_sgpr_kernarg_segment_ptr 1
		.amdhsa_user_sgpr_dispatch_id 0
		.amdhsa_user_sgpr_flat_scratch_init 0
		.amdhsa_user_sgpr_kernarg_preload_length 0
		.amdhsa_user_sgpr_kernarg_preload_offset 0
		.amdhsa_user_sgpr_private_segment_size 0
		.amdhsa_uses_dynamic_stack 0
		.amdhsa_system_sgpr_private_segment_wavefront_offset 0
		.amdhsa_system_sgpr_workgroup_id_x 1
		.amdhsa_system_sgpr_workgroup_id_y 0
		.amdhsa_system_sgpr_workgroup_id_z 0
		.amdhsa_system_sgpr_workgroup_info 0
		.amdhsa_system_vgpr_workitem_id 0
		.amdhsa_next_free_vgpr 1
		.amdhsa_next_free_sgpr 0
		.amdhsa_accum_offset 4
		.amdhsa_reserve_vcc 0
		.amdhsa_reserve_flat_scratch 0
		.amdhsa_float_round_mode_32 0
		.amdhsa_float_round_mode_16_64 0
		.amdhsa_float_denorm_mode_32 3
		.amdhsa_float_denorm_mode_16_64 3
		.amdhsa_dx10_clamp 1
		.amdhsa_ieee_mode 1
		.amdhsa_fp16_overflow 0
		.amdhsa_tg_split 0
		.amdhsa_exception_fp_ieee_invalid_op 0
		.amdhsa_exception_fp_denorm_src 0
		.amdhsa_exception_fp_ieee_div_zero 0
		.amdhsa_exception_fp_ieee_overflow 0
		.amdhsa_exception_fp_ieee_underflow 0
		.amdhsa_exception_fp_ieee_inexact 0
		.amdhsa_exception_int_div_zero 0
	.end_amdhsa_kernel
	.section	.text._ZN7rocprim17ROCPRIM_400000_NS6detail17trampoline_kernelINS0_14default_configENS1_25transform_config_selectorIsLb0EEEZNS1_14transform_implILb0ES3_S5_NS0_18transform_iteratorINS0_17counting_iteratorImlEEZNS1_24adjacent_difference_implIS3_Lb1ELb0EPsSB_N6thrust23THRUST_200600_302600_NS4plusIsEEEE10hipError_tPvRmT2_T3_mT4_P12ihipStream_tbEUlmE_sEESB_NS0_8identityIvEEEESG_SJ_SK_mSL_SN_bEUlT_E_NS1_11comp_targetILNS1_3genE10ELNS1_11target_archE1201ELNS1_3gpuE5ELNS1_3repE0EEENS1_30default_config_static_selectorELNS0_4arch9wavefront6targetE1EEEvT1_,"axG",@progbits,_ZN7rocprim17ROCPRIM_400000_NS6detail17trampoline_kernelINS0_14default_configENS1_25transform_config_selectorIsLb0EEEZNS1_14transform_implILb0ES3_S5_NS0_18transform_iteratorINS0_17counting_iteratorImlEEZNS1_24adjacent_difference_implIS3_Lb1ELb0EPsSB_N6thrust23THRUST_200600_302600_NS4plusIsEEEE10hipError_tPvRmT2_T3_mT4_P12ihipStream_tbEUlmE_sEESB_NS0_8identityIvEEEESG_SJ_SK_mSL_SN_bEUlT_E_NS1_11comp_targetILNS1_3genE10ELNS1_11target_archE1201ELNS1_3gpuE5ELNS1_3repE0EEENS1_30default_config_static_selectorELNS0_4arch9wavefront6targetE1EEEvT1_,comdat
.Lfunc_end90:
	.size	_ZN7rocprim17ROCPRIM_400000_NS6detail17trampoline_kernelINS0_14default_configENS1_25transform_config_selectorIsLb0EEEZNS1_14transform_implILb0ES3_S5_NS0_18transform_iteratorINS0_17counting_iteratorImlEEZNS1_24adjacent_difference_implIS3_Lb1ELb0EPsSB_N6thrust23THRUST_200600_302600_NS4plusIsEEEE10hipError_tPvRmT2_T3_mT4_P12ihipStream_tbEUlmE_sEESB_NS0_8identityIvEEEESG_SJ_SK_mSL_SN_bEUlT_E_NS1_11comp_targetILNS1_3genE10ELNS1_11target_archE1201ELNS1_3gpuE5ELNS1_3repE0EEENS1_30default_config_static_selectorELNS0_4arch9wavefront6targetE1EEEvT1_, .Lfunc_end90-_ZN7rocprim17ROCPRIM_400000_NS6detail17trampoline_kernelINS0_14default_configENS1_25transform_config_selectorIsLb0EEEZNS1_14transform_implILb0ES3_S5_NS0_18transform_iteratorINS0_17counting_iteratorImlEEZNS1_24adjacent_difference_implIS3_Lb1ELb0EPsSB_N6thrust23THRUST_200600_302600_NS4plusIsEEEE10hipError_tPvRmT2_T3_mT4_P12ihipStream_tbEUlmE_sEESB_NS0_8identityIvEEEESG_SJ_SK_mSL_SN_bEUlT_E_NS1_11comp_targetILNS1_3genE10ELNS1_11target_archE1201ELNS1_3gpuE5ELNS1_3repE0EEENS1_30default_config_static_selectorELNS0_4arch9wavefront6targetE1EEEvT1_
                                        ; -- End function
	.section	.AMDGPU.csdata,"",@progbits
; Kernel info:
; codeLenInByte = 0
; NumSgprs: 4
; NumVgprs: 0
; NumAgprs: 0
; TotalNumVgprs: 0
; ScratchSize: 0
; MemoryBound: 0
; FloatMode: 240
; IeeeMode: 1
; LDSByteSize: 0 bytes/workgroup (compile time only)
; SGPRBlocks: 0
; VGPRBlocks: 0
; NumSGPRsForWavesPerEU: 4
; NumVGPRsForWavesPerEU: 1
; AccumOffset: 4
; Occupancy: 8
; WaveLimiterHint : 0
; COMPUTE_PGM_RSRC2:SCRATCH_EN: 0
; COMPUTE_PGM_RSRC2:USER_SGPR: 6
; COMPUTE_PGM_RSRC2:TRAP_HANDLER: 0
; COMPUTE_PGM_RSRC2:TGID_X_EN: 1
; COMPUTE_PGM_RSRC2:TGID_Y_EN: 0
; COMPUTE_PGM_RSRC2:TGID_Z_EN: 0
; COMPUTE_PGM_RSRC2:TIDIG_COMP_CNT: 0
; COMPUTE_PGM_RSRC3_GFX90A:ACCUM_OFFSET: 0
; COMPUTE_PGM_RSRC3_GFX90A:TG_SPLIT: 0
	.section	.text._ZN7rocprim17ROCPRIM_400000_NS6detail17trampoline_kernelINS0_14default_configENS1_25transform_config_selectorIsLb0EEEZNS1_14transform_implILb0ES3_S5_NS0_18transform_iteratorINS0_17counting_iteratorImlEEZNS1_24adjacent_difference_implIS3_Lb1ELb0EPsSB_N6thrust23THRUST_200600_302600_NS4plusIsEEEE10hipError_tPvRmT2_T3_mT4_P12ihipStream_tbEUlmE_sEESB_NS0_8identityIvEEEESG_SJ_SK_mSL_SN_bEUlT_E_NS1_11comp_targetILNS1_3genE10ELNS1_11target_archE1200ELNS1_3gpuE4ELNS1_3repE0EEENS1_30default_config_static_selectorELNS0_4arch9wavefront6targetE1EEEvT1_,"axG",@progbits,_ZN7rocprim17ROCPRIM_400000_NS6detail17trampoline_kernelINS0_14default_configENS1_25transform_config_selectorIsLb0EEEZNS1_14transform_implILb0ES3_S5_NS0_18transform_iteratorINS0_17counting_iteratorImlEEZNS1_24adjacent_difference_implIS3_Lb1ELb0EPsSB_N6thrust23THRUST_200600_302600_NS4plusIsEEEE10hipError_tPvRmT2_T3_mT4_P12ihipStream_tbEUlmE_sEESB_NS0_8identityIvEEEESG_SJ_SK_mSL_SN_bEUlT_E_NS1_11comp_targetILNS1_3genE10ELNS1_11target_archE1200ELNS1_3gpuE4ELNS1_3repE0EEENS1_30default_config_static_selectorELNS0_4arch9wavefront6targetE1EEEvT1_,comdat
	.protected	_ZN7rocprim17ROCPRIM_400000_NS6detail17trampoline_kernelINS0_14default_configENS1_25transform_config_selectorIsLb0EEEZNS1_14transform_implILb0ES3_S5_NS0_18transform_iteratorINS0_17counting_iteratorImlEEZNS1_24adjacent_difference_implIS3_Lb1ELb0EPsSB_N6thrust23THRUST_200600_302600_NS4plusIsEEEE10hipError_tPvRmT2_T3_mT4_P12ihipStream_tbEUlmE_sEESB_NS0_8identityIvEEEESG_SJ_SK_mSL_SN_bEUlT_E_NS1_11comp_targetILNS1_3genE10ELNS1_11target_archE1200ELNS1_3gpuE4ELNS1_3repE0EEENS1_30default_config_static_selectorELNS0_4arch9wavefront6targetE1EEEvT1_ ; -- Begin function _ZN7rocprim17ROCPRIM_400000_NS6detail17trampoline_kernelINS0_14default_configENS1_25transform_config_selectorIsLb0EEEZNS1_14transform_implILb0ES3_S5_NS0_18transform_iteratorINS0_17counting_iteratorImlEEZNS1_24adjacent_difference_implIS3_Lb1ELb0EPsSB_N6thrust23THRUST_200600_302600_NS4plusIsEEEE10hipError_tPvRmT2_T3_mT4_P12ihipStream_tbEUlmE_sEESB_NS0_8identityIvEEEESG_SJ_SK_mSL_SN_bEUlT_E_NS1_11comp_targetILNS1_3genE10ELNS1_11target_archE1200ELNS1_3gpuE4ELNS1_3repE0EEENS1_30default_config_static_selectorELNS0_4arch9wavefront6targetE1EEEvT1_
	.globl	_ZN7rocprim17ROCPRIM_400000_NS6detail17trampoline_kernelINS0_14default_configENS1_25transform_config_selectorIsLb0EEEZNS1_14transform_implILb0ES3_S5_NS0_18transform_iteratorINS0_17counting_iteratorImlEEZNS1_24adjacent_difference_implIS3_Lb1ELb0EPsSB_N6thrust23THRUST_200600_302600_NS4plusIsEEEE10hipError_tPvRmT2_T3_mT4_P12ihipStream_tbEUlmE_sEESB_NS0_8identityIvEEEESG_SJ_SK_mSL_SN_bEUlT_E_NS1_11comp_targetILNS1_3genE10ELNS1_11target_archE1200ELNS1_3gpuE4ELNS1_3repE0EEENS1_30default_config_static_selectorELNS0_4arch9wavefront6targetE1EEEvT1_
	.p2align	8
	.type	_ZN7rocprim17ROCPRIM_400000_NS6detail17trampoline_kernelINS0_14default_configENS1_25transform_config_selectorIsLb0EEEZNS1_14transform_implILb0ES3_S5_NS0_18transform_iteratorINS0_17counting_iteratorImlEEZNS1_24adjacent_difference_implIS3_Lb1ELb0EPsSB_N6thrust23THRUST_200600_302600_NS4plusIsEEEE10hipError_tPvRmT2_T3_mT4_P12ihipStream_tbEUlmE_sEESB_NS0_8identityIvEEEESG_SJ_SK_mSL_SN_bEUlT_E_NS1_11comp_targetILNS1_3genE10ELNS1_11target_archE1200ELNS1_3gpuE4ELNS1_3repE0EEENS1_30default_config_static_selectorELNS0_4arch9wavefront6targetE1EEEvT1_,@function
_ZN7rocprim17ROCPRIM_400000_NS6detail17trampoline_kernelINS0_14default_configENS1_25transform_config_selectorIsLb0EEEZNS1_14transform_implILb0ES3_S5_NS0_18transform_iteratorINS0_17counting_iteratorImlEEZNS1_24adjacent_difference_implIS3_Lb1ELb0EPsSB_N6thrust23THRUST_200600_302600_NS4plusIsEEEE10hipError_tPvRmT2_T3_mT4_P12ihipStream_tbEUlmE_sEESB_NS0_8identityIvEEEESG_SJ_SK_mSL_SN_bEUlT_E_NS1_11comp_targetILNS1_3genE10ELNS1_11target_archE1200ELNS1_3gpuE4ELNS1_3repE0EEENS1_30default_config_static_selectorELNS0_4arch9wavefront6targetE1EEEvT1_: ; @_ZN7rocprim17ROCPRIM_400000_NS6detail17trampoline_kernelINS0_14default_configENS1_25transform_config_selectorIsLb0EEEZNS1_14transform_implILb0ES3_S5_NS0_18transform_iteratorINS0_17counting_iteratorImlEEZNS1_24adjacent_difference_implIS3_Lb1ELb0EPsSB_N6thrust23THRUST_200600_302600_NS4plusIsEEEE10hipError_tPvRmT2_T3_mT4_P12ihipStream_tbEUlmE_sEESB_NS0_8identityIvEEEESG_SJ_SK_mSL_SN_bEUlT_E_NS1_11comp_targetILNS1_3genE10ELNS1_11target_archE1200ELNS1_3gpuE4ELNS1_3repE0EEENS1_30default_config_static_selectorELNS0_4arch9wavefront6targetE1EEEvT1_
; %bb.0:
	.section	.rodata,"a",@progbits
	.p2align	6, 0x0
	.amdhsa_kernel _ZN7rocprim17ROCPRIM_400000_NS6detail17trampoline_kernelINS0_14default_configENS1_25transform_config_selectorIsLb0EEEZNS1_14transform_implILb0ES3_S5_NS0_18transform_iteratorINS0_17counting_iteratorImlEEZNS1_24adjacent_difference_implIS3_Lb1ELb0EPsSB_N6thrust23THRUST_200600_302600_NS4plusIsEEEE10hipError_tPvRmT2_T3_mT4_P12ihipStream_tbEUlmE_sEESB_NS0_8identityIvEEEESG_SJ_SK_mSL_SN_bEUlT_E_NS1_11comp_targetILNS1_3genE10ELNS1_11target_archE1200ELNS1_3gpuE4ELNS1_3repE0EEENS1_30default_config_static_selectorELNS0_4arch9wavefront6targetE1EEEvT1_
		.amdhsa_group_segment_fixed_size 0
		.amdhsa_private_segment_fixed_size 0
		.amdhsa_kernarg_size 56
		.amdhsa_user_sgpr_count 6
		.amdhsa_user_sgpr_private_segment_buffer 1
		.amdhsa_user_sgpr_dispatch_ptr 0
		.amdhsa_user_sgpr_queue_ptr 0
		.amdhsa_user_sgpr_kernarg_segment_ptr 1
		.amdhsa_user_sgpr_dispatch_id 0
		.amdhsa_user_sgpr_flat_scratch_init 0
		.amdhsa_user_sgpr_kernarg_preload_length 0
		.amdhsa_user_sgpr_kernarg_preload_offset 0
		.amdhsa_user_sgpr_private_segment_size 0
		.amdhsa_uses_dynamic_stack 0
		.amdhsa_system_sgpr_private_segment_wavefront_offset 0
		.amdhsa_system_sgpr_workgroup_id_x 1
		.amdhsa_system_sgpr_workgroup_id_y 0
		.amdhsa_system_sgpr_workgroup_id_z 0
		.amdhsa_system_sgpr_workgroup_info 0
		.amdhsa_system_vgpr_workitem_id 0
		.amdhsa_next_free_vgpr 1
		.amdhsa_next_free_sgpr 0
		.amdhsa_accum_offset 4
		.amdhsa_reserve_vcc 0
		.amdhsa_reserve_flat_scratch 0
		.amdhsa_float_round_mode_32 0
		.amdhsa_float_round_mode_16_64 0
		.amdhsa_float_denorm_mode_32 3
		.amdhsa_float_denorm_mode_16_64 3
		.amdhsa_dx10_clamp 1
		.amdhsa_ieee_mode 1
		.amdhsa_fp16_overflow 0
		.amdhsa_tg_split 0
		.amdhsa_exception_fp_ieee_invalid_op 0
		.amdhsa_exception_fp_denorm_src 0
		.amdhsa_exception_fp_ieee_div_zero 0
		.amdhsa_exception_fp_ieee_overflow 0
		.amdhsa_exception_fp_ieee_underflow 0
		.amdhsa_exception_fp_ieee_inexact 0
		.amdhsa_exception_int_div_zero 0
	.end_amdhsa_kernel
	.section	.text._ZN7rocprim17ROCPRIM_400000_NS6detail17trampoline_kernelINS0_14default_configENS1_25transform_config_selectorIsLb0EEEZNS1_14transform_implILb0ES3_S5_NS0_18transform_iteratorINS0_17counting_iteratorImlEEZNS1_24adjacent_difference_implIS3_Lb1ELb0EPsSB_N6thrust23THRUST_200600_302600_NS4plusIsEEEE10hipError_tPvRmT2_T3_mT4_P12ihipStream_tbEUlmE_sEESB_NS0_8identityIvEEEESG_SJ_SK_mSL_SN_bEUlT_E_NS1_11comp_targetILNS1_3genE10ELNS1_11target_archE1200ELNS1_3gpuE4ELNS1_3repE0EEENS1_30default_config_static_selectorELNS0_4arch9wavefront6targetE1EEEvT1_,"axG",@progbits,_ZN7rocprim17ROCPRIM_400000_NS6detail17trampoline_kernelINS0_14default_configENS1_25transform_config_selectorIsLb0EEEZNS1_14transform_implILb0ES3_S5_NS0_18transform_iteratorINS0_17counting_iteratorImlEEZNS1_24adjacent_difference_implIS3_Lb1ELb0EPsSB_N6thrust23THRUST_200600_302600_NS4plusIsEEEE10hipError_tPvRmT2_T3_mT4_P12ihipStream_tbEUlmE_sEESB_NS0_8identityIvEEEESG_SJ_SK_mSL_SN_bEUlT_E_NS1_11comp_targetILNS1_3genE10ELNS1_11target_archE1200ELNS1_3gpuE4ELNS1_3repE0EEENS1_30default_config_static_selectorELNS0_4arch9wavefront6targetE1EEEvT1_,comdat
.Lfunc_end91:
	.size	_ZN7rocprim17ROCPRIM_400000_NS6detail17trampoline_kernelINS0_14default_configENS1_25transform_config_selectorIsLb0EEEZNS1_14transform_implILb0ES3_S5_NS0_18transform_iteratorINS0_17counting_iteratorImlEEZNS1_24adjacent_difference_implIS3_Lb1ELb0EPsSB_N6thrust23THRUST_200600_302600_NS4plusIsEEEE10hipError_tPvRmT2_T3_mT4_P12ihipStream_tbEUlmE_sEESB_NS0_8identityIvEEEESG_SJ_SK_mSL_SN_bEUlT_E_NS1_11comp_targetILNS1_3genE10ELNS1_11target_archE1200ELNS1_3gpuE4ELNS1_3repE0EEENS1_30default_config_static_selectorELNS0_4arch9wavefront6targetE1EEEvT1_, .Lfunc_end91-_ZN7rocprim17ROCPRIM_400000_NS6detail17trampoline_kernelINS0_14default_configENS1_25transform_config_selectorIsLb0EEEZNS1_14transform_implILb0ES3_S5_NS0_18transform_iteratorINS0_17counting_iteratorImlEEZNS1_24adjacent_difference_implIS3_Lb1ELb0EPsSB_N6thrust23THRUST_200600_302600_NS4plusIsEEEE10hipError_tPvRmT2_T3_mT4_P12ihipStream_tbEUlmE_sEESB_NS0_8identityIvEEEESG_SJ_SK_mSL_SN_bEUlT_E_NS1_11comp_targetILNS1_3genE10ELNS1_11target_archE1200ELNS1_3gpuE4ELNS1_3repE0EEENS1_30default_config_static_selectorELNS0_4arch9wavefront6targetE1EEEvT1_
                                        ; -- End function
	.section	.AMDGPU.csdata,"",@progbits
; Kernel info:
; codeLenInByte = 0
; NumSgprs: 4
; NumVgprs: 0
; NumAgprs: 0
; TotalNumVgprs: 0
; ScratchSize: 0
; MemoryBound: 0
; FloatMode: 240
; IeeeMode: 1
; LDSByteSize: 0 bytes/workgroup (compile time only)
; SGPRBlocks: 0
; VGPRBlocks: 0
; NumSGPRsForWavesPerEU: 4
; NumVGPRsForWavesPerEU: 1
; AccumOffset: 4
; Occupancy: 8
; WaveLimiterHint : 0
; COMPUTE_PGM_RSRC2:SCRATCH_EN: 0
; COMPUTE_PGM_RSRC2:USER_SGPR: 6
; COMPUTE_PGM_RSRC2:TRAP_HANDLER: 0
; COMPUTE_PGM_RSRC2:TGID_X_EN: 1
; COMPUTE_PGM_RSRC2:TGID_Y_EN: 0
; COMPUTE_PGM_RSRC2:TGID_Z_EN: 0
; COMPUTE_PGM_RSRC2:TIDIG_COMP_CNT: 0
; COMPUTE_PGM_RSRC3_GFX90A:ACCUM_OFFSET: 0
; COMPUTE_PGM_RSRC3_GFX90A:TG_SPLIT: 0
	.section	.text._ZN7rocprim17ROCPRIM_400000_NS6detail17trampoline_kernelINS0_14default_configENS1_25transform_config_selectorIsLb0EEEZNS1_14transform_implILb0ES3_S5_NS0_18transform_iteratorINS0_17counting_iteratorImlEEZNS1_24adjacent_difference_implIS3_Lb1ELb0EPsSB_N6thrust23THRUST_200600_302600_NS4plusIsEEEE10hipError_tPvRmT2_T3_mT4_P12ihipStream_tbEUlmE_sEESB_NS0_8identityIvEEEESG_SJ_SK_mSL_SN_bEUlT_E_NS1_11comp_targetILNS1_3genE9ELNS1_11target_archE1100ELNS1_3gpuE3ELNS1_3repE0EEENS1_30default_config_static_selectorELNS0_4arch9wavefront6targetE1EEEvT1_,"axG",@progbits,_ZN7rocprim17ROCPRIM_400000_NS6detail17trampoline_kernelINS0_14default_configENS1_25transform_config_selectorIsLb0EEEZNS1_14transform_implILb0ES3_S5_NS0_18transform_iteratorINS0_17counting_iteratorImlEEZNS1_24adjacent_difference_implIS3_Lb1ELb0EPsSB_N6thrust23THRUST_200600_302600_NS4plusIsEEEE10hipError_tPvRmT2_T3_mT4_P12ihipStream_tbEUlmE_sEESB_NS0_8identityIvEEEESG_SJ_SK_mSL_SN_bEUlT_E_NS1_11comp_targetILNS1_3genE9ELNS1_11target_archE1100ELNS1_3gpuE3ELNS1_3repE0EEENS1_30default_config_static_selectorELNS0_4arch9wavefront6targetE1EEEvT1_,comdat
	.protected	_ZN7rocprim17ROCPRIM_400000_NS6detail17trampoline_kernelINS0_14default_configENS1_25transform_config_selectorIsLb0EEEZNS1_14transform_implILb0ES3_S5_NS0_18transform_iteratorINS0_17counting_iteratorImlEEZNS1_24adjacent_difference_implIS3_Lb1ELb0EPsSB_N6thrust23THRUST_200600_302600_NS4plusIsEEEE10hipError_tPvRmT2_T3_mT4_P12ihipStream_tbEUlmE_sEESB_NS0_8identityIvEEEESG_SJ_SK_mSL_SN_bEUlT_E_NS1_11comp_targetILNS1_3genE9ELNS1_11target_archE1100ELNS1_3gpuE3ELNS1_3repE0EEENS1_30default_config_static_selectorELNS0_4arch9wavefront6targetE1EEEvT1_ ; -- Begin function _ZN7rocprim17ROCPRIM_400000_NS6detail17trampoline_kernelINS0_14default_configENS1_25transform_config_selectorIsLb0EEEZNS1_14transform_implILb0ES3_S5_NS0_18transform_iteratorINS0_17counting_iteratorImlEEZNS1_24adjacent_difference_implIS3_Lb1ELb0EPsSB_N6thrust23THRUST_200600_302600_NS4plusIsEEEE10hipError_tPvRmT2_T3_mT4_P12ihipStream_tbEUlmE_sEESB_NS0_8identityIvEEEESG_SJ_SK_mSL_SN_bEUlT_E_NS1_11comp_targetILNS1_3genE9ELNS1_11target_archE1100ELNS1_3gpuE3ELNS1_3repE0EEENS1_30default_config_static_selectorELNS0_4arch9wavefront6targetE1EEEvT1_
	.globl	_ZN7rocprim17ROCPRIM_400000_NS6detail17trampoline_kernelINS0_14default_configENS1_25transform_config_selectorIsLb0EEEZNS1_14transform_implILb0ES3_S5_NS0_18transform_iteratorINS0_17counting_iteratorImlEEZNS1_24adjacent_difference_implIS3_Lb1ELb0EPsSB_N6thrust23THRUST_200600_302600_NS4plusIsEEEE10hipError_tPvRmT2_T3_mT4_P12ihipStream_tbEUlmE_sEESB_NS0_8identityIvEEEESG_SJ_SK_mSL_SN_bEUlT_E_NS1_11comp_targetILNS1_3genE9ELNS1_11target_archE1100ELNS1_3gpuE3ELNS1_3repE0EEENS1_30default_config_static_selectorELNS0_4arch9wavefront6targetE1EEEvT1_
	.p2align	8
	.type	_ZN7rocprim17ROCPRIM_400000_NS6detail17trampoline_kernelINS0_14default_configENS1_25transform_config_selectorIsLb0EEEZNS1_14transform_implILb0ES3_S5_NS0_18transform_iteratorINS0_17counting_iteratorImlEEZNS1_24adjacent_difference_implIS3_Lb1ELb0EPsSB_N6thrust23THRUST_200600_302600_NS4plusIsEEEE10hipError_tPvRmT2_T3_mT4_P12ihipStream_tbEUlmE_sEESB_NS0_8identityIvEEEESG_SJ_SK_mSL_SN_bEUlT_E_NS1_11comp_targetILNS1_3genE9ELNS1_11target_archE1100ELNS1_3gpuE3ELNS1_3repE0EEENS1_30default_config_static_selectorELNS0_4arch9wavefront6targetE1EEEvT1_,@function
_ZN7rocprim17ROCPRIM_400000_NS6detail17trampoline_kernelINS0_14default_configENS1_25transform_config_selectorIsLb0EEEZNS1_14transform_implILb0ES3_S5_NS0_18transform_iteratorINS0_17counting_iteratorImlEEZNS1_24adjacent_difference_implIS3_Lb1ELb0EPsSB_N6thrust23THRUST_200600_302600_NS4plusIsEEEE10hipError_tPvRmT2_T3_mT4_P12ihipStream_tbEUlmE_sEESB_NS0_8identityIvEEEESG_SJ_SK_mSL_SN_bEUlT_E_NS1_11comp_targetILNS1_3genE9ELNS1_11target_archE1100ELNS1_3gpuE3ELNS1_3repE0EEENS1_30default_config_static_selectorELNS0_4arch9wavefront6targetE1EEEvT1_: ; @_ZN7rocprim17ROCPRIM_400000_NS6detail17trampoline_kernelINS0_14default_configENS1_25transform_config_selectorIsLb0EEEZNS1_14transform_implILb0ES3_S5_NS0_18transform_iteratorINS0_17counting_iteratorImlEEZNS1_24adjacent_difference_implIS3_Lb1ELb0EPsSB_N6thrust23THRUST_200600_302600_NS4plusIsEEEE10hipError_tPvRmT2_T3_mT4_P12ihipStream_tbEUlmE_sEESB_NS0_8identityIvEEEESG_SJ_SK_mSL_SN_bEUlT_E_NS1_11comp_targetILNS1_3genE9ELNS1_11target_archE1100ELNS1_3gpuE3ELNS1_3repE0EEENS1_30default_config_static_selectorELNS0_4arch9wavefront6targetE1EEEvT1_
; %bb.0:
	.section	.rodata,"a",@progbits
	.p2align	6, 0x0
	.amdhsa_kernel _ZN7rocprim17ROCPRIM_400000_NS6detail17trampoline_kernelINS0_14default_configENS1_25transform_config_selectorIsLb0EEEZNS1_14transform_implILb0ES3_S5_NS0_18transform_iteratorINS0_17counting_iteratorImlEEZNS1_24adjacent_difference_implIS3_Lb1ELb0EPsSB_N6thrust23THRUST_200600_302600_NS4plusIsEEEE10hipError_tPvRmT2_T3_mT4_P12ihipStream_tbEUlmE_sEESB_NS0_8identityIvEEEESG_SJ_SK_mSL_SN_bEUlT_E_NS1_11comp_targetILNS1_3genE9ELNS1_11target_archE1100ELNS1_3gpuE3ELNS1_3repE0EEENS1_30default_config_static_selectorELNS0_4arch9wavefront6targetE1EEEvT1_
		.amdhsa_group_segment_fixed_size 0
		.amdhsa_private_segment_fixed_size 0
		.amdhsa_kernarg_size 56
		.amdhsa_user_sgpr_count 6
		.amdhsa_user_sgpr_private_segment_buffer 1
		.amdhsa_user_sgpr_dispatch_ptr 0
		.amdhsa_user_sgpr_queue_ptr 0
		.amdhsa_user_sgpr_kernarg_segment_ptr 1
		.amdhsa_user_sgpr_dispatch_id 0
		.amdhsa_user_sgpr_flat_scratch_init 0
		.amdhsa_user_sgpr_kernarg_preload_length 0
		.amdhsa_user_sgpr_kernarg_preload_offset 0
		.amdhsa_user_sgpr_private_segment_size 0
		.amdhsa_uses_dynamic_stack 0
		.amdhsa_system_sgpr_private_segment_wavefront_offset 0
		.amdhsa_system_sgpr_workgroup_id_x 1
		.amdhsa_system_sgpr_workgroup_id_y 0
		.amdhsa_system_sgpr_workgroup_id_z 0
		.amdhsa_system_sgpr_workgroup_info 0
		.amdhsa_system_vgpr_workitem_id 0
		.amdhsa_next_free_vgpr 1
		.amdhsa_next_free_sgpr 0
		.amdhsa_accum_offset 4
		.amdhsa_reserve_vcc 0
		.amdhsa_reserve_flat_scratch 0
		.amdhsa_float_round_mode_32 0
		.amdhsa_float_round_mode_16_64 0
		.amdhsa_float_denorm_mode_32 3
		.amdhsa_float_denorm_mode_16_64 3
		.amdhsa_dx10_clamp 1
		.amdhsa_ieee_mode 1
		.amdhsa_fp16_overflow 0
		.amdhsa_tg_split 0
		.amdhsa_exception_fp_ieee_invalid_op 0
		.amdhsa_exception_fp_denorm_src 0
		.amdhsa_exception_fp_ieee_div_zero 0
		.amdhsa_exception_fp_ieee_overflow 0
		.amdhsa_exception_fp_ieee_underflow 0
		.amdhsa_exception_fp_ieee_inexact 0
		.amdhsa_exception_int_div_zero 0
	.end_amdhsa_kernel
	.section	.text._ZN7rocprim17ROCPRIM_400000_NS6detail17trampoline_kernelINS0_14default_configENS1_25transform_config_selectorIsLb0EEEZNS1_14transform_implILb0ES3_S5_NS0_18transform_iteratorINS0_17counting_iteratorImlEEZNS1_24adjacent_difference_implIS3_Lb1ELb0EPsSB_N6thrust23THRUST_200600_302600_NS4plusIsEEEE10hipError_tPvRmT2_T3_mT4_P12ihipStream_tbEUlmE_sEESB_NS0_8identityIvEEEESG_SJ_SK_mSL_SN_bEUlT_E_NS1_11comp_targetILNS1_3genE9ELNS1_11target_archE1100ELNS1_3gpuE3ELNS1_3repE0EEENS1_30default_config_static_selectorELNS0_4arch9wavefront6targetE1EEEvT1_,"axG",@progbits,_ZN7rocprim17ROCPRIM_400000_NS6detail17trampoline_kernelINS0_14default_configENS1_25transform_config_selectorIsLb0EEEZNS1_14transform_implILb0ES3_S5_NS0_18transform_iteratorINS0_17counting_iteratorImlEEZNS1_24adjacent_difference_implIS3_Lb1ELb0EPsSB_N6thrust23THRUST_200600_302600_NS4plusIsEEEE10hipError_tPvRmT2_T3_mT4_P12ihipStream_tbEUlmE_sEESB_NS0_8identityIvEEEESG_SJ_SK_mSL_SN_bEUlT_E_NS1_11comp_targetILNS1_3genE9ELNS1_11target_archE1100ELNS1_3gpuE3ELNS1_3repE0EEENS1_30default_config_static_selectorELNS0_4arch9wavefront6targetE1EEEvT1_,comdat
.Lfunc_end92:
	.size	_ZN7rocprim17ROCPRIM_400000_NS6detail17trampoline_kernelINS0_14default_configENS1_25transform_config_selectorIsLb0EEEZNS1_14transform_implILb0ES3_S5_NS0_18transform_iteratorINS0_17counting_iteratorImlEEZNS1_24adjacent_difference_implIS3_Lb1ELb0EPsSB_N6thrust23THRUST_200600_302600_NS4plusIsEEEE10hipError_tPvRmT2_T3_mT4_P12ihipStream_tbEUlmE_sEESB_NS0_8identityIvEEEESG_SJ_SK_mSL_SN_bEUlT_E_NS1_11comp_targetILNS1_3genE9ELNS1_11target_archE1100ELNS1_3gpuE3ELNS1_3repE0EEENS1_30default_config_static_selectorELNS0_4arch9wavefront6targetE1EEEvT1_, .Lfunc_end92-_ZN7rocprim17ROCPRIM_400000_NS6detail17trampoline_kernelINS0_14default_configENS1_25transform_config_selectorIsLb0EEEZNS1_14transform_implILb0ES3_S5_NS0_18transform_iteratorINS0_17counting_iteratorImlEEZNS1_24adjacent_difference_implIS3_Lb1ELb0EPsSB_N6thrust23THRUST_200600_302600_NS4plusIsEEEE10hipError_tPvRmT2_T3_mT4_P12ihipStream_tbEUlmE_sEESB_NS0_8identityIvEEEESG_SJ_SK_mSL_SN_bEUlT_E_NS1_11comp_targetILNS1_3genE9ELNS1_11target_archE1100ELNS1_3gpuE3ELNS1_3repE0EEENS1_30default_config_static_selectorELNS0_4arch9wavefront6targetE1EEEvT1_
                                        ; -- End function
	.section	.AMDGPU.csdata,"",@progbits
; Kernel info:
; codeLenInByte = 0
; NumSgprs: 4
; NumVgprs: 0
; NumAgprs: 0
; TotalNumVgprs: 0
; ScratchSize: 0
; MemoryBound: 0
; FloatMode: 240
; IeeeMode: 1
; LDSByteSize: 0 bytes/workgroup (compile time only)
; SGPRBlocks: 0
; VGPRBlocks: 0
; NumSGPRsForWavesPerEU: 4
; NumVGPRsForWavesPerEU: 1
; AccumOffset: 4
; Occupancy: 8
; WaveLimiterHint : 0
; COMPUTE_PGM_RSRC2:SCRATCH_EN: 0
; COMPUTE_PGM_RSRC2:USER_SGPR: 6
; COMPUTE_PGM_RSRC2:TRAP_HANDLER: 0
; COMPUTE_PGM_RSRC2:TGID_X_EN: 1
; COMPUTE_PGM_RSRC2:TGID_Y_EN: 0
; COMPUTE_PGM_RSRC2:TGID_Z_EN: 0
; COMPUTE_PGM_RSRC2:TIDIG_COMP_CNT: 0
; COMPUTE_PGM_RSRC3_GFX90A:ACCUM_OFFSET: 0
; COMPUTE_PGM_RSRC3_GFX90A:TG_SPLIT: 0
	.section	.text._ZN7rocprim17ROCPRIM_400000_NS6detail17trampoline_kernelINS0_14default_configENS1_25transform_config_selectorIsLb0EEEZNS1_14transform_implILb0ES3_S5_NS0_18transform_iteratorINS0_17counting_iteratorImlEEZNS1_24adjacent_difference_implIS3_Lb1ELb0EPsSB_N6thrust23THRUST_200600_302600_NS4plusIsEEEE10hipError_tPvRmT2_T3_mT4_P12ihipStream_tbEUlmE_sEESB_NS0_8identityIvEEEESG_SJ_SK_mSL_SN_bEUlT_E_NS1_11comp_targetILNS1_3genE8ELNS1_11target_archE1030ELNS1_3gpuE2ELNS1_3repE0EEENS1_30default_config_static_selectorELNS0_4arch9wavefront6targetE1EEEvT1_,"axG",@progbits,_ZN7rocprim17ROCPRIM_400000_NS6detail17trampoline_kernelINS0_14default_configENS1_25transform_config_selectorIsLb0EEEZNS1_14transform_implILb0ES3_S5_NS0_18transform_iteratorINS0_17counting_iteratorImlEEZNS1_24adjacent_difference_implIS3_Lb1ELb0EPsSB_N6thrust23THRUST_200600_302600_NS4plusIsEEEE10hipError_tPvRmT2_T3_mT4_P12ihipStream_tbEUlmE_sEESB_NS0_8identityIvEEEESG_SJ_SK_mSL_SN_bEUlT_E_NS1_11comp_targetILNS1_3genE8ELNS1_11target_archE1030ELNS1_3gpuE2ELNS1_3repE0EEENS1_30default_config_static_selectorELNS0_4arch9wavefront6targetE1EEEvT1_,comdat
	.protected	_ZN7rocprim17ROCPRIM_400000_NS6detail17trampoline_kernelINS0_14default_configENS1_25transform_config_selectorIsLb0EEEZNS1_14transform_implILb0ES3_S5_NS0_18transform_iteratorINS0_17counting_iteratorImlEEZNS1_24adjacent_difference_implIS3_Lb1ELb0EPsSB_N6thrust23THRUST_200600_302600_NS4plusIsEEEE10hipError_tPvRmT2_T3_mT4_P12ihipStream_tbEUlmE_sEESB_NS0_8identityIvEEEESG_SJ_SK_mSL_SN_bEUlT_E_NS1_11comp_targetILNS1_3genE8ELNS1_11target_archE1030ELNS1_3gpuE2ELNS1_3repE0EEENS1_30default_config_static_selectorELNS0_4arch9wavefront6targetE1EEEvT1_ ; -- Begin function _ZN7rocprim17ROCPRIM_400000_NS6detail17trampoline_kernelINS0_14default_configENS1_25transform_config_selectorIsLb0EEEZNS1_14transform_implILb0ES3_S5_NS0_18transform_iteratorINS0_17counting_iteratorImlEEZNS1_24adjacent_difference_implIS3_Lb1ELb0EPsSB_N6thrust23THRUST_200600_302600_NS4plusIsEEEE10hipError_tPvRmT2_T3_mT4_P12ihipStream_tbEUlmE_sEESB_NS0_8identityIvEEEESG_SJ_SK_mSL_SN_bEUlT_E_NS1_11comp_targetILNS1_3genE8ELNS1_11target_archE1030ELNS1_3gpuE2ELNS1_3repE0EEENS1_30default_config_static_selectorELNS0_4arch9wavefront6targetE1EEEvT1_
	.globl	_ZN7rocprim17ROCPRIM_400000_NS6detail17trampoline_kernelINS0_14default_configENS1_25transform_config_selectorIsLb0EEEZNS1_14transform_implILb0ES3_S5_NS0_18transform_iteratorINS0_17counting_iteratorImlEEZNS1_24adjacent_difference_implIS3_Lb1ELb0EPsSB_N6thrust23THRUST_200600_302600_NS4plusIsEEEE10hipError_tPvRmT2_T3_mT4_P12ihipStream_tbEUlmE_sEESB_NS0_8identityIvEEEESG_SJ_SK_mSL_SN_bEUlT_E_NS1_11comp_targetILNS1_3genE8ELNS1_11target_archE1030ELNS1_3gpuE2ELNS1_3repE0EEENS1_30default_config_static_selectorELNS0_4arch9wavefront6targetE1EEEvT1_
	.p2align	8
	.type	_ZN7rocprim17ROCPRIM_400000_NS6detail17trampoline_kernelINS0_14default_configENS1_25transform_config_selectorIsLb0EEEZNS1_14transform_implILb0ES3_S5_NS0_18transform_iteratorINS0_17counting_iteratorImlEEZNS1_24adjacent_difference_implIS3_Lb1ELb0EPsSB_N6thrust23THRUST_200600_302600_NS4plusIsEEEE10hipError_tPvRmT2_T3_mT4_P12ihipStream_tbEUlmE_sEESB_NS0_8identityIvEEEESG_SJ_SK_mSL_SN_bEUlT_E_NS1_11comp_targetILNS1_3genE8ELNS1_11target_archE1030ELNS1_3gpuE2ELNS1_3repE0EEENS1_30default_config_static_selectorELNS0_4arch9wavefront6targetE1EEEvT1_,@function
_ZN7rocprim17ROCPRIM_400000_NS6detail17trampoline_kernelINS0_14default_configENS1_25transform_config_selectorIsLb0EEEZNS1_14transform_implILb0ES3_S5_NS0_18transform_iteratorINS0_17counting_iteratorImlEEZNS1_24adjacent_difference_implIS3_Lb1ELb0EPsSB_N6thrust23THRUST_200600_302600_NS4plusIsEEEE10hipError_tPvRmT2_T3_mT4_P12ihipStream_tbEUlmE_sEESB_NS0_8identityIvEEEESG_SJ_SK_mSL_SN_bEUlT_E_NS1_11comp_targetILNS1_3genE8ELNS1_11target_archE1030ELNS1_3gpuE2ELNS1_3repE0EEENS1_30default_config_static_selectorELNS0_4arch9wavefront6targetE1EEEvT1_: ; @_ZN7rocprim17ROCPRIM_400000_NS6detail17trampoline_kernelINS0_14default_configENS1_25transform_config_selectorIsLb0EEEZNS1_14transform_implILb0ES3_S5_NS0_18transform_iteratorINS0_17counting_iteratorImlEEZNS1_24adjacent_difference_implIS3_Lb1ELb0EPsSB_N6thrust23THRUST_200600_302600_NS4plusIsEEEE10hipError_tPvRmT2_T3_mT4_P12ihipStream_tbEUlmE_sEESB_NS0_8identityIvEEEESG_SJ_SK_mSL_SN_bEUlT_E_NS1_11comp_targetILNS1_3genE8ELNS1_11target_archE1030ELNS1_3gpuE2ELNS1_3repE0EEENS1_30default_config_static_selectorELNS0_4arch9wavefront6targetE1EEEvT1_
; %bb.0:
	.section	.rodata,"a",@progbits
	.p2align	6, 0x0
	.amdhsa_kernel _ZN7rocprim17ROCPRIM_400000_NS6detail17trampoline_kernelINS0_14default_configENS1_25transform_config_selectorIsLb0EEEZNS1_14transform_implILb0ES3_S5_NS0_18transform_iteratorINS0_17counting_iteratorImlEEZNS1_24adjacent_difference_implIS3_Lb1ELb0EPsSB_N6thrust23THRUST_200600_302600_NS4plusIsEEEE10hipError_tPvRmT2_T3_mT4_P12ihipStream_tbEUlmE_sEESB_NS0_8identityIvEEEESG_SJ_SK_mSL_SN_bEUlT_E_NS1_11comp_targetILNS1_3genE8ELNS1_11target_archE1030ELNS1_3gpuE2ELNS1_3repE0EEENS1_30default_config_static_selectorELNS0_4arch9wavefront6targetE1EEEvT1_
		.amdhsa_group_segment_fixed_size 0
		.amdhsa_private_segment_fixed_size 0
		.amdhsa_kernarg_size 56
		.amdhsa_user_sgpr_count 6
		.amdhsa_user_sgpr_private_segment_buffer 1
		.amdhsa_user_sgpr_dispatch_ptr 0
		.amdhsa_user_sgpr_queue_ptr 0
		.amdhsa_user_sgpr_kernarg_segment_ptr 1
		.amdhsa_user_sgpr_dispatch_id 0
		.amdhsa_user_sgpr_flat_scratch_init 0
		.amdhsa_user_sgpr_kernarg_preload_length 0
		.amdhsa_user_sgpr_kernarg_preload_offset 0
		.amdhsa_user_sgpr_private_segment_size 0
		.amdhsa_uses_dynamic_stack 0
		.amdhsa_system_sgpr_private_segment_wavefront_offset 0
		.amdhsa_system_sgpr_workgroup_id_x 1
		.amdhsa_system_sgpr_workgroup_id_y 0
		.amdhsa_system_sgpr_workgroup_id_z 0
		.amdhsa_system_sgpr_workgroup_info 0
		.amdhsa_system_vgpr_workitem_id 0
		.amdhsa_next_free_vgpr 1
		.amdhsa_next_free_sgpr 0
		.amdhsa_accum_offset 4
		.amdhsa_reserve_vcc 0
		.amdhsa_reserve_flat_scratch 0
		.amdhsa_float_round_mode_32 0
		.amdhsa_float_round_mode_16_64 0
		.amdhsa_float_denorm_mode_32 3
		.amdhsa_float_denorm_mode_16_64 3
		.amdhsa_dx10_clamp 1
		.amdhsa_ieee_mode 1
		.amdhsa_fp16_overflow 0
		.amdhsa_tg_split 0
		.amdhsa_exception_fp_ieee_invalid_op 0
		.amdhsa_exception_fp_denorm_src 0
		.amdhsa_exception_fp_ieee_div_zero 0
		.amdhsa_exception_fp_ieee_overflow 0
		.amdhsa_exception_fp_ieee_underflow 0
		.amdhsa_exception_fp_ieee_inexact 0
		.amdhsa_exception_int_div_zero 0
	.end_amdhsa_kernel
	.section	.text._ZN7rocprim17ROCPRIM_400000_NS6detail17trampoline_kernelINS0_14default_configENS1_25transform_config_selectorIsLb0EEEZNS1_14transform_implILb0ES3_S5_NS0_18transform_iteratorINS0_17counting_iteratorImlEEZNS1_24adjacent_difference_implIS3_Lb1ELb0EPsSB_N6thrust23THRUST_200600_302600_NS4plusIsEEEE10hipError_tPvRmT2_T3_mT4_P12ihipStream_tbEUlmE_sEESB_NS0_8identityIvEEEESG_SJ_SK_mSL_SN_bEUlT_E_NS1_11comp_targetILNS1_3genE8ELNS1_11target_archE1030ELNS1_3gpuE2ELNS1_3repE0EEENS1_30default_config_static_selectorELNS0_4arch9wavefront6targetE1EEEvT1_,"axG",@progbits,_ZN7rocprim17ROCPRIM_400000_NS6detail17trampoline_kernelINS0_14default_configENS1_25transform_config_selectorIsLb0EEEZNS1_14transform_implILb0ES3_S5_NS0_18transform_iteratorINS0_17counting_iteratorImlEEZNS1_24adjacent_difference_implIS3_Lb1ELb0EPsSB_N6thrust23THRUST_200600_302600_NS4plusIsEEEE10hipError_tPvRmT2_T3_mT4_P12ihipStream_tbEUlmE_sEESB_NS0_8identityIvEEEESG_SJ_SK_mSL_SN_bEUlT_E_NS1_11comp_targetILNS1_3genE8ELNS1_11target_archE1030ELNS1_3gpuE2ELNS1_3repE0EEENS1_30default_config_static_selectorELNS0_4arch9wavefront6targetE1EEEvT1_,comdat
.Lfunc_end93:
	.size	_ZN7rocprim17ROCPRIM_400000_NS6detail17trampoline_kernelINS0_14default_configENS1_25transform_config_selectorIsLb0EEEZNS1_14transform_implILb0ES3_S5_NS0_18transform_iteratorINS0_17counting_iteratorImlEEZNS1_24adjacent_difference_implIS3_Lb1ELb0EPsSB_N6thrust23THRUST_200600_302600_NS4plusIsEEEE10hipError_tPvRmT2_T3_mT4_P12ihipStream_tbEUlmE_sEESB_NS0_8identityIvEEEESG_SJ_SK_mSL_SN_bEUlT_E_NS1_11comp_targetILNS1_3genE8ELNS1_11target_archE1030ELNS1_3gpuE2ELNS1_3repE0EEENS1_30default_config_static_selectorELNS0_4arch9wavefront6targetE1EEEvT1_, .Lfunc_end93-_ZN7rocprim17ROCPRIM_400000_NS6detail17trampoline_kernelINS0_14default_configENS1_25transform_config_selectorIsLb0EEEZNS1_14transform_implILb0ES3_S5_NS0_18transform_iteratorINS0_17counting_iteratorImlEEZNS1_24adjacent_difference_implIS3_Lb1ELb0EPsSB_N6thrust23THRUST_200600_302600_NS4plusIsEEEE10hipError_tPvRmT2_T3_mT4_P12ihipStream_tbEUlmE_sEESB_NS0_8identityIvEEEESG_SJ_SK_mSL_SN_bEUlT_E_NS1_11comp_targetILNS1_3genE8ELNS1_11target_archE1030ELNS1_3gpuE2ELNS1_3repE0EEENS1_30default_config_static_selectorELNS0_4arch9wavefront6targetE1EEEvT1_
                                        ; -- End function
	.section	.AMDGPU.csdata,"",@progbits
; Kernel info:
; codeLenInByte = 0
; NumSgprs: 4
; NumVgprs: 0
; NumAgprs: 0
; TotalNumVgprs: 0
; ScratchSize: 0
; MemoryBound: 0
; FloatMode: 240
; IeeeMode: 1
; LDSByteSize: 0 bytes/workgroup (compile time only)
; SGPRBlocks: 0
; VGPRBlocks: 0
; NumSGPRsForWavesPerEU: 4
; NumVGPRsForWavesPerEU: 1
; AccumOffset: 4
; Occupancy: 8
; WaveLimiterHint : 0
; COMPUTE_PGM_RSRC2:SCRATCH_EN: 0
; COMPUTE_PGM_RSRC2:USER_SGPR: 6
; COMPUTE_PGM_RSRC2:TRAP_HANDLER: 0
; COMPUTE_PGM_RSRC2:TGID_X_EN: 1
; COMPUTE_PGM_RSRC2:TGID_Y_EN: 0
; COMPUTE_PGM_RSRC2:TGID_Z_EN: 0
; COMPUTE_PGM_RSRC2:TIDIG_COMP_CNT: 0
; COMPUTE_PGM_RSRC3_GFX90A:ACCUM_OFFSET: 0
; COMPUTE_PGM_RSRC3_GFX90A:TG_SPLIT: 0
	.section	.text._ZN7rocprim17ROCPRIM_400000_NS6detail17trampoline_kernelINS0_14default_configENS1_35adjacent_difference_config_selectorILb1EsEEZNS1_24adjacent_difference_implIS3_Lb1ELb0EPsS7_N6thrust23THRUST_200600_302600_NS4plusIsEEEE10hipError_tPvRmT2_T3_mT4_P12ihipStream_tbEUlT_E_NS1_11comp_targetILNS1_3genE0ELNS1_11target_archE4294967295ELNS1_3gpuE0ELNS1_3repE0EEENS1_30default_config_static_selectorELNS0_4arch9wavefront6targetE1EEEvT1_,"axG",@progbits,_ZN7rocprim17ROCPRIM_400000_NS6detail17trampoline_kernelINS0_14default_configENS1_35adjacent_difference_config_selectorILb1EsEEZNS1_24adjacent_difference_implIS3_Lb1ELb0EPsS7_N6thrust23THRUST_200600_302600_NS4plusIsEEEE10hipError_tPvRmT2_T3_mT4_P12ihipStream_tbEUlT_E_NS1_11comp_targetILNS1_3genE0ELNS1_11target_archE4294967295ELNS1_3gpuE0ELNS1_3repE0EEENS1_30default_config_static_selectorELNS0_4arch9wavefront6targetE1EEEvT1_,comdat
	.protected	_ZN7rocprim17ROCPRIM_400000_NS6detail17trampoline_kernelINS0_14default_configENS1_35adjacent_difference_config_selectorILb1EsEEZNS1_24adjacent_difference_implIS3_Lb1ELb0EPsS7_N6thrust23THRUST_200600_302600_NS4plusIsEEEE10hipError_tPvRmT2_T3_mT4_P12ihipStream_tbEUlT_E_NS1_11comp_targetILNS1_3genE0ELNS1_11target_archE4294967295ELNS1_3gpuE0ELNS1_3repE0EEENS1_30default_config_static_selectorELNS0_4arch9wavefront6targetE1EEEvT1_ ; -- Begin function _ZN7rocprim17ROCPRIM_400000_NS6detail17trampoline_kernelINS0_14default_configENS1_35adjacent_difference_config_selectorILb1EsEEZNS1_24adjacent_difference_implIS3_Lb1ELb0EPsS7_N6thrust23THRUST_200600_302600_NS4plusIsEEEE10hipError_tPvRmT2_T3_mT4_P12ihipStream_tbEUlT_E_NS1_11comp_targetILNS1_3genE0ELNS1_11target_archE4294967295ELNS1_3gpuE0ELNS1_3repE0EEENS1_30default_config_static_selectorELNS0_4arch9wavefront6targetE1EEEvT1_
	.globl	_ZN7rocprim17ROCPRIM_400000_NS6detail17trampoline_kernelINS0_14default_configENS1_35adjacent_difference_config_selectorILb1EsEEZNS1_24adjacent_difference_implIS3_Lb1ELb0EPsS7_N6thrust23THRUST_200600_302600_NS4plusIsEEEE10hipError_tPvRmT2_T3_mT4_P12ihipStream_tbEUlT_E_NS1_11comp_targetILNS1_3genE0ELNS1_11target_archE4294967295ELNS1_3gpuE0ELNS1_3repE0EEENS1_30default_config_static_selectorELNS0_4arch9wavefront6targetE1EEEvT1_
	.p2align	8
	.type	_ZN7rocprim17ROCPRIM_400000_NS6detail17trampoline_kernelINS0_14default_configENS1_35adjacent_difference_config_selectorILb1EsEEZNS1_24adjacent_difference_implIS3_Lb1ELb0EPsS7_N6thrust23THRUST_200600_302600_NS4plusIsEEEE10hipError_tPvRmT2_T3_mT4_P12ihipStream_tbEUlT_E_NS1_11comp_targetILNS1_3genE0ELNS1_11target_archE4294967295ELNS1_3gpuE0ELNS1_3repE0EEENS1_30default_config_static_selectorELNS0_4arch9wavefront6targetE1EEEvT1_,@function
_ZN7rocprim17ROCPRIM_400000_NS6detail17trampoline_kernelINS0_14default_configENS1_35adjacent_difference_config_selectorILb1EsEEZNS1_24adjacent_difference_implIS3_Lb1ELb0EPsS7_N6thrust23THRUST_200600_302600_NS4plusIsEEEE10hipError_tPvRmT2_T3_mT4_P12ihipStream_tbEUlT_E_NS1_11comp_targetILNS1_3genE0ELNS1_11target_archE4294967295ELNS1_3gpuE0ELNS1_3repE0EEENS1_30default_config_static_selectorELNS0_4arch9wavefront6targetE1EEEvT1_: ; @_ZN7rocprim17ROCPRIM_400000_NS6detail17trampoline_kernelINS0_14default_configENS1_35adjacent_difference_config_selectorILb1EsEEZNS1_24adjacent_difference_implIS3_Lb1ELb0EPsS7_N6thrust23THRUST_200600_302600_NS4plusIsEEEE10hipError_tPvRmT2_T3_mT4_P12ihipStream_tbEUlT_E_NS1_11comp_targetILNS1_3genE0ELNS1_11target_archE4294967295ELNS1_3gpuE0ELNS1_3repE0EEENS1_30default_config_static_selectorELNS0_4arch9wavefront6targetE1EEEvT1_
; %bb.0:
	.section	.rodata,"a",@progbits
	.p2align	6, 0x0
	.amdhsa_kernel _ZN7rocprim17ROCPRIM_400000_NS6detail17trampoline_kernelINS0_14default_configENS1_35adjacent_difference_config_selectorILb1EsEEZNS1_24adjacent_difference_implIS3_Lb1ELb0EPsS7_N6thrust23THRUST_200600_302600_NS4plusIsEEEE10hipError_tPvRmT2_T3_mT4_P12ihipStream_tbEUlT_E_NS1_11comp_targetILNS1_3genE0ELNS1_11target_archE4294967295ELNS1_3gpuE0ELNS1_3repE0EEENS1_30default_config_static_selectorELNS0_4arch9wavefront6targetE1EEEvT1_
		.amdhsa_group_segment_fixed_size 0
		.amdhsa_private_segment_fixed_size 0
		.amdhsa_kernarg_size 56
		.amdhsa_user_sgpr_count 6
		.amdhsa_user_sgpr_private_segment_buffer 1
		.amdhsa_user_sgpr_dispatch_ptr 0
		.amdhsa_user_sgpr_queue_ptr 0
		.amdhsa_user_sgpr_kernarg_segment_ptr 1
		.amdhsa_user_sgpr_dispatch_id 0
		.amdhsa_user_sgpr_flat_scratch_init 0
		.amdhsa_user_sgpr_kernarg_preload_length 0
		.amdhsa_user_sgpr_kernarg_preload_offset 0
		.amdhsa_user_sgpr_private_segment_size 0
		.amdhsa_uses_dynamic_stack 0
		.amdhsa_system_sgpr_private_segment_wavefront_offset 0
		.amdhsa_system_sgpr_workgroup_id_x 1
		.amdhsa_system_sgpr_workgroup_id_y 0
		.amdhsa_system_sgpr_workgroup_id_z 0
		.amdhsa_system_sgpr_workgroup_info 0
		.amdhsa_system_vgpr_workitem_id 0
		.amdhsa_next_free_vgpr 1
		.amdhsa_next_free_sgpr 0
		.amdhsa_accum_offset 4
		.amdhsa_reserve_vcc 0
		.amdhsa_reserve_flat_scratch 0
		.amdhsa_float_round_mode_32 0
		.amdhsa_float_round_mode_16_64 0
		.amdhsa_float_denorm_mode_32 3
		.amdhsa_float_denorm_mode_16_64 3
		.amdhsa_dx10_clamp 1
		.amdhsa_ieee_mode 1
		.amdhsa_fp16_overflow 0
		.amdhsa_tg_split 0
		.amdhsa_exception_fp_ieee_invalid_op 0
		.amdhsa_exception_fp_denorm_src 0
		.amdhsa_exception_fp_ieee_div_zero 0
		.amdhsa_exception_fp_ieee_overflow 0
		.amdhsa_exception_fp_ieee_underflow 0
		.amdhsa_exception_fp_ieee_inexact 0
		.amdhsa_exception_int_div_zero 0
	.end_amdhsa_kernel
	.section	.text._ZN7rocprim17ROCPRIM_400000_NS6detail17trampoline_kernelINS0_14default_configENS1_35adjacent_difference_config_selectorILb1EsEEZNS1_24adjacent_difference_implIS3_Lb1ELb0EPsS7_N6thrust23THRUST_200600_302600_NS4plusIsEEEE10hipError_tPvRmT2_T3_mT4_P12ihipStream_tbEUlT_E_NS1_11comp_targetILNS1_3genE0ELNS1_11target_archE4294967295ELNS1_3gpuE0ELNS1_3repE0EEENS1_30default_config_static_selectorELNS0_4arch9wavefront6targetE1EEEvT1_,"axG",@progbits,_ZN7rocprim17ROCPRIM_400000_NS6detail17trampoline_kernelINS0_14default_configENS1_35adjacent_difference_config_selectorILb1EsEEZNS1_24adjacent_difference_implIS3_Lb1ELb0EPsS7_N6thrust23THRUST_200600_302600_NS4plusIsEEEE10hipError_tPvRmT2_T3_mT4_P12ihipStream_tbEUlT_E_NS1_11comp_targetILNS1_3genE0ELNS1_11target_archE4294967295ELNS1_3gpuE0ELNS1_3repE0EEENS1_30default_config_static_selectorELNS0_4arch9wavefront6targetE1EEEvT1_,comdat
.Lfunc_end94:
	.size	_ZN7rocprim17ROCPRIM_400000_NS6detail17trampoline_kernelINS0_14default_configENS1_35adjacent_difference_config_selectorILb1EsEEZNS1_24adjacent_difference_implIS3_Lb1ELb0EPsS7_N6thrust23THRUST_200600_302600_NS4plusIsEEEE10hipError_tPvRmT2_T3_mT4_P12ihipStream_tbEUlT_E_NS1_11comp_targetILNS1_3genE0ELNS1_11target_archE4294967295ELNS1_3gpuE0ELNS1_3repE0EEENS1_30default_config_static_selectorELNS0_4arch9wavefront6targetE1EEEvT1_, .Lfunc_end94-_ZN7rocprim17ROCPRIM_400000_NS6detail17trampoline_kernelINS0_14default_configENS1_35adjacent_difference_config_selectorILb1EsEEZNS1_24adjacent_difference_implIS3_Lb1ELb0EPsS7_N6thrust23THRUST_200600_302600_NS4plusIsEEEE10hipError_tPvRmT2_T3_mT4_P12ihipStream_tbEUlT_E_NS1_11comp_targetILNS1_3genE0ELNS1_11target_archE4294967295ELNS1_3gpuE0ELNS1_3repE0EEENS1_30default_config_static_selectorELNS0_4arch9wavefront6targetE1EEEvT1_
                                        ; -- End function
	.section	.AMDGPU.csdata,"",@progbits
; Kernel info:
; codeLenInByte = 0
; NumSgprs: 4
; NumVgprs: 0
; NumAgprs: 0
; TotalNumVgprs: 0
; ScratchSize: 0
; MemoryBound: 0
; FloatMode: 240
; IeeeMode: 1
; LDSByteSize: 0 bytes/workgroup (compile time only)
; SGPRBlocks: 0
; VGPRBlocks: 0
; NumSGPRsForWavesPerEU: 4
; NumVGPRsForWavesPerEU: 1
; AccumOffset: 4
; Occupancy: 8
; WaveLimiterHint : 0
; COMPUTE_PGM_RSRC2:SCRATCH_EN: 0
; COMPUTE_PGM_RSRC2:USER_SGPR: 6
; COMPUTE_PGM_RSRC2:TRAP_HANDLER: 0
; COMPUTE_PGM_RSRC2:TGID_X_EN: 1
; COMPUTE_PGM_RSRC2:TGID_Y_EN: 0
; COMPUTE_PGM_RSRC2:TGID_Z_EN: 0
; COMPUTE_PGM_RSRC2:TIDIG_COMP_CNT: 0
; COMPUTE_PGM_RSRC3_GFX90A:ACCUM_OFFSET: 0
; COMPUTE_PGM_RSRC3_GFX90A:TG_SPLIT: 0
	.section	.text._ZN7rocprim17ROCPRIM_400000_NS6detail17trampoline_kernelINS0_14default_configENS1_35adjacent_difference_config_selectorILb1EsEEZNS1_24adjacent_difference_implIS3_Lb1ELb0EPsS7_N6thrust23THRUST_200600_302600_NS4plusIsEEEE10hipError_tPvRmT2_T3_mT4_P12ihipStream_tbEUlT_E_NS1_11comp_targetILNS1_3genE10ELNS1_11target_archE1201ELNS1_3gpuE5ELNS1_3repE0EEENS1_30default_config_static_selectorELNS0_4arch9wavefront6targetE1EEEvT1_,"axG",@progbits,_ZN7rocprim17ROCPRIM_400000_NS6detail17trampoline_kernelINS0_14default_configENS1_35adjacent_difference_config_selectorILb1EsEEZNS1_24adjacent_difference_implIS3_Lb1ELb0EPsS7_N6thrust23THRUST_200600_302600_NS4plusIsEEEE10hipError_tPvRmT2_T3_mT4_P12ihipStream_tbEUlT_E_NS1_11comp_targetILNS1_3genE10ELNS1_11target_archE1201ELNS1_3gpuE5ELNS1_3repE0EEENS1_30default_config_static_selectorELNS0_4arch9wavefront6targetE1EEEvT1_,comdat
	.protected	_ZN7rocprim17ROCPRIM_400000_NS6detail17trampoline_kernelINS0_14default_configENS1_35adjacent_difference_config_selectorILb1EsEEZNS1_24adjacent_difference_implIS3_Lb1ELb0EPsS7_N6thrust23THRUST_200600_302600_NS4plusIsEEEE10hipError_tPvRmT2_T3_mT4_P12ihipStream_tbEUlT_E_NS1_11comp_targetILNS1_3genE10ELNS1_11target_archE1201ELNS1_3gpuE5ELNS1_3repE0EEENS1_30default_config_static_selectorELNS0_4arch9wavefront6targetE1EEEvT1_ ; -- Begin function _ZN7rocprim17ROCPRIM_400000_NS6detail17trampoline_kernelINS0_14default_configENS1_35adjacent_difference_config_selectorILb1EsEEZNS1_24adjacent_difference_implIS3_Lb1ELb0EPsS7_N6thrust23THRUST_200600_302600_NS4plusIsEEEE10hipError_tPvRmT2_T3_mT4_P12ihipStream_tbEUlT_E_NS1_11comp_targetILNS1_3genE10ELNS1_11target_archE1201ELNS1_3gpuE5ELNS1_3repE0EEENS1_30default_config_static_selectorELNS0_4arch9wavefront6targetE1EEEvT1_
	.globl	_ZN7rocprim17ROCPRIM_400000_NS6detail17trampoline_kernelINS0_14default_configENS1_35adjacent_difference_config_selectorILb1EsEEZNS1_24adjacent_difference_implIS3_Lb1ELb0EPsS7_N6thrust23THRUST_200600_302600_NS4plusIsEEEE10hipError_tPvRmT2_T3_mT4_P12ihipStream_tbEUlT_E_NS1_11comp_targetILNS1_3genE10ELNS1_11target_archE1201ELNS1_3gpuE5ELNS1_3repE0EEENS1_30default_config_static_selectorELNS0_4arch9wavefront6targetE1EEEvT1_
	.p2align	8
	.type	_ZN7rocprim17ROCPRIM_400000_NS6detail17trampoline_kernelINS0_14default_configENS1_35adjacent_difference_config_selectorILb1EsEEZNS1_24adjacent_difference_implIS3_Lb1ELb0EPsS7_N6thrust23THRUST_200600_302600_NS4plusIsEEEE10hipError_tPvRmT2_T3_mT4_P12ihipStream_tbEUlT_E_NS1_11comp_targetILNS1_3genE10ELNS1_11target_archE1201ELNS1_3gpuE5ELNS1_3repE0EEENS1_30default_config_static_selectorELNS0_4arch9wavefront6targetE1EEEvT1_,@function
_ZN7rocprim17ROCPRIM_400000_NS6detail17trampoline_kernelINS0_14default_configENS1_35adjacent_difference_config_selectorILb1EsEEZNS1_24adjacent_difference_implIS3_Lb1ELb0EPsS7_N6thrust23THRUST_200600_302600_NS4plusIsEEEE10hipError_tPvRmT2_T3_mT4_P12ihipStream_tbEUlT_E_NS1_11comp_targetILNS1_3genE10ELNS1_11target_archE1201ELNS1_3gpuE5ELNS1_3repE0EEENS1_30default_config_static_selectorELNS0_4arch9wavefront6targetE1EEEvT1_: ; @_ZN7rocprim17ROCPRIM_400000_NS6detail17trampoline_kernelINS0_14default_configENS1_35adjacent_difference_config_selectorILb1EsEEZNS1_24adjacent_difference_implIS3_Lb1ELb0EPsS7_N6thrust23THRUST_200600_302600_NS4plusIsEEEE10hipError_tPvRmT2_T3_mT4_P12ihipStream_tbEUlT_E_NS1_11comp_targetILNS1_3genE10ELNS1_11target_archE1201ELNS1_3gpuE5ELNS1_3repE0EEENS1_30default_config_static_selectorELNS0_4arch9wavefront6targetE1EEEvT1_
; %bb.0:
	.section	.rodata,"a",@progbits
	.p2align	6, 0x0
	.amdhsa_kernel _ZN7rocprim17ROCPRIM_400000_NS6detail17trampoline_kernelINS0_14default_configENS1_35adjacent_difference_config_selectorILb1EsEEZNS1_24adjacent_difference_implIS3_Lb1ELb0EPsS7_N6thrust23THRUST_200600_302600_NS4plusIsEEEE10hipError_tPvRmT2_T3_mT4_P12ihipStream_tbEUlT_E_NS1_11comp_targetILNS1_3genE10ELNS1_11target_archE1201ELNS1_3gpuE5ELNS1_3repE0EEENS1_30default_config_static_selectorELNS0_4arch9wavefront6targetE1EEEvT1_
		.amdhsa_group_segment_fixed_size 0
		.amdhsa_private_segment_fixed_size 0
		.amdhsa_kernarg_size 56
		.amdhsa_user_sgpr_count 6
		.amdhsa_user_sgpr_private_segment_buffer 1
		.amdhsa_user_sgpr_dispatch_ptr 0
		.amdhsa_user_sgpr_queue_ptr 0
		.amdhsa_user_sgpr_kernarg_segment_ptr 1
		.amdhsa_user_sgpr_dispatch_id 0
		.amdhsa_user_sgpr_flat_scratch_init 0
		.amdhsa_user_sgpr_kernarg_preload_length 0
		.amdhsa_user_sgpr_kernarg_preload_offset 0
		.amdhsa_user_sgpr_private_segment_size 0
		.amdhsa_uses_dynamic_stack 0
		.amdhsa_system_sgpr_private_segment_wavefront_offset 0
		.amdhsa_system_sgpr_workgroup_id_x 1
		.amdhsa_system_sgpr_workgroup_id_y 0
		.amdhsa_system_sgpr_workgroup_id_z 0
		.amdhsa_system_sgpr_workgroup_info 0
		.amdhsa_system_vgpr_workitem_id 0
		.amdhsa_next_free_vgpr 1
		.amdhsa_next_free_sgpr 0
		.amdhsa_accum_offset 4
		.amdhsa_reserve_vcc 0
		.amdhsa_reserve_flat_scratch 0
		.amdhsa_float_round_mode_32 0
		.amdhsa_float_round_mode_16_64 0
		.amdhsa_float_denorm_mode_32 3
		.amdhsa_float_denorm_mode_16_64 3
		.amdhsa_dx10_clamp 1
		.amdhsa_ieee_mode 1
		.amdhsa_fp16_overflow 0
		.amdhsa_tg_split 0
		.amdhsa_exception_fp_ieee_invalid_op 0
		.amdhsa_exception_fp_denorm_src 0
		.amdhsa_exception_fp_ieee_div_zero 0
		.amdhsa_exception_fp_ieee_overflow 0
		.amdhsa_exception_fp_ieee_underflow 0
		.amdhsa_exception_fp_ieee_inexact 0
		.amdhsa_exception_int_div_zero 0
	.end_amdhsa_kernel
	.section	.text._ZN7rocprim17ROCPRIM_400000_NS6detail17trampoline_kernelINS0_14default_configENS1_35adjacent_difference_config_selectorILb1EsEEZNS1_24adjacent_difference_implIS3_Lb1ELb0EPsS7_N6thrust23THRUST_200600_302600_NS4plusIsEEEE10hipError_tPvRmT2_T3_mT4_P12ihipStream_tbEUlT_E_NS1_11comp_targetILNS1_3genE10ELNS1_11target_archE1201ELNS1_3gpuE5ELNS1_3repE0EEENS1_30default_config_static_selectorELNS0_4arch9wavefront6targetE1EEEvT1_,"axG",@progbits,_ZN7rocprim17ROCPRIM_400000_NS6detail17trampoline_kernelINS0_14default_configENS1_35adjacent_difference_config_selectorILb1EsEEZNS1_24adjacent_difference_implIS3_Lb1ELb0EPsS7_N6thrust23THRUST_200600_302600_NS4plusIsEEEE10hipError_tPvRmT2_T3_mT4_P12ihipStream_tbEUlT_E_NS1_11comp_targetILNS1_3genE10ELNS1_11target_archE1201ELNS1_3gpuE5ELNS1_3repE0EEENS1_30default_config_static_selectorELNS0_4arch9wavefront6targetE1EEEvT1_,comdat
.Lfunc_end95:
	.size	_ZN7rocprim17ROCPRIM_400000_NS6detail17trampoline_kernelINS0_14default_configENS1_35adjacent_difference_config_selectorILb1EsEEZNS1_24adjacent_difference_implIS3_Lb1ELb0EPsS7_N6thrust23THRUST_200600_302600_NS4plusIsEEEE10hipError_tPvRmT2_T3_mT4_P12ihipStream_tbEUlT_E_NS1_11comp_targetILNS1_3genE10ELNS1_11target_archE1201ELNS1_3gpuE5ELNS1_3repE0EEENS1_30default_config_static_selectorELNS0_4arch9wavefront6targetE1EEEvT1_, .Lfunc_end95-_ZN7rocprim17ROCPRIM_400000_NS6detail17trampoline_kernelINS0_14default_configENS1_35adjacent_difference_config_selectorILb1EsEEZNS1_24adjacent_difference_implIS3_Lb1ELb0EPsS7_N6thrust23THRUST_200600_302600_NS4plusIsEEEE10hipError_tPvRmT2_T3_mT4_P12ihipStream_tbEUlT_E_NS1_11comp_targetILNS1_3genE10ELNS1_11target_archE1201ELNS1_3gpuE5ELNS1_3repE0EEENS1_30default_config_static_selectorELNS0_4arch9wavefront6targetE1EEEvT1_
                                        ; -- End function
	.section	.AMDGPU.csdata,"",@progbits
; Kernel info:
; codeLenInByte = 0
; NumSgprs: 4
; NumVgprs: 0
; NumAgprs: 0
; TotalNumVgprs: 0
; ScratchSize: 0
; MemoryBound: 0
; FloatMode: 240
; IeeeMode: 1
; LDSByteSize: 0 bytes/workgroup (compile time only)
; SGPRBlocks: 0
; VGPRBlocks: 0
; NumSGPRsForWavesPerEU: 4
; NumVGPRsForWavesPerEU: 1
; AccumOffset: 4
; Occupancy: 8
; WaveLimiterHint : 0
; COMPUTE_PGM_RSRC2:SCRATCH_EN: 0
; COMPUTE_PGM_RSRC2:USER_SGPR: 6
; COMPUTE_PGM_RSRC2:TRAP_HANDLER: 0
; COMPUTE_PGM_RSRC2:TGID_X_EN: 1
; COMPUTE_PGM_RSRC2:TGID_Y_EN: 0
; COMPUTE_PGM_RSRC2:TGID_Z_EN: 0
; COMPUTE_PGM_RSRC2:TIDIG_COMP_CNT: 0
; COMPUTE_PGM_RSRC3_GFX90A:ACCUM_OFFSET: 0
; COMPUTE_PGM_RSRC3_GFX90A:TG_SPLIT: 0
	.section	.text._ZN7rocprim17ROCPRIM_400000_NS6detail17trampoline_kernelINS0_14default_configENS1_35adjacent_difference_config_selectorILb1EsEEZNS1_24adjacent_difference_implIS3_Lb1ELb0EPsS7_N6thrust23THRUST_200600_302600_NS4plusIsEEEE10hipError_tPvRmT2_T3_mT4_P12ihipStream_tbEUlT_E_NS1_11comp_targetILNS1_3genE5ELNS1_11target_archE942ELNS1_3gpuE9ELNS1_3repE0EEENS1_30default_config_static_selectorELNS0_4arch9wavefront6targetE1EEEvT1_,"axG",@progbits,_ZN7rocprim17ROCPRIM_400000_NS6detail17trampoline_kernelINS0_14default_configENS1_35adjacent_difference_config_selectorILb1EsEEZNS1_24adjacent_difference_implIS3_Lb1ELb0EPsS7_N6thrust23THRUST_200600_302600_NS4plusIsEEEE10hipError_tPvRmT2_T3_mT4_P12ihipStream_tbEUlT_E_NS1_11comp_targetILNS1_3genE5ELNS1_11target_archE942ELNS1_3gpuE9ELNS1_3repE0EEENS1_30default_config_static_selectorELNS0_4arch9wavefront6targetE1EEEvT1_,comdat
	.protected	_ZN7rocprim17ROCPRIM_400000_NS6detail17trampoline_kernelINS0_14default_configENS1_35adjacent_difference_config_selectorILb1EsEEZNS1_24adjacent_difference_implIS3_Lb1ELb0EPsS7_N6thrust23THRUST_200600_302600_NS4plusIsEEEE10hipError_tPvRmT2_T3_mT4_P12ihipStream_tbEUlT_E_NS1_11comp_targetILNS1_3genE5ELNS1_11target_archE942ELNS1_3gpuE9ELNS1_3repE0EEENS1_30default_config_static_selectorELNS0_4arch9wavefront6targetE1EEEvT1_ ; -- Begin function _ZN7rocprim17ROCPRIM_400000_NS6detail17trampoline_kernelINS0_14default_configENS1_35adjacent_difference_config_selectorILb1EsEEZNS1_24adjacent_difference_implIS3_Lb1ELb0EPsS7_N6thrust23THRUST_200600_302600_NS4plusIsEEEE10hipError_tPvRmT2_T3_mT4_P12ihipStream_tbEUlT_E_NS1_11comp_targetILNS1_3genE5ELNS1_11target_archE942ELNS1_3gpuE9ELNS1_3repE0EEENS1_30default_config_static_selectorELNS0_4arch9wavefront6targetE1EEEvT1_
	.globl	_ZN7rocprim17ROCPRIM_400000_NS6detail17trampoline_kernelINS0_14default_configENS1_35adjacent_difference_config_selectorILb1EsEEZNS1_24adjacent_difference_implIS3_Lb1ELb0EPsS7_N6thrust23THRUST_200600_302600_NS4plusIsEEEE10hipError_tPvRmT2_T3_mT4_P12ihipStream_tbEUlT_E_NS1_11comp_targetILNS1_3genE5ELNS1_11target_archE942ELNS1_3gpuE9ELNS1_3repE0EEENS1_30default_config_static_selectorELNS0_4arch9wavefront6targetE1EEEvT1_
	.p2align	8
	.type	_ZN7rocprim17ROCPRIM_400000_NS6detail17trampoline_kernelINS0_14default_configENS1_35adjacent_difference_config_selectorILb1EsEEZNS1_24adjacent_difference_implIS3_Lb1ELb0EPsS7_N6thrust23THRUST_200600_302600_NS4plusIsEEEE10hipError_tPvRmT2_T3_mT4_P12ihipStream_tbEUlT_E_NS1_11comp_targetILNS1_3genE5ELNS1_11target_archE942ELNS1_3gpuE9ELNS1_3repE0EEENS1_30default_config_static_selectorELNS0_4arch9wavefront6targetE1EEEvT1_,@function
_ZN7rocprim17ROCPRIM_400000_NS6detail17trampoline_kernelINS0_14default_configENS1_35adjacent_difference_config_selectorILb1EsEEZNS1_24adjacent_difference_implIS3_Lb1ELb0EPsS7_N6thrust23THRUST_200600_302600_NS4plusIsEEEE10hipError_tPvRmT2_T3_mT4_P12ihipStream_tbEUlT_E_NS1_11comp_targetILNS1_3genE5ELNS1_11target_archE942ELNS1_3gpuE9ELNS1_3repE0EEENS1_30default_config_static_selectorELNS0_4arch9wavefront6targetE1EEEvT1_: ; @_ZN7rocprim17ROCPRIM_400000_NS6detail17trampoline_kernelINS0_14default_configENS1_35adjacent_difference_config_selectorILb1EsEEZNS1_24adjacent_difference_implIS3_Lb1ELb0EPsS7_N6thrust23THRUST_200600_302600_NS4plusIsEEEE10hipError_tPvRmT2_T3_mT4_P12ihipStream_tbEUlT_E_NS1_11comp_targetILNS1_3genE5ELNS1_11target_archE942ELNS1_3gpuE9ELNS1_3repE0EEENS1_30default_config_static_selectorELNS0_4arch9wavefront6targetE1EEEvT1_
; %bb.0:
	.section	.rodata,"a",@progbits
	.p2align	6, 0x0
	.amdhsa_kernel _ZN7rocprim17ROCPRIM_400000_NS6detail17trampoline_kernelINS0_14default_configENS1_35adjacent_difference_config_selectorILb1EsEEZNS1_24adjacent_difference_implIS3_Lb1ELb0EPsS7_N6thrust23THRUST_200600_302600_NS4plusIsEEEE10hipError_tPvRmT2_T3_mT4_P12ihipStream_tbEUlT_E_NS1_11comp_targetILNS1_3genE5ELNS1_11target_archE942ELNS1_3gpuE9ELNS1_3repE0EEENS1_30default_config_static_selectorELNS0_4arch9wavefront6targetE1EEEvT1_
		.amdhsa_group_segment_fixed_size 0
		.amdhsa_private_segment_fixed_size 0
		.amdhsa_kernarg_size 56
		.amdhsa_user_sgpr_count 6
		.amdhsa_user_sgpr_private_segment_buffer 1
		.amdhsa_user_sgpr_dispatch_ptr 0
		.amdhsa_user_sgpr_queue_ptr 0
		.amdhsa_user_sgpr_kernarg_segment_ptr 1
		.amdhsa_user_sgpr_dispatch_id 0
		.amdhsa_user_sgpr_flat_scratch_init 0
		.amdhsa_user_sgpr_kernarg_preload_length 0
		.amdhsa_user_sgpr_kernarg_preload_offset 0
		.amdhsa_user_sgpr_private_segment_size 0
		.amdhsa_uses_dynamic_stack 0
		.amdhsa_system_sgpr_private_segment_wavefront_offset 0
		.amdhsa_system_sgpr_workgroup_id_x 1
		.amdhsa_system_sgpr_workgroup_id_y 0
		.amdhsa_system_sgpr_workgroup_id_z 0
		.amdhsa_system_sgpr_workgroup_info 0
		.amdhsa_system_vgpr_workitem_id 0
		.amdhsa_next_free_vgpr 1
		.amdhsa_next_free_sgpr 0
		.amdhsa_accum_offset 4
		.amdhsa_reserve_vcc 0
		.amdhsa_reserve_flat_scratch 0
		.amdhsa_float_round_mode_32 0
		.amdhsa_float_round_mode_16_64 0
		.amdhsa_float_denorm_mode_32 3
		.amdhsa_float_denorm_mode_16_64 3
		.amdhsa_dx10_clamp 1
		.amdhsa_ieee_mode 1
		.amdhsa_fp16_overflow 0
		.amdhsa_tg_split 0
		.amdhsa_exception_fp_ieee_invalid_op 0
		.amdhsa_exception_fp_denorm_src 0
		.amdhsa_exception_fp_ieee_div_zero 0
		.amdhsa_exception_fp_ieee_overflow 0
		.amdhsa_exception_fp_ieee_underflow 0
		.amdhsa_exception_fp_ieee_inexact 0
		.amdhsa_exception_int_div_zero 0
	.end_amdhsa_kernel
	.section	.text._ZN7rocprim17ROCPRIM_400000_NS6detail17trampoline_kernelINS0_14default_configENS1_35adjacent_difference_config_selectorILb1EsEEZNS1_24adjacent_difference_implIS3_Lb1ELb0EPsS7_N6thrust23THRUST_200600_302600_NS4plusIsEEEE10hipError_tPvRmT2_T3_mT4_P12ihipStream_tbEUlT_E_NS1_11comp_targetILNS1_3genE5ELNS1_11target_archE942ELNS1_3gpuE9ELNS1_3repE0EEENS1_30default_config_static_selectorELNS0_4arch9wavefront6targetE1EEEvT1_,"axG",@progbits,_ZN7rocprim17ROCPRIM_400000_NS6detail17trampoline_kernelINS0_14default_configENS1_35adjacent_difference_config_selectorILb1EsEEZNS1_24adjacent_difference_implIS3_Lb1ELb0EPsS7_N6thrust23THRUST_200600_302600_NS4plusIsEEEE10hipError_tPvRmT2_T3_mT4_P12ihipStream_tbEUlT_E_NS1_11comp_targetILNS1_3genE5ELNS1_11target_archE942ELNS1_3gpuE9ELNS1_3repE0EEENS1_30default_config_static_selectorELNS0_4arch9wavefront6targetE1EEEvT1_,comdat
.Lfunc_end96:
	.size	_ZN7rocprim17ROCPRIM_400000_NS6detail17trampoline_kernelINS0_14default_configENS1_35adjacent_difference_config_selectorILb1EsEEZNS1_24adjacent_difference_implIS3_Lb1ELb0EPsS7_N6thrust23THRUST_200600_302600_NS4plusIsEEEE10hipError_tPvRmT2_T3_mT4_P12ihipStream_tbEUlT_E_NS1_11comp_targetILNS1_3genE5ELNS1_11target_archE942ELNS1_3gpuE9ELNS1_3repE0EEENS1_30default_config_static_selectorELNS0_4arch9wavefront6targetE1EEEvT1_, .Lfunc_end96-_ZN7rocprim17ROCPRIM_400000_NS6detail17trampoline_kernelINS0_14default_configENS1_35adjacent_difference_config_selectorILb1EsEEZNS1_24adjacent_difference_implIS3_Lb1ELb0EPsS7_N6thrust23THRUST_200600_302600_NS4plusIsEEEE10hipError_tPvRmT2_T3_mT4_P12ihipStream_tbEUlT_E_NS1_11comp_targetILNS1_3genE5ELNS1_11target_archE942ELNS1_3gpuE9ELNS1_3repE0EEENS1_30default_config_static_selectorELNS0_4arch9wavefront6targetE1EEEvT1_
                                        ; -- End function
	.section	.AMDGPU.csdata,"",@progbits
; Kernel info:
; codeLenInByte = 0
; NumSgprs: 4
; NumVgprs: 0
; NumAgprs: 0
; TotalNumVgprs: 0
; ScratchSize: 0
; MemoryBound: 0
; FloatMode: 240
; IeeeMode: 1
; LDSByteSize: 0 bytes/workgroup (compile time only)
; SGPRBlocks: 0
; VGPRBlocks: 0
; NumSGPRsForWavesPerEU: 4
; NumVGPRsForWavesPerEU: 1
; AccumOffset: 4
; Occupancy: 8
; WaveLimiterHint : 0
; COMPUTE_PGM_RSRC2:SCRATCH_EN: 0
; COMPUTE_PGM_RSRC2:USER_SGPR: 6
; COMPUTE_PGM_RSRC2:TRAP_HANDLER: 0
; COMPUTE_PGM_RSRC2:TGID_X_EN: 1
; COMPUTE_PGM_RSRC2:TGID_Y_EN: 0
; COMPUTE_PGM_RSRC2:TGID_Z_EN: 0
; COMPUTE_PGM_RSRC2:TIDIG_COMP_CNT: 0
; COMPUTE_PGM_RSRC3_GFX90A:ACCUM_OFFSET: 0
; COMPUTE_PGM_RSRC3_GFX90A:TG_SPLIT: 0
	.section	.text._ZN7rocprim17ROCPRIM_400000_NS6detail17trampoline_kernelINS0_14default_configENS1_35adjacent_difference_config_selectorILb1EsEEZNS1_24adjacent_difference_implIS3_Lb1ELb0EPsS7_N6thrust23THRUST_200600_302600_NS4plusIsEEEE10hipError_tPvRmT2_T3_mT4_P12ihipStream_tbEUlT_E_NS1_11comp_targetILNS1_3genE4ELNS1_11target_archE910ELNS1_3gpuE8ELNS1_3repE0EEENS1_30default_config_static_selectorELNS0_4arch9wavefront6targetE1EEEvT1_,"axG",@progbits,_ZN7rocprim17ROCPRIM_400000_NS6detail17trampoline_kernelINS0_14default_configENS1_35adjacent_difference_config_selectorILb1EsEEZNS1_24adjacent_difference_implIS3_Lb1ELb0EPsS7_N6thrust23THRUST_200600_302600_NS4plusIsEEEE10hipError_tPvRmT2_T3_mT4_P12ihipStream_tbEUlT_E_NS1_11comp_targetILNS1_3genE4ELNS1_11target_archE910ELNS1_3gpuE8ELNS1_3repE0EEENS1_30default_config_static_selectorELNS0_4arch9wavefront6targetE1EEEvT1_,comdat
	.protected	_ZN7rocprim17ROCPRIM_400000_NS6detail17trampoline_kernelINS0_14default_configENS1_35adjacent_difference_config_selectorILb1EsEEZNS1_24adjacent_difference_implIS3_Lb1ELb0EPsS7_N6thrust23THRUST_200600_302600_NS4plusIsEEEE10hipError_tPvRmT2_T3_mT4_P12ihipStream_tbEUlT_E_NS1_11comp_targetILNS1_3genE4ELNS1_11target_archE910ELNS1_3gpuE8ELNS1_3repE0EEENS1_30default_config_static_selectorELNS0_4arch9wavefront6targetE1EEEvT1_ ; -- Begin function _ZN7rocprim17ROCPRIM_400000_NS6detail17trampoline_kernelINS0_14default_configENS1_35adjacent_difference_config_selectorILb1EsEEZNS1_24adjacent_difference_implIS3_Lb1ELb0EPsS7_N6thrust23THRUST_200600_302600_NS4plusIsEEEE10hipError_tPvRmT2_T3_mT4_P12ihipStream_tbEUlT_E_NS1_11comp_targetILNS1_3genE4ELNS1_11target_archE910ELNS1_3gpuE8ELNS1_3repE0EEENS1_30default_config_static_selectorELNS0_4arch9wavefront6targetE1EEEvT1_
	.globl	_ZN7rocprim17ROCPRIM_400000_NS6detail17trampoline_kernelINS0_14default_configENS1_35adjacent_difference_config_selectorILb1EsEEZNS1_24adjacent_difference_implIS3_Lb1ELb0EPsS7_N6thrust23THRUST_200600_302600_NS4plusIsEEEE10hipError_tPvRmT2_T3_mT4_P12ihipStream_tbEUlT_E_NS1_11comp_targetILNS1_3genE4ELNS1_11target_archE910ELNS1_3gpuE8ELNS1_3repE0EEENS1_30default_config_static_selectorELNS0_4arch9wavefront6targetE1EEEvT1_
	.p2align	8
	.type	_ZN7rocprim17ROCPRIM_400000_NS6detail17trampoline_kernelINS0_14default_configENS1_35adjacent_difference_config_selectorILb1EsEEZNS1_24adjacent_difference_implIS3_Lb1ELb0EPsS7_N6thrust23THRUST_200600_302600_NS4plusIsEEEE10hipError_tPvRmT2_T3_mT4_P12ihipStream_tbEUlT_E_NS1_11comp_targetILNS1_3genE4ELNS1_11target_archE910ELNS1_3gpuE8ELNS1_3repE0EEENS1_30default_config_static_selectorELNS0_4arch9wavefront6targetE1EEEvT1_,@function
_ZN7rocprim17ROCPRIM_400000_NS6detail17trampoline_kernelINS0_14default_configENS1_35adjacent_difference_config_selectorILb1EsEEZNS1_24adjacent_difference_implIS3_Lb1ELb0EPsS7_N6thrust23THRUST_200600_302600_NS4plusIsEEEE10hipError_tPvRmT2_T3_mT4_P12ihipStream_tbEUlT_E_NS1_11comp_targetILNS1_3genE4ELNS1_11target_archE910ELNS1_3gpuE8ELNS1_3repE0EEENS1_30default_config_static_selectorELNS0_4arch9wavefront6targetE1EEEvT1_: ; @_ZN7rocprim17ROCPRIM_400000_NS6detail17trampoline_kernelINS0_14default_configENS1_35adjacent_difference_config_selectorILb1EsEEZNS1_24adjacent_difference_implIS3_Lb1ELb0EPsS7_N6thrust23THRUST_200600_302600_NS4plusIsEEEE10hipError_tPvRmT2_T3_mT4_P12ihipStream_tbEUlT_E_NS1_11comp_targetILNS1_3genE4ELNS1_11target_archE910ELNS1_3gpuE8ELNS1_3repE0EEENS1_30default_config_static_selectorELNS0_4arch9wavefront6targetE1EEEvT1_
; %bb.0:
	s_load_dwordx8 s[8:15], s[4:5], 0x0
	s_mov_b32 s0, 0xfc3c3710
	s_load_dwordx4 s[16:19], s[4:5], 0x28
	s_movk_i32 s2, 0x440
	s_mul_i32 s4, s6, 0x440
	s_waitcnt lgkmcnt(0)
	s_lshl_b64 s[10:11], s[10:11], 1
	s_add_u32 s26, s8, s10
	s_addc_u32 s27, s9, s11
	s_add_u32 s0, 0x10c, s0
	s_addc_u32 s3, 0, 0
	v_add_co_u32_e64 v1, s[0:1], s0, 2.0
	s_cmp_lg_u64 s[0:1], 0
	s_addc_u32 s0, s3, 0x3c3c3b
	v_readfirstlane_b32 s3, v1
	s_mul_hi_u32 s5, s3, 0xfffffbc0
	s_mul_i32 s1, s0, 0xfffffbc0
	s_sub_i32 s5, s5, s3
	s_add_i32 s5, s5, s1
	s_mul_i32 s9, s3, 0xfffffbc0
	s_mul_hi_u32 s1, s3, s5
	s_mul_i32 s8, s3, s5
	s_mul_hi_u32 s3, s3, s9
	s_add_u32 s3, s3, s8
	s_addc_u32 s1, 0, s1
	s_mul_hi_u32 s20, s0, s9
	s_mul_i32 s9, s0, s9
	s_add_u32 s3, s3, s9
	s_mul_hi_u32 s8, s0, s5
	s_addc_u32 s1, s1, s20
	s_addc_u32 s3, s8, 0
	s_mul_i32 s5, s0, s5
	s_add_u32 s1, s1, s5
	s_addc_u32 s3, 0, s3
	v_add_co_u32_e32 v1, vcc, s1, v1
	s_cmp_lg_u64 vcc, 0
	s_addc_u32 s0, s0, s3
	v_readfirstlane_b32 s5, v1
	s_mul_i32 s3, s14, s0
	s_mul_hi_u32 s8, s14, s5
	s_mul_hi_u32 s1, s14, s0
	s_add_u32 s3, s8, s3
	s_addc_u32 s1, 0, s1
	s_mul_hi_u32 s9, s15, s5
	s_mul_i32 s5, s15, s5
	s_add_u32 s3, s3, s5
	s_mul_hi_u32 s8, s15, s0
	s_addc_u32 s1, s1, s9
	s_addc_u32 s3, s8, 0
	s_mul_i32 s0, s15, s0
	s_add_u32 s0, s1, s0
	s_addc_u32 s1, 0, s3
	s_add_u32 s3, s0, 1
	s_addc_u32 s5, s1, 0
	s_add_u32 s8, s0, 2
	s_mul_i32 s20, s1, 0x440
	s_mul_hi_u32 s21, s0, 0x440
	s_addc_u32 s9, s1, 0
	s_add_i32 s21, s21, s20
	s_mul_i32 s20, s0, 0x440
	v_mov_b32_e32 v1, s20
	v_sub_co_u32_e32 v1, vcc, s14, v1
	s_cmp_lg_u64 vcc, 0
	s_subb_u32 s20, s15, s21
	v_subrev_co_u32_e32 v2, vcc, s2, v1
	s_cmp_lg_u64 vcc, 0
	s_subb_u32 s2, s20, 0
	v_readfirstlane_b32 s21, v2
	s_cmpk_gt_u32 s21, 0x43f
	s_cselect_b32 s21, -1, 0
	s_cmp_eq_u32 s2, 0
	s_cselect_b32 s2, s21, -1
	s_cmp_lg_u32 s2, 0
	s_cselect_b32 s2, s8, s3
	s_cselect_b32 s3, s9, s5
	v_readfirstlane_b32 s5, v1
	s_cmpk_gt_u32 s5, 0x43f
	s_cselect_b32 s5, -1, 0
	s_cmp_eq_u32 s20, 0
	s_cselect_b32 s5, s5, -1
	s_cmp_lg_u32 s5, 0
	s_cselect_b32 s3, s3, s1
	s_cselect_b32 s2, s2, s0
	s_mul_i32 s0, s3, 0x440
	s_mul_hi_u32 s1, s2, 0x440
	s_add_i32 s1, s1, s0
	s_mul_i32 s0, s2, 0x440
	s_sub_u32 s0, s14, s0
	s_subb_u32 s1, s15, s1
	s_cmp_lg_u64 s[0:1], 0
	s_cselect_b64 s[0:1], -1, 0
	v_cndmask_b32_e64 v1, 0, 1, s[0:1]
	v_readfirstlane_b32 s0, v1
	s_add_u32 s2, s2, s0
	s_addc_u32 s3, s3, 0
	s_add_u32 s8, s18, s6
	s_addc_u32 s9, s19, 0
	s_add_u32 s20, s2, -1
	s_addc_u32 s21, s3, -1
	v_pk_mov_b32 v[2:3], s[20:21], s[20:21] op_sel:[0,1]
	v_cmp_ge_u64_e64 s[0:1], s[8:9], v[2:3]
	s_mov_b32 s7, 0
	s_mov_b64 s[22:23], -1
	s_and_b64 vcc, exec, s[0:1]
	s_mul_i32 s15, s20, 0xfffffbc0
	s_cbranch_vccz .LBB97_36
; %bb.1:
	s_mov_b32 s5, s7
	s_add_i32 s28, s15, s14
	s_lshl_b64 s[22:23], s[4:5], 1
	s_add_u32 s22, s26, s22
	s_addc_u32 s23, s27, s23
	v_cmp_gt_u32_e32 vcc, s28, v0
                                        ; implicit-def: $vgpr1
	s_and_saveexec_b64 s[24:25], vcc
	s_cbranch_execz .LBB97_3
; %bb.2:
	v_lshlrev_b32_e32 v1, 1, v0
	global_load_ushort v1, v1, s[22:23]
.LBB97_3:
	s_or_b64 exec, exec, s[24:25]
	v_or_b32_e32 v2, 64, v0
	v_cmp_gt_u32_e32 vcc, s28, v2
                                        ; implicit-def: $vgpr2
	s_and_saveexec_b64 s[24:25], vcc
	s_cbranch_execz .LBB97_5
; %bb.4:
	v_lshlrev_b32_e32 v2, 1, v0
	global_load_ushort v2, v2, s[22:23] offset:128
.LBB97_5:
	s_or_b64 exec, exec, s[24:25]
	v_or_b32_e32 v3, 0x80, v0
	v_cmp_gt_u32_e32 vcc, s28, v3
                                        ; implicit-def: $vgpr3
	s_and_saveexec_b64 s[24:25], vcc
	s_cbranch_execz .LBB97_7
; %bb.6:
	v_lshlrev_b32_e32 v3, 1, v0
	global_load_ushort v3, v3, s[22:23] offset:256
.LBB97_7:
	s_or_b64 exec, exec, s[24:25]
	v_or_b32_e32 v4, 0xc0, v0
	v_cmp_gt_u32_e32 vcc, s28, v4
                                        ; implicit-def: $vgpr4
	s_and_saveexec_b64 s[24:25], vcc
	s_cbranch_execz .LBB97_9
; %bb.8:
	v_lshlrev_b32_e32 v4, 1, v0
	global_load_ushort v4, v4, s[22:23] offset:384
.LBB97_9:
	s_or_b64 exec, exec, s[24:25]
	v_or_b32_e32 v5, 0x100, v0
	v_cmp_gt_u32_e32 vcc, s28, v5
                                        ; implicit-def: $vgpr5
	s_and_saveexec_b64 s[24:25], vcc
	s_cbranch_execz .LBB97_11
; %bb.10:
	v_lshlrev_b32_e32 v5, 1, v0
	global_load_ushort v5, v5, s[22:23] offset:512
.LBB97_11:
	s_or_b64 exec, exec, s[24:25]
	v_or_b32_e32 v6, 0x140, v0
	v_cmp_gt_u32_e32 vcc, s28, v6
                                        ; implicit-def: $vgpr6
	s_and_saveexec_b64 s[24:25], vcc
	s_cbranch_execz .LBB97_13
; %bb.12:
	v_lshlrev_b32_e32 v6, 1, v0
	global_load_ushort v6, v6, s[22:23] offset:640
.LBB97_13:
	s_or_b64 exec, exec, s[24:25]
	v_or_b32_e32 v7, 0x180, v0
	v_cmp_gt_u32_e32 vcc, s28, v7
                                        ; implicit-def: $vgpr7
	s_and_saveexec_b64 s[24:25], vcc
	s_cbranch_execz .LBB97_15
; %bb.14:
	v_lshlrev_b32_e32 v7, 1, v0
	global_load_ushort v7, v7, s[22:23] offset:768
.LBB97_15:
	s_or_b64 exec, exec, s[24:25]
	v_or_b32_e32 v8, 0x1c0, v0
	v_cmp_gt_u32_e32 vcc, s28, v8
                                        ; implicit-def: $vgpr8
	s_and_saveexec_b64 s[24:25], vcc
	s_cbranch_execz .LBB97_17
; %bb.16:
	v_lshlrev_b32_e32 v8, 1, v0
	global_load_ushort v8, v8, s[22:23] offset:896
.LBB97_17:
	s_or_b64 exec, exec, s[24:25]
	v_or_b32_e32 v9, 0x200, v0
	v_cmp_gt_u32_e32 vcc, s28, v9
                                        ; implicit-def: $vgpr9
	s_and_saveexec_b64 s[24:25], vcc
	s_cbranch_execz .LBB97_19
; %bb.18:
	v_lshlrev_b32_e32 v9, 1, v0
	global_load_ushort v9, v9, s[22:23] offset:1024
.LBB97_19:
	s_or_b64 exec, exec, s[24:25]
	v_or_b32_e32 v10, 0x240, v0
	v_cmp_gt_u32_e32 vcc, s28, v10
                                        ; implicit-def: $vgpr10
	s_and_saveexec_b64 s[24:25], vcc
	s_cbranch_execz .LBB97_21
; %bb.20:
	v_lshlrev_b32_e32 v10, 1, v0
	global_load_ushort v10, v10, s[22:23] offset:1152
.LBB97_21:
	s_or_b64 exec, exec, s[24:25]
	v_or_b32_e32 v11, 0x280, v0
	v_cmp_gt_u32_e32 vcc, s28, v11
                                        ; implicit-def: $vgpr11
	s_and_saveexec_b64 s[24:25], vcc
	s_cbranch_execz .LBB97_23
; %bb.22:
	v_lshlrev_b32_e32 v11, 1, v0
	global_load_ushort v11, v11, s[22:23] offset:1280
.LBB97_23:
	s_or_b64 exec, exec, s[24:25]
	v_or_b32_e32 v12, 0x2c0, v0
	v_cmp_gt_u32_e32 vcc, s28, v12
                                        ; implicit-def: $vgpr12
	s_and_saveexec_b64 s[24:25], vcc
	s_cbranch_execz .LBB97_25
; %bb.24:
	v_lshlrev_b32_e32 v12, 1, v0
	global_load_ushort v12, v12, s[22:23] offset:1408
.LBB97_25:
	s_or_b64 exec, exec, s[24:25]
	v_or_b32_e32 v13, 0x300, v0
	v_cmp_gt_u32_e32 vcc, s28, v13
                                        ; implicit-def: $vgpr13
	s_and_saveexec_b64 s[24:25], vcc
	s_cbranch_execz .LBB97_27
; %bb.26:
	v_lshlrev_b32_e32 v13, 1, v0
	global_load_ushort v13, v13, s[22:23] offset:1536
.LBB97_27:
	s_or_b64 exec, exec, s[24:25]
	v_or_b32_e32 v14, 0x340, v0
	v_cmp_gt_u32_e32 vcc, s28, v14
                                        ; implicit-def: $vgpr14
	s_and_saveexec_b64 s[24:25], vcc
	s_cbranch_execz .LBB97_29
; %bb.28:
	v_lshlrev_b32_e32 v14, 1, v0
	global_load_ushort v14, v14, s[22:23] offset:1664
.LBB97_29:
	s_or_b64 exec, exec, s[24:25]
	v_or_b32_e32 v15, 0x380, v0
	v_cmp_gt_u32_e32 vcc, s28, v15
                                        ; implicit-def: $vgpr15
	s_and_saveexec_b64 s[24:25], vcc
	s_cbranch_execz .LBB97_31
; %bb.30:
	v_lshlrev_b32_e32 v15, 1, v0
	global_load_ushort v15, v15, s[22:23] offset:1792
.LBB97_31:
	s_or_b64 exec, exec, s[24:25]
	v_or_b32_e32 v16, 0x3c0, v0
	v_cmp_gt_u32_e32 vcc, s28, v16
                                        ; implicit-def: $vgpr16
	s_and_saveexec_b64 s[24:25], vcc
	s_cbranch_execz .LBB97_33
; %bb.32:
	v_lshlrev_b32_e32 v16, 1, v0
	global_load_ushort v16, v16, s[22:23] offset:1920
.LBB97_33:
	s_or_b64 exec, exec, s[24:25]
	v_or_b32_e32 v17, 0x400, v0
	v_cmp_gt_u32_e32 vcc, s28, v17
                                        ; implicit-def: $vgpr17
	s_and_saveexec_b64 s[24:25], vcc
	s_cbranch_execz .LBB97_35
; %bb.34:
	v_lshlrev_b32_e32 v17, 1, v0
	global_load_ushort v17, v17, s[22:23] offset:2048
.LBB97_35:
	s_or_b64 exec, exec, s[24:25]
	v_lshlrev_b32_e32 v18, 1, v0
	s_mov_b64 s[22:23], 0
	s_waitcnt vmcnt(0)
	ds_write_b16 v18, v1
	ds_write_b16 v18, v2 offset:128
	ds_write_b16 v18, v3 offset:256
	;; [unrolled: 1-line block ×16, first 2 shown]
	s_waitcnt lgkmcnt(0)
	; wave barrier
.LBB97_36:
	s_and_b64 vcc, exec, s[22:23]
	v_lshlrev_b32_e32 v1, 1, v0
	s_cbranch_vccz .LBB97_38
; %bb.37:
	s_mov_b32 s5, 0
	s_lshl_b64 s[22:23], s[4:5], 1
	s_add_u32 s22, s26, s22
	s_addc_u32 s23, s27, s23
	global_load_ushort v2, v1, s[22:23]
	global_load_ushort v3, v1, s[22:23] offset:128
	global_load_ushort v4, v1, s[22:23] offset:256
	;; [unrolled: 1-line block ×16, first 2 shown]
	s_waitcnt vmcnt(16)
	ds_write_b16 v1, v2
	s_waitcnt vmcnt(15)
	ds_write_b16 v1, v3 offset:128
	s_waitcnt vmcnt(14)
	ds_write_b16 v1, v4 offset:256
	;; [unrolled: 2-line block ×16, first 2 shown]
	s_waitcnt lgkmcnt(0)
	; wave barrier
.LBB97_38:
	v_mul_u32_u24_e32 v2, 17, v0
	v_lshlrev_b32_e32 v10, 1, v2
	s_waitcnt lgkmcnt(0)
	ds_read_b128 v[6:9], v10
	ds_read_b128 v[2:5], v10 offset:16
	ds_read_u16 v18, v10 offset:32
	s_cmp_eq_u64 s[8:9], 0
	s_waitcnt lgkmcnt(0)
	; wave barrier
	s_waitcnt lgkmcnt(0)
	s_cbranch_scc1 .LBB97_43
; %bb.39:
	s_lshl_b64 s[18:19], s[18:19], 1
	s_add_u32 s5, s16, s18
	s_addc_u32 s16, s17, s19
	s_lshl_b64 s[6:7], s[6:7], 1
	s_add_u32 s6, s5, s6
	s_addc_u32 s7, s16, s7
	v_mov_b32_e32 v10, 0
	global_load_ushort v20, v10, s[6:7] offset:-2
	s_cmp_eq_u64 s[8:9], s[20:21]
	s_cbranch_scc1 .LBB97_44
; %bb.40:
	v_cmp_ne_u32_e32 vcc, 0, v0
	s_waitcnt vmcnt(0)
	v_mov_b32_e32 v10, v20
	ds_write_b16 v1, v18
	s_waitcnt lgkmcnt(0)
	; wave barrier
	s_waitcnt lgkmcnt(0)
	s_and_saveexec_b64 s[6:7], vcc
	s_cbranch_execz .LBB97_42
; %bb.41:
	v_add_u32_e32 v10, -2, v1
	ds_read_u16 v10, v10
.LBB97_42:
	s_or_b64 exec, exec, s[6:7]
	s_waitcnt lgkmcnt(0)
	v_add_u16_e32 v19, v10, v6
	s_mov_b64 s[6:7], 0
	s_branch .LBB97_45
.LBB97_43:
                                        ; implicit-def: $vgpr10_vgpr11
                                        ; implicit-def: $vgpr12_vgpr13
                                        ; implicit-def: $vgpr14_vgpr15
                                        ; implicit-def: $vgpr16_vgpr17
                                        ; implicit-def: $vgpr19
	s_branch .LBB97_50
.LBB97_44:
	s_mov_b64 s[6:7], -1
                                        ; implicit-def: $vgpr19
.LBB97_45:
	s_and_b64 vcc, exec, s[6:7]
	v_pk_mov_b32 v[10:11], v[4:5], v[4:5] op_sel:[0,1]
	v_pk_mov_b32 v[12:13], v[2:3], v[2:3] op_sel:[0,1]
	;; [unrolled: 1-line block ×4, first 2 shown]
	s_cbranch_vccz .LBB97_49
; %bb.46:
	v_mul_u32_u24_e32 v19, 17, v0
	v_cmp_ne_u32_e32 vcc, 0, v0
	ds_write_b16 v1, v18
	s_waitcnt lgkmcnt(0)
	; wave barrier
	s_waitcnt lgkmcnt(0)
	s_and_saveexec_b64 s[6:7], vcc
	s_cbranch_execz .LBB97_48
; %bb.47:
	v_add_u32_e32 v10, -2, v1
	s_waitcnt vmcnt(0)
	ds_read_u16 v20, v10
.LBB97_48:
	s_or_b64 exec, exec, s[6:7]
	s_mul_i32 s5, s8, 0xfffffbc0
	s_add_i32 s5, s5, s14
	v_add_u32_e32 v10, 15, v19
	v_add_u32_e32 v11, 16, v19
	v_cmp_gt_u32_e32 vcc, s5, v10
	v_add_u32_e32 v12, 13, v19
	v_cndmask_b32_e32 v10, 0, v5, vcc
	v_lshrrev_b32_e32 v14, 16, v5
	v_cmp_gt_u32_e32 vcc, s5, v11
	v_add_u32_e32 v13, 14, v19
	v_cndmask_b32_e32 v11, 0, v14, vcc
	s_mov_b32 s6, 0x5040100
	v_cmp_gt_u32_e32 vcc, s5, v12
	v_perm_b32 v11, v11, v10, s6
	v_cndmask_b32_e32 v10, 0, v4, vcc
	v_lshrrev_b32_e32 v12, 16, v4
	v_cmp_gt_u32_e32 vcc, s5, v13
	v_cndmask_b32_e32 v12, 0, v12, vcc
	v_perm_b32 v10, v12, v10, s6
	v_add_u32_e32 v12, 11, v19
	v_add_u32_e32 v13, 12, v19
	v_cmp_gt_u32_e32 vcc, s5, v12
	v_add_u32_e32 v14, 9, v19
	v_cndmask_b32_e32 v12, 0, v3, vcc
	v_lshrrev_b32_e32 v16, 16, v3
	v_cmp_gt_u32_e32 vcc, s5, v13
	v_add_u32_e32 v15, 10, v19
	v_cndmask_b32_e32 v13, 0, v16, vcc
	v_cmp_gt_u32_e32 vcc, s5, v14
	v_perm_b32 v13, v13, v12, s6
	v_cndmask_b32_e32 v12, 0, v2, vcc
	v_lshrrev_b32_e32 v14, 16, v2
	v_cmp_gt_u32_e32 vcc, s5, v15
	v_cndmask_b32_e32 v14, 0, v14, vcc
	v_perm_b32 v12, v14, v12, s6
	v_add_u32_e32 v14, 7, v19
	v_add_u32_e32 v15, 8, v19
	v_cmp_gt_u32_e32 vcc, s5, v14
	v_add_u32_e32 v16, 5, v19
	v_cndmask_b32_e32 v14, 0, v9, vcc
	v_lshrrev_b32_e32 v21, 16, v9
	v_cmp_gt_u32_e32 vcc, s5, v15
	v_add_u32_e32 v17, 6, v19
	v_cndmask_b32_e32 v15, 0, v21, vcc
	;; [unrolled: 16-line block ×3, first 2 shown]
	v_cmp_gt_u32_e32 vcc, s5, v21
	v_perm_b32 v17, v17, v16, s6
	v_cndmask_b32_e32 v16, 0, v6, vcc
	v_lshrrev_b32_e32 v21, 16, v6
	v_cmp_gt_u32_e32 vcc, s5, v22
	v_cndmask_b32_e32 v21, 0, v21, vcc
	v_cmp_gt_u32_e32 vcc, s5, v19
	s_waitcnt vmcnt(0) lgkmcnt(0)
	v_cndmask_b32_e32 v19, 0, v20, vcc
	v_perm_b32 v16, v21, v16, s6
	v_add_u16_e32 v19, v19, v6
.LBB97_49:
	s_cbranch_execnz .LBB97_59
.LBB97_50:
	s_cmp_eq_u64 s[2:3], 1
	v_cmp_ne_u32_e32 vcc, 0, v0
	s_cbranch_scc1 .LBB97_54
; %bb.51:
	v_mov_b32_e32 v19, v6
	ds_write_b16 v1, v18
	s_waitcnt lgkmcnt(0)
	; wave barrier
	s_waitcnt lgkmcnt(0)
	s_and_saveexec_b64 s[2:3], vcc
	s_cbranch_execz .LBB97_53
; %bb.52:
	v_add_u32_e32 v10, -2, v1
	ds_read_u16 v10, v10
	s_waitcnt lgkmcnt(0)
	v_add_u16_e32 v19, v10, v6
.LBB97_53:
	s_or_b64 exec, exec, s[2:3]
	s_mov_b64 s[2:3], 0
	s_branch .LBB97_55
.LBB97_54:
	s_mov_b64 s[2:3], -1
                                        ; implicit-def: $vgpr19
.LBB97_55:
	s_andn2_b64 vcc, exec, s[2:3]
	v_pk_mov_b32 v[10:11], v[4:5], v[4:5] op_sel:[0,1]
	v_pk_mov_b32 v[12:13], v[2:3], v[2:3] op_sel:[0,1]
	;; [unrolled: 1-line block ×4, first 2 shown]
	s_cbranch_vccnz .LBB97_59
; %bb.56:
	v_mad_u32_u24 v10, v0, 17, 15
	v_mad_u32_u24 v11, v0, 17, 16
	v_cmp_gt_u32_e32 vcc, s14, v10
	v_mad_u32_u24 v12, v0, 17, 13
	v_cndmask_b32_e32 v10, 0, v5, vcc
	v_lshrrev_b32_e32 v14, 16, v5
	v_cmp_gt_u32_e32 vcc, s14, v11
	v_mad_u32_u24 v13, v0, 17, 14
	v_cndmask_b32_e32 v11, 0, v14, vcc
	s_mov_b32 s2, 0x5040100
	v_cmp_gt_u32_e32 vcc, s14, v12
	v_perm_b32 v11, v11, v10, s2
	v_cndmask_b32_e32 v10, 0, v4, vcc
	v_lshrrev_b32_e32 v12, 16, v4
	v_cmp_gt_u32_e32 vcc, s14, v13
	v_cndmask_b32_e32 v12, 0, v12, vcc
	v_perm_b32 v10, v12, v10, s2
	v_mad_u32_u24 v12, v0, 17, 11
	v_mad_u32_u24 v13, v0, 17, 12
	v_cmp_gt_u32_e32 vcc, s14, v12
	v_mad_u32_u24 v14, v0, 17, 9
	v_cndmask_b32_e32 v12, 0, v3, vcc
	v_lshrrev_b32_e32 v16, 16, v3
	v_cmp_gt_u32_e32 vcc, s14, v13
	v_mad_u32_u24 v15, v0, 17, 10
	v_cndmask_b32_e32 v13, 0, v16, vcc
	v_cmp_gt_u32_e32 vcc, s14, v14
	v_perm_b32 v13, v13, v12, s2
	v_cndmask_b32_e32 v12, 0, v2, vcc
	v_lshrrev_b32_e32 v14, 16, v2
	v_cmp_gt_u32_e32 vcc, s14, v15
	v_cndmask_b32_e32 v14, 0, v14, vcc
	v_perm_b32 v12, v14, v12, s2
	v_mad_u32_u24 v14, v0, 17, 7
	v_mad_u32_u24 v15, v0, 17, 8
	v_cmp_gt_u32_e32 vcc, s14, v14
	v_mad_u32_u24 v16, v0, 17, 5
	v_cndmask_b32_e32 v14, 0, v9, vcc
	s_waitcnt vmcnt(0)
	v_lshrrev_b32_e32 v20, 16, v9
	v_cmp_gt_u32_e32 vcc, s14, v15
	v_mad_u32_u24 v17, v0, 17, 6
	v_cndmask_b32_e32 v15, 0, v20, vcc
	v_cmp_gt_u32_e32 vcc, s14, v16
	v_perm_b32 v15, v15, v14, s2
	v_cndmask_b32_e32 v14, 0, v8, vcc
	v_lshrrev_b32_e32 v16, 16, v8
	v_cmp_gt_u32_e32 vcc, s14, v17
	v_cndmask_b32_e32 v16, 0, v16, vcc
	v_perm_b32 v14, v16, v14, s2
	v_mad_u32_u24 v16, v0, 17, 3
	v_mad_u32_u24 v17, v0, 17, 4
	v_cmp_gt_u32_e32 vcc, s14, v16
	v_mad_u32_u24 v20, v0, 17, 1
	v_cndmask_b32_e32 v16, 0, v7, vcc
	v_lshrrev_b32_e32 v22, 16, v7
	v_cmp_gt_u32_e32 vcc, s14, v17
	v_mad_u32_u24 v21, v0, 17, 2
	v_cndmask_b32_e32 v17, 0, v22, vcc
	v_cmp_gt_u32_e32 vcc, s14, v20
	v_perm_b32 v17, v17, v16, s2
	v_cndmask_b32_e32 v16, 0, v6, vcc
	v_lshrrev_b32_e32 v20, 16, v6
	v_cmp_gt_u32_e32 vcc, s14, v21
	v_mul_u32_u24_e32 v19, 17, v0
	v_cndmask_b32_e32 v20, 0, v20, vcc
	v_perm_b32 v16, v20, v16, s2
	v_cmp_ne_u32_e32 vcc, 0, v0
	v_cmp_gt_u32_e64 s[2:3], s14, v19
	s_and_b64 s[6:7], vcc, s[2:3]
	v_mov_b32_e32 v19, v6
	ds_write_b16 v1, v18
	s_waitcnt lgkmcnt(0)
	; wave barrier
	s_waitcnt lgkmcnt(0)
	s_and_saveexec_b64 s[2:3], s[6:7]
	s_cbranch_execz .LBB97_58
; %bb.57:
	v_add_u32_e32 v19, -2, v1
	ds_read_u16 v19, v19
	s_waitcnt lgkmcnt(0)
	v_add_u16_e32 v19, v19, v6
.LBB97_58:
	s_or_b64 exec, exec, s[2:3]
.LBB97_59:
	s_add_u32 s6, s12, s10
	v_alignbit_b32 v6, v7, v6, 16
	v_alignbit_b32 v7, v8, v7, 16
	;; [unrolled: 1-line block ×8, first 2 shown]
	s_addc_u32 s7, s13, s11
	v_pk_add_u16 v7, v17, v7
	v_pk_add_u16 v6, v16, v6
	;; [unrolled: 1-line block ×8, first 2 shown]
	s_and_b64 vcc, exec, s[0:1]
	v_mul_u32_u24_e32 v12, 34, v0
	v_lshlrev_b32_e32 v13, 5, v0
	s_waitcnt lgkmcnt(0)
	; wave barrier
	s_cbranch_vccz .LBB97_93
; %bb.60:
	v_sub_u32_e32 v10, v12, v13
	ds_write_b16 v12, v19
	ds_write_b128 v12, v[6:9] offset:2
	ds_write_b128 v12, v[2:5] offset:18
	s_waitcnt lgkmcnt(0)
	; wave barrier
	s_waitcnt lgkmcnt(0)
	ds_read_u16 v30, v10 offset:128
	ds_read_u16 v29, v10 offset:256
	ds_read_u16 v28, v10 offset:384
	ds_read_u16 v27, v10 offset:512
	ds_read_u16 v26, v10 offset:640
	ds_read_u16 v25, v10 offset:768
	ds_read_u16 v24, v10 offset:896
	ds_read_u16 v23, v10 offset:1024
	ds_read_u16 v22, v10 offset:1152
	ds_read_u16 v21, v10 offset:1280
	s_waitcnt vmcnt(0)
	ds_read_u16 v20, v10 offset:1408
	ds_read_u16 v18, v10 offset:1536
	;; [unrolled: 1-line block ×6, first 2 shown]
	s_mov_b32 s5, 0
	s_add_i32 s15, s15, s14
	s_lshl_b64 s[0:1], s[4:5], 1
	s_add_u32 s0, s6, s0
	s_addc_u32 s1, s7, s1
	v_mov_b32_e32 v11, s1
	v_add_co_u32_e32 v10, vcc, s0, v1
	v_addc_co_u32_e32 v11, vcc, 0, v11, vcc
	v_cmp_gt_u32_e32 vcc, s15, v0
	s_and_saveexec_b64 s[0:1], vcc
	s_cbranch_execz .LBB97_62
; %bb.61:
	v_sub_u32_e32 v31, 0, v13
	v_add_u32_e32 v31, v12, v31
	ds_read_u16 v31, v31
	s_waitcnt lgkmcnt(0)
	global_store_short v[10:11], v31, off
.LBB97_62:
	s_or_b64 exec, exec, s[0:1]
	v_or_b32_e32 v31, 64, v0
	v_cmp_gt_u32_e32 vcc, s15, v31
	s_and_saveexec_b64 s[0:1], vcc
	s_cbranch_execz .LBB97_64
; %bb.63:
	s_waitcnt lgkmcnt(14)
	global_store_short v[10:11], v30, off offset:128
.LBB97_64:
	s_or_b64 exec, exec, s[0:1]
	s_waitcnt lgkmcnt(14)
	v_or_b32_e32 v30, 0x80, v0
	v_cmp_gt_u32_e32 vcc, s15, v30
	s_and_saveexec_b64 s[0:1], vcc
	s_cbranch_execz .LBB97_66
; %bb.65:
	global_store_short v[10:11], v29, off offset:256
.LBB97_66:
	s_or_b64 exec, exec, s[0:1]
	v_or_b32_e32 v29, 0xc0, v0
	v_cmp_gt_u32_e32 vcc, s15, v29
	s_and_saveexec_b64 s[0:1], vcc
	s_cbranch_execz .LBB97_68
; %bb.67:
	s_waitcnt lgkmcnt(13)
	global_store_short v[10:11], v28, off offset:384
.LBB97_68:
	s_or_b64 exec, exec, s[0:1]
	s_waitcnt lgkmcnt(13)
	v_or_b32_e32 v28, 0x100, v0
	v_cmp_gt_u32_e32 vcc, s15, v28
	s_and_saveexec_b64 s[0:1], vcc
	s_cbranch_execz .LBB97_70
; %bb.69:
	s_waitcnt lgkmcnt(12)
	global_store_short v[10:11], v27, off offset:512
.LBB97_70:
	s_or_b64 exec, exec, s[0:1]
	s_waitcnt lgkmcnt(12)
	;; [unrolled: 10-line block ×12, first 2 shown]
	v_or_b32_e32 v16, 0x3c0, v0
	v_cmp_gt_u32_e32 vcc, s15, v16
	s_and_saveexec_b64 s[0:1], vcc
	s_cbranch_execz .LBB97_92
; %bb.91:
	s_waitcnt lgkmcnt(1)
	global_store_short v[10:11], v15, off offset:1920
.LBB97_92:
	s_or_b64 exec, exec, s[0:1]
	v_or_b32_e32 v0, 0x400, v0
	v_cmp_gt_u32_e64 s[0:1], s15, v0
	s_branch .LBB97_95
.LBB97_93:
	s_mov_b64 s[0:1], 0
                                        ; implicit-def: $vgpr14
                                        ; implicit-def: $vgpr10_vgpr11
	s_cbranch_execz .LBB97_95
; %bb.94:
	s_mov_b32 s5, 0
	s_lshl_b64 s[2:3], s[4:5], 1
	v_sub_u32_e32 v0, v12, v13
	s_add_u32 s2, s6, s2
	ds_write_b16 v12, v19
	ds_write_b128 v12, v[6:9] offset:2
	ds_write_b128 v12, v[2:5] offset:18
	s_waitcnt lgkmcnt(0)
	; wave barrier
	s_waitcnt lgkmcnt(0)
	ds_read_u16 v2, v0
	ds_read_u16 v3, v0 offset:128
	ds_read_u16 v4, v0 offset:256
	;; [unrolled: 1-line block ×14, first 2 shown]
	s_waitcnt vmcnt(0)
	ds_read_u16 v20, v0 offset:1920
	ds_read_u16 v14, v0 offset:2048
	s_addc_u32 s3, s7, s3
	v_mov_b32_e32 v0, s3
	v_add_co_u32_e32 v10, vcc, s2, v1
	v_addc_co_u32_e32 v11, vcc, 0, v0, vcc
	s_or_b64 s[0:1], s[0:1], exec
	s_waitcnt lgkmcnt(14)
	global_store_short v1, v2, s[2:3]
	global_store_short v1, v3, s[2:3] offset:128
	global_store_short v1, v4, s[2:3] offset:256
	s_waitcnt lgkmcnt(13)
	global_store_short v1, v5, s[2:3] offset:384
	s_waitcnt lgkmcnt(12)
	;; [unrolled: 2-line block ×13, first 2 shown]
	global_store_short v1, v20, s[2:3] offset:1920
.LBB97_95:
	s_and_saveexec_b64 s[2:3], s[0:1]
	s_cbranch_execnz .LBB97_97
; %bb.96:
	s_endpgm
.LBB97_97:
	s_waitcnt lgkmcnt(0)
	global_store_short v[10:11], v14, off offset:2048
	s_endpgm
	.section	.rodata,"a",@progbits
	.p2align	6, 0x0
	.amdhsa_kernel _ZN7rocprim17ROCPRIM_400000_NS6detail17trampoline_kernelINS0_14default_configENS1_35adjacent_difference_config_selectorILb1EsEEZNS1_24adjacent_difference_implIS3_Lb1ELb0EPsS7_N6thrust23THRUST_200600_302600_NS4plusIsEEEE10hipError_tPvRmT2_T3_mT4_P12ihipStream_tbEUlT_E_NS1_11comp_targetILNS1_3genE4ELNS1_11target_archE910ELNS1_3gpuE8ELNS1_3repE0EEENS1_30default_config_static_selectorELNS0_4arch9wavefront6targetE1EEEvT1_
		.amdhsa_group_segment_fixed_size 2176
		.amdhsa_private_segment_fixed_size 0
		.amdhsa_kernarg_size 56
		.amdhsa_user_sgpr_count 6
		.amdhsa_user_sgpr_private_segment_buffer 1
		.amdhsa_user_sgpr_dispatch_ptr 0
		.amdhsa_user_sgpr_queue_ptr 0
		.amdhsa_user_sgpr_kernarg_segment_ptr 1
		.amdhsa_user_sgpr_dispatch_id 0
		.amdhsa_user_sgpr_flat_scratch_init 0
		.amdhsa_user_sgpr_kernarg_preload_length 0
		.amdhsa_user_sgpr_kernarg_preload_offset 0
		.amdhsa_user_sgpr_private_segment_size 0
		.amdhsa_uses_dynamic_stack 0
		.amdhsa_system_sgpr_private_segment_wavefront_offset 0
		.amdhsa_system_sgpr_workgroup_id_x 1
		.amdhsa_system_sgpr_workgroup_id_y 0
		.amdhsa_system_sgpr_workgroup_id_z 0
		.amdhsa_system_sgpr_workgroup_info 0
		.amdhsa_system_vgpr_workitem_id 0
		.amdhsa_next_free_vgpr 32
		.amdhsa_next_free_sgpr 29
		.amdhsa_accum_offset 32
		.amdhsa_reserve_vcc 1
		.amdhsa_reserve_flat_scratch 0
		.amdhsa_float_round_mode_32 0
		.amdhsa_float_round_mode_16_64 0
		.amdhsa_float_denorm_mode_32 3
		.amdhsa_float_denorm_mode_16_64 3
		.amdhsa_dx10_clamp 1
		.amdhsa_ieee_mode 1
		.amdhsa_fp16_overflow 0
		.amdhsa_tg_split 0
		.amdhsa_exception_fp_ieee_invalid_op 0
		.amdhsa_exception_fp_denorm_src 0
		.amdhsa_exception_fp_ieee_div_zero 0
		.amdhsa_exception_fp_ieee_overflow 0
		.amdhsa_exception_fp_ieee_underflow 0
		.amdhsa_exception_fp_ieee_inexact 0
		.amdhsa_exception_int_div_zero 0
	.end_amdhsa_kernel
	.section	.text._ZN7rocprim17ROCPRIM_400000_NS6detail17trampoline_kernelINS0_14default_configENS1_35adjacent_difference_config_selectorILb1EsEEZNS1_24adjacent_difference_implIS3_Lb1ELb0EPsS7_N6thrust23THRUST_200600_302600_NS4plusIsEEEE10hipError_tPvRmT2_T3_mT4_P12ihipStream_tbEUlT_E_NS1_11comp_targetILNS1_3genE4ELNS1_11target_archE910ELNS1_3gpuE8ELNS1_3repE0EEENS1_30default_config_static_selectorELNS0_4arch9wavefront6targetE1EEEvT1_,"axG",@progbits,_ZN7rocprim17ROCPRIM_400000_NS6detail17trampoline_kernelINS0_14default_configENS1_35adjacent_difference_config_selectorILb1EsEEZNS1_24adjacent_difference_implIS3_Lb1ELb0EPsS7_N6thrust23THRUST_200600_302600_NS4plusIsEEEE10hipError_tPvRmT2_T3_mT4_P12ihipStream_tbEUlT_E_NS1_11comp_targetILNS1_3genE4ELNS1_11target_archE910ELNS1_3gpuE8ELNS1_3repE0EEENS1_30default_config_static_selectorELNS0_4arch9wavefront6targetE1EEEvT1_,comdat
.Lfunc_end97:
	.size	_ZN7rocprim17ROCPRIM_400000_NS6detail17trampoline_kernelINS0_14default_configENS1_35adjacent_difference_config_selectorILb1EsEEZNS1_24adjacent_difference_implIS3_Lb1ELb0EPsS7_N6thrust23THRUST_200600_302600_NS4plusIsEEEE10hipError_tPvRmT2_T3_mT4_P12ihipStream_tbEUlT_E_NS1_11comp_targetILNS1_3genE4ELNS1_11target_archE910ELNS1_3gpuE8ELNS1_3repE0EEENS1_30default_config_static_selectorELNS0_4arch9wavefront6targetE1EEEvT1_, .Lfunc_end97-_ZN7rocprim17ROCPRIM_400000_NS6detail17trampoline_kernelINS0_14default_configENS1_35adjacent_difference_config_selectorILb1EsEEZNS1_24adjacent_difference_implIS3_Lb1ELb0EPsS7_N6thrust23THRUST_200600_302600_NS4plusIsEEEE10hipError_tPvRmT2_T3_mT4_P12ihipStream_tbEUlT_E_NS1_11comp_targetILNS1_3genE4ELNS1_11target_archE910ELNS1_3gpuE8ELNS1_3repE0EEENS1_30default_config_static_selectorELNS0_4arch9wavefront6targetE1EEEvT1_
                                        ; -- End function
	.section	.AMDGPU.csdata,"",@progbits
; Kernel info:
; codeLenInByte = 4224
; NumSgprs: 33
; NumVgprs: 32
; NumAgprs: 0
; TotalNumVgprs: 32
; ScratchSize: 0
; MemoryBound: 0
; FloatMode: 240
; IeeeMode: 1
; LDSByteSize: 2176 bytes/workgroup (compile time only)
; SGPRBlocks: 4
; VGPRBlocks: 3
; NumSGPRsForWavesPerEU: 33
; NumVGPRsForWavesPerEU: 32
; AccumOffset: 32
; Occupancy: 8
; WaveLimiterHint : 1
; COMPUTE_PGM_RSRC2:SCRATCH_EN: 0
; COMPUTE_PGM_RSRC2:USER_SGPR: 6
; COMPUTE_PGM_RSRC2:TRAP_HANDLER: 0
; COMPUTE_PGM_RSRC2:TGID_X_EN: 1
; COMPUTE_PGM_RSRC2:TGID_Y_EN: 0
; COMPUTE_PGM_RSRC2:TGID_Z_EN: 0
; COMPUTE_PGM_RSRC2:TIDIG_COMP_CNT: 0
; COMPUTE_PGM_RSRC3_GFX90A:ACCUM_OFFSET: 7
; COMPUTE_PGM_RSRC3_GFX90A:TG_SPLIT: 0
	.section	.text._ZN7rocprim17ROCPRIM_400000_NS6detail17trampoline_kernelINS0_14default_configENS1_35adjacent_difference_config_selectorILb1EsEEZNS1_24adjacent_difference_implIS3_Lb1ELb0EPsS7_N6thrust23THRUST_200600_302600_NS4plusIsEEEE10hipError_tPvRmT2_T3_mT4_P12ihipStream_tbEUlT_E_NS1_11comp_targetILNS1_3genE3ELNS1_11target_archE908ELNS1_3gpuE7ELNS1_3repE0EEENS1_30default_config_static_selectorELNS0_4arch9wavefront6targetE1EEEvT1_,"axG",@progbits,_ZN7rocprim17ROCPRIM_400000_NS6detail17trampoline_kernelINS0_14default_configENS1_35adjacent_difference_config_selectorILb1EsEEZNS1_24adjacent_difference_implIS3_Lb1ELb0EPsS7_N6thrust23THRUST_200600_302600_NS4plusIsEEEE10hipError_tPvRmT2_T3_mT4_P12ihipStream_tbEUlT_E_NS1_11comp_targetILNS1_3genE3ELNS1_11target_archE908ELNS1_3gpuE7ELNS1_3repE0EEENS1_30default_config_static_selectorELNS0_4arch9wavefront6targetE1EEEvT1_,comdat
	.protected	_ZN7rocprim17ROCPRIM_400000_NS6detail17trampoline_kernelINS0_14default_configENS1_35adjacent_difference_config_selectorILb1EsEEZNS1_24adjacent_difference_implIS3_Lb1ELb0EPsS7_N6thrust23THRUST_200600_302600_NS4plusIsEEEE10hipError_tPvRmT2_T3_mT4_P12ihipStream_tbEUlT_E_NS1_11comp_targetILNS1_3genE3ELNS1_11target_archE908ELNS1_3gpuE7ELNS1_3repE0EEENS1_30default_config_static_selectorELNS0_4arch9wavefront6targetE1EEEvT1_ ; -- Begin function _ZN7rocprim17ROCPRIM_400000_NS6detail17trampoline_kernelINS0_14default_configENS1_35adjacent_difference_config_selectorILb1EsEEZNS1_24adjacent_difference_implIS3_Lb1ELb0EPsS7_N6thrust23THRUST_200600_302600_NS4plusIsEEEE10hipError_tPvRmT2_T3_mT4_P12ihipStream_tbEUlT_E_NS1_11comp_targetILNS1_3genE3ELNS1_11target_archE908ELNS1_3gpuE7ELNS1_3repE0EEENS1_30default_config_static_selectorELNS0_4arch9wavefront6targetE1EEEvT1_
	.globl	_ZN7rocprim17ROCPRIM_400000_NS6detail17trampoline_kernelINS0_14default_configENS1_35adjacent_difference_config_selectorILb1EsEEZNS1_24adjacent_difference_implIS3_Lb1ELb0EPsS7_N6thrust23THRUST_200600_302600_NS4plusIsEEEE10hipError_tPvRmT2_T3_mT4_P12ihipStream_tbEUlT_E_NS1_11comp_targetILNS1_3genE3ELNS1_11target_archE908ELNS1_3gpuE7ELNS1_3repE0EEENS1_30default_config_static_selectorELNS0_4arch9wavefront6targetE1EEEvT1_
	.p2align	8
	.type	_ZN7rocprim17ROCPRIM_400000_NS6detail17trampoline_kernelINS0_14default_configENS1_35adjacent_difference_config_selectorILb1EsEEZNS1_24adjacent_difference_implIS3_Lb1ELb0EPsS7_N6thrust23THRUST_200600_302600_NS4plusIsEEEE10hipError_tPvRmT2_T3_mT4_P12ihipStream_tbEUlT_E_NS1_11comp_targetILNS1_3genE3ELNS1_11target_archE908ELNS1_3gpuE7ELNS1_3repE0EEENS1_30default_config_static_selectorELNS0_4arch9wavefront6targetE1EEEvT1_,@function
_ZN7rocprim17ROCPRIM_400000_NS6detail17trampoline_kernelINS0_14default_configENS1_35adjacent_difference_config_selectorILb1EsEEZNS1_24adjacent_difference_implIS3_Lb1ELb0EPsS7_N6thrust23THRUST_200600_302600_NS4plusIsEEEE10hipError_tPvRmT2_T3_mT4_P12ihipStream_tbEUlT_E_NS1_11comp_targetILNS1_3genE3ELNS1_11target_archE908ELNS1_3gpuE7ELNS1_3repE0EEENS1_30default_config_static_selectorELNS0_4arch9wavefront6targetE1EEEvT1_: ; @_ZN7rocprim17ROCPRIM_400000_NS6detail17trampoline_kernelINS0_14default_configENS1_35adjacent_difference_config_selectorILb1EsEEZNS1_24adjacent_difference_implIS3_Lb1ELb0EPsS7_N6thrust23THRUST_200600_302600_NS4plusIsEEEE10hipError_tPvRmT2_T3_mT4_P12ihipStream_tbEUlT_E_NS1_11comp_targetILNS1_3genE3ELNS1_11target_archE908ELNS1_3gpuE7ELNS1_3repE0EEENS1_30default_config_static_selectorELNS0_4arch9wavefront6targetE1EEEvT1_
; %bb.0:
	.section	.rodata,"a",@progbits
	.p2align	6, 0x0
	.amdhsa_kernel _ZN7rocprim17ROCPRIM_400000_NS6detail17trampoline_kernelINS0_14default_configENS1_35adjacent_difference_config_selectorILb1EsEEZNS1_24adjacent_difference_implIS3_Lb1ELb0EPsS7_N6thrust23THRUST_200600_302600_NS4plusIsEEEE10hipError_tPvRmT2_T3_mT4_P12ihipStream_tbEUlT_E_NS1_11comp_targetILNS1_3genE3ELNS1_11target_archE908ELNS1_3gpuE7ELNS1_3repE0EEENS1_30default_config_static_selectorELNS0_4arch9wavefront6targetE1EEEvT1_
		.amdhsa_group_segment_fixed_size 0
		.amdhsa_private_segment_fixed_size 0
		.amdhsa_kernarg_size 56
		.amdhsa_user_sgpr_count 6
		.amdhsa_user_sgpr_private_segment_buffer 1
		.amdhsa_user_sgpr_dispatch_ptr 0
		.amdhsa_user_sgpr_queue_ptr 0
		.amdhsa_user_sgpr_kernarg_segment_ptr 1
		.amdhsa_user_sgpr_dispatch_id 0
		.amdhsa_user_sgpr_flat_scratch_init 0
		.amdhsa_user_sgpr_kernarg_preload_length 0
		.amdhsa_user_sgpr_kernarg_preload_offset 0
		.amdhsa_user_sgpr_private_segment_size 0
		.amdhsa_uses_dynamic_stack 0
		.amdhsa_system_sgpr_private_segment_wavefront_offset 0
		.amdhsa_system_sgpr_workgroup_id_x 1
		.amdhsa_system_sgpr_workgroup_id_y 0
		.amdhsa_system_sgpr_workgroup_id_z 0
		.amdhsa_system_sgpr_workgroup_info 0
		.amdhsa_system_vgpr_workitem_id 0
		.amdhsa_next_free_vgpr 1
		.amdhsa_next_free_sgpr 0
		.amdhsa_accum_offset 4
		.amdhsa_reserve_vcc 0
		.amdhsa_reserve_flat_scratch 0
		.amdhsa_float_round_mode_32 0
		.amdhsa_float_round_mode_16_64 0
		.amdhsa_float_denorm_mode_32 3
		.amdhsa_float_denorm_mode_16_64 3
		.amdhsa_dx10_clamp 1
		.amdhsa_ieee_mode 1
		.amdhsa_fp16_overflow 0
		.amdhsa_tg_split 0
		.amdhsa_exception_fp_ieee_invalid_op 0
		.amdhsa_exception_fp_denorm_src 0
		.amdhsa_exception_fp_ieee_div_zero 0
		.amdhsa_exception_fp_ieee_overflow 0
		.amdhsa_exception_fp_ieee_underflow 0
		.amdhsa_exception_fp_ieee_inexact 0
		.amdhsa_exception_int_div_zero 0
	.end_amdhsa_kernel
	.section	.text._ZN7rocprim17ROCPRIM_400000_NS6detail17trampoline_kernelINS0_14default_configENS1_35adjacent_difference_config_selectorILb1EsEEZNS1_24adjacent_difference_implIS3_Lb1ELb0EPsS7_N6thrust23THRUST_200600_302600_NS4plusIsEEEE10hipError_tPvRmT2_T3_mT4_P12ihipStream_tbEUlT_E_NS1_11comp_targetILNS1_3genE3ELNS1_11target_archE908ELNS1_3gpuE7ELNS1_3repE0EEENS1_30default_config_static_selectorELNS0_4arch9wavefront6targetE1EEEvT1_,"axG",@progbits,_ZN7rocprim17ROCPRIM_400000_NS6detail17trampoline_kernelINS0_14default_configENS1_35adjacent_difference_config_selectorILb1EsEEZNS1_24adjacent_difference_implIS3_Lb1ELb0EPsS7_N6thrust23THRUST_200600_302600_NS4plusIsEEEE10hipError_tPvRmT2_T3_mT4_P12ihipStream_tbEUlT_E_NS1_11comp_targetILNS1_3genE3ELNS1_11target_archE908ELNS1_3gpuE7ELNS1_3repE0EEENS1_30default_config_static_selectorELNS0_4arch9wavefront6targetE1EEEvT1_,comdat
.Lfunc_end98:
	.size	_ZN7rocprim17ROCPRIM_400000_NS6detail17trampoline_kernelINS0_14default_configENS1_35adjacent_difference_config_selectorILb1EsEEZNS1_24adjacent_difference_implIS3_Lb1ELb0EPsS7_N6thrust23THRUST_200600_302600_NS4plusIsEEEE10hipError_tPvRmT2_T3_mT4_P12ihipStream_tbEUlT_E_NS1_11comp_targetILNS1_3genE3ELNS1_11target_archE908ELNS1_3gpuE7ELNS1_3repE0EEENS1_30default_config_static_selectorELNS0_4arch9wavefront6targetE1EEEvT1_, .Lfunc_end98-_ZN7rocprim17ROCPRIM_400000_NS6detail17trampoline_kernelINS0_14default_configENS1_35adjacent_difference_config_selectorILb1EsEEZNS1_24adjacent_difference_implIS3_Lb1ELb0EPsS7_N6thrust23THRUST_200600_302600_NS4plusIsEEEE10hipError_tPvRmT2_T3_mT4_P12ihipStream_tbEUlT_E_NS1_11comp_targetILNS1_3genE3ELNS1_11target_archE908ELNS1_3gpuE7ELNS1_3repE0EEENS1_30default_config_static_selectorELNS0_4arch9wavefront6targetE1EEEvT1_
                                        ; -- End function
	.section	.AMDGPU.csdata,"",@progbits
; Kernel info:
; codeLenInByte = 0
; NumSgprs: 4
; NumVgprs: 0
; NumAgprs: 0
; TotalNumVgprs: 0
; ScratchSize: 0
; MemoryBound: 0
; FloatMode: 240
; IeeeMode: 1
; LDSByteSize: 0 bytes/workgroup (compile time only)
; SGPRBlocks: 0
; VGPRBlocks: 0
; NumSGPRsForWavesPerEU: 4
; NumVGPRsForWavesPerEU: 1
; AccumOffset: 4
; Occupancy: 8
; WaveLimiterHint : 0
; COMPUTE_PGM_RSRC2:SCRATCH_EN: 0
; COMPUTE_PGM_RSRC2:USER_SGPR: 6
; COMPUTE_PGM_RSRC2:TRAP_HANDLER: 0
; COMPUTE_PGM_RSRC2:TGID_X_EN: 1
; COMPUTE_PGM_RSRC2:TGID_Y_EN: 0
; COMPUTE_PGM_RSRC2:TGID_Z_EN: 0
; COMPUTE_PGM_RSRC2:TIDIG_COMP_CNT: 0
; COMPUTE_PGM_RSRC3_GFX90A:ACCUM_OFFSET: 0
; COMPUTE_PGM_RSRC3_GFX90A:TG_SPLIT: 0
	.section	.text._ZN7rocprim17ROCPRIM_400000_NS6detail17trampoline_kernelINS0_14default_configENS1_35adjacent_difference_config_selectorILb1EsEEZNS1_24adjacent_difference_implIS3_Lb1ELb0EPsS7_N6thrust23THRUST_200600_302600_NS4plusIsEEEE10hipError_tPvRmT2_T3_mT4_P12ihipStream_tbEUlT_E_NS1_11comp_targetILNS1_3genE2ELNS1_11target_archE906ELNS1_3gpuE6ELNS1_3repE0EEENS1_30default_config_static_selectorELNS0_4arch9wavefront6targetE1EEEvT1_,"axG",@progbits,_ZN7rocprim17ROCPRIM_400000_NS6detail17trampoline_kernelINS0_14default_configENS1_35adjacent_difference_config_selectorILb1EsEEZNS1_24adjacent_difference_implIS3_Lb1ELb0EPsS7_N6thrust23THRUST_200600_302600_NS4plusIsEEEE10hipError_tPvRmT2_T3_mT4_P12ihipStream_tbEUlT_E_NS1_11comp_targetILNS1_3genE2ELNS1_11target_archE906ELNS1_3gpuE6ELNS1_3repE0EEENS1_30default_config_static_selectorELNS0_4arch9wavefront6targetE1EEEvT1_,comdat
	.protected	_ZN7rocprim17ROCPRIM_400000_NS6detail17trampoline_kernelINS0_14default_configENS1_35adjacent_difference_config_selectorILb1EsEEZNS1_24adjacent_difference_implIS3_Lb1ELb0EPsS7_N6thrust23THRUST_200600_302600_NS4plusIsEEEE10hipError_tPvRmT2_T3_mT4_P12ihipStream_tbEUlT_E_NS1_11comp_targetILNS1_3genE2ELNS1_11target_archE906ELNS1_3gpuE6ELNS1_3repE0EEENS1_30default_config_static_selectorELNS0_4arch9wavefront6targetE1EEEvT1_ ; -- Begin function _ZN7rocprim17ROCPRIM_400000_NS6detail17trampoline_kernelINS0_14default_configENS1_35adjacent_difference_config_selectorILb1EsEEZNS1_24adjacent_difference_implIS3_Lb1ELb0EPsS7_N6thrust23THRUST_200600_302600_NS4plusIsEEEE10hipError_tPvRmT2_T3_mT4_P12ihipStream_tbEUlT_E_NS1_11comp_targetILNS1_3genE2ELNS1_11target_archE906ELNS1_3gpuE6ELNS1_3repE0EEENS1_30default_config_static_selectorELNS0_4arch9wavefront6targetE1EEEvT1_
	.globl	_ZN7rocprim17ROCPRIM_400000_NS6detail17trampoline_kernelINS0_14default_configENS1_35adjacent_difference_config_selectorILb1EsEEZNS1_24adjacent_difference_implIS3_Lb1ELb0EPsS7_N6thrust23THRUST_200600_302600_NS4plusIsEEEE10hipError_tPvRmT2_T3_mT4_P12ihipStream_tbEUlT_E_NS1_11comp_targetILNS1_3genE2ELNS1_11target_archE906ELNS1_3gpuE6ELNS1_3repE0EEENS1_30default_config_static_selectorELNS0_4arch9wavefront6targetE1EEEvT1_
	.p2align	8
	.type	_ZN7rocprim17ROCPRIM_400000_NS6detail17trampoline_kernelINS0_14default_configENS1_35adjacent_difference_config_selectorILb1EsEEZNS1_24adjacent_difference_implIS3_Lb1ELb0EPsS7_N6thrust23THRUST_200600_302600_NS4plusIsEEEE10hipError_tPvRmT2_T3_mT4_P12ihipStream_tbEUlT_E_NS1_11comp_targetILNS1_3genE2ELNS1_11target_archE906ELNS1_3gpuE6ELNS1_3repE0EEENS1_30default_config_static_selectorELNS0_4arch9wavefront6targetE1EEEvT1_,@function
_ZN7rocprim17ROCPRIM_400000_NS6detail17trampoline_kernelINS0_14default_configENS1_35adjacent_difference_config_selectorILb1EsEEZNS1_24adjacent_difference_implIS3_Lb1ELb0EPsS7_N6thrust23THRUST_200600_302600_NS4plusIsEEEE10hipError_tPvRmT2_T3_mT4_P12ihipStream_tbEUlT_E_NS1_11comp_targetILNS1_3genE2ELNS1_11target_archE906ELNS1_3gpuE6ELNS1_3repE0EEENS1_30default_config_static_selectorELNS0_4arch9wavefront6targetE1EEEvT1_: ; @_ZN7rocprim17ROCPRIM_400000_NS6detail17trampoline_kernelINS0_14default_configENS1_35adjacent_difference_config_selectorILb1EsEEZNS1_24adjacent_difference_implIS3_Lb1ELb0EPsS7_N6thrust23THRUST_200600_302600_NS4plusIsEEEE10hipError_tPvRmT2_T3_mT4_P12ihipStream_tbEUlT_E_NS1_11comp_targetILNS1_3genE2ELNS1_11target_archE906ELNS1_3gpuE6ELNS1_3repE0EEENS1_30default_config_static_selectorELNS0_4arch9wavefront6targetE1EEEvT1_
; %bb.0:
	.section	.rodata,"a",@progbits
	.p2align	6, 0x0
	.amdhsa_kernel _ZN7rocprim17ROCPRIM_400000_NS6detail17trampoline_kernelINS0_14default_configENS1_35adjacent_difference_config_selectorILb1EsEEZNS1_24adjacent_difference_implIS3_Lb1ELb0EPsS7_N6thrust23THRUST_200600_302600_NS4plusIsEEEE10hipError_tPvRmT2_T3_mT4_P12ihipStream_tbEUlT_E_NS1_11comp_targetILNS1_3genE2ELNS1_11target_archE906ELNS1_3gpuE6ELNS1_3repE0EEENS1_30default_config_static_selectorELNS0_4arch9wavefront6targetE1EEEvT1_
		.amdhsa_group_segment_fixed_size 0
		.amdhsa_private_segment_fixed_size 0
		.amdhsa_kernarg_size 56
		.amdhsa_user_sgpr_count 6
		.amdhsa_user_sgpr_private_segment_buffer 1
		.amdhsa_user_sgpr_dispatch_ptr 0
		.amdhsa_user_sgpr_queue_ptr 0
		.amdhsa_user_sgpr_kernarg_segment_ptr 1
		.amdhsa_user_sgpr_dispatch_id 0
		.amdhsa_user_sgpr_flat_scratch_init 0
		.amdhsa_user_sgpr_kernarg_preload_length 0
		.amdhsa_user_sgpr_kernarg_preload_offset 0
		.amdhsa_user_sgpr_private_segment_size 0
		.amdhsa_uses_dynamic_stack 0
		.amdhsa_system_sgpr_private_segment_wavefront_offset 0
		.amdhsa_system_sgpr_workgroup_id_x 1
		.amdhsa_system_sgpr_workgroup_id_y 0
		.amdhsa_system_sgpr_workgroup_id_z 0
		.amdhsa_system_sgpr_workgroup_info 0
		.amdhsa_system_vgpr_workitem_id 0
		.amdhsa_next_free_vgpr 1
		.amdhsa_next_free_sgpr 0
		.amdhsa_accum_offset 4
		.amdhsa_reserve_vcc 0
		.amdhsa_reserve_flat_scratch 0
		.amdhsa_float_round_mode_32 0
		.amdhsa_float_round_mode_16_64 0
		.amdhsa_float_denorm_mode_32 3
		.amdhsa_float_denorm_mode_16_64 3
		.amdhsa_dx10_clamp 1
		.amdhsa_ieee_mode 1
		.amdhsa_fp16_overflow 0
		.amdhsa_tg_split 0
		.amdhsa_exception_fp_ieee_invalid_op 0
		.amdhsa_exception_fp_denorm_src 0
		.amdhsa_exception_fp_ieee_div_zero 0
		.amdhsa_exception_fp_ieee_overflow 0
		.amdhsa_exception_fp_ieee_underflow 0
		.amdhsa_exception_fp_ieee_inexact 0
		.amdhsa_exception_int_div_zero 0
	.end_amdhsa_kernel
	.section	.text._ZN7rocprim17ROCPRIM_400000_NS6detail17trampoline_kernelINS0_14default_configENS1_35adjacent_difference_config_selectorILb1EsEEZNS1_24adjacent_difference_implIS3_Lb1ELb0EPsS7_N6thrust23THRUST_200600_302600_NS4plusIsEEEE10hipError_tPvRmT2_T3_mT4_P12ihipStream_tbEUlT_E_NS1_11comp_targetILNS1_3genE2ELNS1_11target_archE906ELNS1_3gpuE6ELNS1_3repE0EEENS1_30default_config_static_selectorELNS0_4arch9wavefront6targetE1EEEvT1_,"axG",@progbits,_ZN7rocprim17ROCPRIM_400000_NS6detail17trampoline_kernelINS0_14default_configENS1_35adjacent_difference_config_selectorILb1EsEEZNS1_24adjacent_difference_implIS3_Lb1ELb0EPsS7_N6thrust23THRUST_200600_302600_NS4plusIsEEEE10hipError_tPvRmT2_T3_mT4_P12ihipStream_tbEUlT_E_NS1_11comp_targetILNS1_3genE2ELNS1_11target_archE906ELNS1_3gpuE6ELNS1_3repE0EEENS1_30default_config_static_selectorELNS0_4arch9wavefront6targetE1EEEvT1_,comdat
.Lfunc_end99:
	.size	_ZN7rocprim17ROCPRIM_400000_NS6detail17trampoline_kernelINS0_14default_configENS1_35adjacent_difference_config_selectorILb1EsEEZNS1_24adjacent_difference_implIS3_Lb1ELb0EPsS7_N6thrust23THRUST_200600_302600_NS4plusIsEEEE10hipError_tPvRmT2_T3_mT4_P12ihipStream_tbEUlT_E_NS1_11comp_targetILNS1_3genE2ELNS1_11target_archE906ELNS1_3gpuE6ELNS1_3repE0EEENS1_30default_config_static_selectorELNS0_4arch9wavefront6targetE1EEEvT1_, .Lfunc_end99-_ZN7rocprim17ROCPRIM_400000_NS6detail17trampoline_kernelINS0_14default_configENS1_35adjacent_difference_config_selectorILb1EsEEZNS1_24adjacent_difference_implIS3_Lb1ELb0EPsS7_N6thrust23THRUST_200600_302600_NS4plusIsEEEE10hipError_tPvRmT2_T3_mT4_P12ihipStream_tbEUlT_E_NS1_11comp_targetILNS1_3genE2ELNS1_11target_archE906ELNS1_3gpuE6ELNS1_3repE0EEENS1_30default_config_static_selectorELNS0_4arch9wavefront6targetE1EEEvT1_
                                        ; -- End function
	.section	.AMDGPU.csdata,"",@progbits
; Kernel info:
; codeLenInByte = 0
; NumSgprs: 4
; NumVgprs: 0
; NumAgprs: 0
; TotalNumVgprs: 0
; ScratchSize: 0
; MemoryBound: 0
; FloatMode: 240
; IeeeMode: 1
; LDSByteSize: 0 bytes/workgroup (compile time only)
; SGPRBlocks: 0
; VGPRBlocks: 0
; NumSGPRsForWavesPerEU: 4
; NumVGPRsForWavesPerEU: 1
; AccumOffset: 4
; Occupancy: 8
; WaveLimiterHint : 0
; COMPUTE_PGM_RSRC2:SCRATCH_EN: 0
; COMPUTE_PGM_RSRC2:USER_SGPR: 6
; COMPUTE_PGM_RSRC2:TRAP_HANDLER: 0
; COMPUTE_PGM_RSRC2:TGID_X_EN: 1
; COMPUTE_PGM_RSRC2:TGID_Y_EN: 0
; COMPUTE_PGM_RSRC2:TGID_Z_EN: 0
; COMPUTE_PGM_RSRC2:TIDIG_COMP_CNT: 0
; COMPUTE_PGM_RSRC3_GFX90A:ACCUM_OFFSET: 0
; COMPUTE_PGM_RSRC3_GFX90A:TG_SPLIT: 0
	.section	.text._ZN7rocprim17ROCPRIM_400000_NS6detail17trampoline_kernelINS0_14default_configENS1_35adjacent_difference_config_selectorILb1EsEEZNS1_24adjacent_difference_implIS3_Lb1ELb0EPsS7_N6thrust23THRUST_200600_302600_NS4plusIsEEEE10hipError_tPvRmT2_T3_mT4_P12ihipStream_tbEUlT_E_NS1_11comp_targetILNS1_3genE9ELNS1_11target_archE1100ELNS1_3gpuE3ELNS1_3repE0EEENS1_30default_config_static_selectorELNS0_4arch9wavefront6targetE1EEEvT1_,"axG",@progbits,_ZN7rocprim17ROCPRIM_400000_NS6detail17trampoline_kernelINS0_14default_configENS1_35adjacent_difference_config_selectorILb1EsEEZNS1_24adjacent_difference_implIS3_Lb1ELb0EPsS7_N6thrust23THRUST_200600_302600_NS4plusIsEEEE10hipError_tPvRmT2_T3_mT4_P12ihipStream_tbEUlT_E_NS1_11comp_targetILNS1_3genE9ELNS1_11target_archE1100ELNS1_3gpuE3ELNS1_3repE0EEENS1_30default_config_static_selectorELNS0_4arch9wavefront6targetE1EEEvT1_,comdat
	.protected	_ZN7rocprim17ROCPRIM_400000_NS6detail17trampoline_kernelINS0_14default_configENS1_35adjacent_difference_config_selectorILb1EsEEZNS1_24adjacent_difference_implIS3_Lb1ELb0EPsS7_N6thrust23THRUST_200600_302600_NS4plusIsEEEE10hipError_tPvRmT2_T3_mT4_P12ihipStream_tbEUlT_E_NS1_11comp_targetILNS1_3genE9ELNS1_11target_archE1100ELNS1_3gpuE3ELNS1_3repE0EEENS1_30default_config_static_selectorELNS0_4arch9wavefront6targetE1EEEvT1_ ; -- Begin function _ZN7rocprim17ROCPRIM_400000_NS6detail17trampoline_kernelINS0_14default_configENS1_35adjacent_difference_config_selectorILb1EsEEZNS1_24adjacent_difference_implIS3_Lb1ELb0EPsS7_N6thrust23THRUST_200600_302600_NS4plusIsEEEE10hipError_tPvRmT2_T3_mT4_P12ihipStream_tbEUlT_E_NS1_11comp_targetILNS1_3genE9ELNS1_11target_archE1100ELNS1_3gpuE3ELNS1_3repE0EEENS1_30default_config_static_selectorELNS0_4arch9wavefront6targetE1EEEvT1_
	.globl	_ZN7rocprim17ROCPRIM_400000_NS6detail17trampoline_kernelINS0_14default_configENS1_35adjacent_difference_config_selectorILb1EsEEZNS1_24adjacent_difference_implIS3_Lb1ELb0EPsS7_N6thrust23THRUST_200600_302600_NS4plusIsEEEE10hipError_tPvRmT2_T3_mT4_P12ihipStream_tbEUlT_E_NS1_11comp_targetILNS1_3genE9ELNS1_11target_archE1100ELNS1_3gpuE3ELNS1_3repE0EEENS1_30default_config_static_selectorELNS0_4arch9wavefront6targetE1EEEvT1_
	.p2align	8
	.type	_ZN7rocprim17ROCPRIM_400000_NS6detail17trampoline_kernelINS0_14default_configENS1_35adjacent_difference_config_selectorILb1EsEEZNS1_24adjacent_difference_implIS3_Lb1ELb0EPsS7_N6thrust23THRUST_200600_302600_NS4plusIsEEEE10hipError_tPvRmT2_T3_mT4_P12ihipStream_tbEUlT_E_NS1_11comp_targetILNS1_3genE9ELNS1_11target_archE1100ELNS1_3gpuE3ELNS1_3repE0EEENS1_30default_config_static_selectorELNS0_4arch9wavefront6targetE1EEEvT1_,@function
_ZN7rocprim17ROCPRIM_400000_NS6detail17trampoline_kernelINS0_14default_configENS1_35adjacent_difference_config_selectorILb1EsEEZNS1_24adjacent_difference_implIS3_Lb1ELb0EPsS7_N6thrust23THRUST_200600_302600_NS4plusIsEEEE10hipError_tPvRmT2_T3_mT4_P12ihipStream_tbEUlT_E_NS1_11comp_targetILNS1_3genE9ELNS1_11target_archE1100ELNS1_3gpuE3ELNS1_3repE0EEENS1_30default_config_static_selectorELNS0_4arch9wavefront6targetE1EEEvT1_: ; @_ZN7rocprim17ROCPRIM_400000_NS6detail17trampoline_kernelINS0_14default_configENS1_35adjacent_difference_config_selectorILb1EsEEZNS1_24adjacent_difference_implIS3_Lb1ELb0EPsS7_N6thrust23THRUST_200600_302600_NS4plusIsEEEE10hipError_tPvRmT2_T3_mT4_P12ihipStream_tbEUlT_E_NS1_11comp_targetILNS1_3genE9ELNS1_11target_archE1100ELNS1_3gpuE3ELNS1_3repE0EEENS1_30default_config_static_selectorELNS0_4arch9wavefront6targetE1EEEvT1_
; %bb.0:
	.section	.rodata,"a",@progbits
	.p2align	6, 0x0
	.amdhsa_kernel _ZN7rocprim17ROCPRIM_400000_NS6detail17trampoline_kernelINS0_14default_configENS1_35adjacent_difference_config_selectorILb1EsEEZNS1_24adjacent_difference_implIS3_Lb1ELb0EPsS7_N6thrust23THRUST_200600_302600_NS4plusIsEEEE10hipError_tPvRmT2_T3_mT4_P12ihipStream_tbEUlT_E_NS1_11comp_targetILNS1_3genE9ELNS1_11target_archE1100ELNS1_3gpuE3ELNS1_3repE0EEENS1_30default_config_static_selectorELNS0_4arch9wavefront6targetE1EEEvT1_
		.amdhsa_group_segment_fixed_size 0
		.amdhsa_private_segment_fixed_size 0
		.amdhsa_kernarg_size 56
		.amdhsa_user_sgpr_count 6
		.amdhsa_user_sgpr_private_segment_buffer 1
		.amdhsa_user_sgpr_dispatch_ptr 0
		.amdhsa_user_sgpr_queue_ptr 0
		.amdhsa_user_sgpr_kernarg_segment_ptr 1
		.amdhsa_user_sgpr_dispatch_id 0
		.amdhsa_user_sgpr_flat_scratch_init 0
		.amdhsa_user_sgpr_kernarg_preload_length 0
		.amdhsa_user_sgpr_kernarg_preload_offset 0
		.amdhsa_user_sgpr_private_segment_size 0
		.amdhsa_uses_dynamic_stack 0
		.amdhsa_system_sgpr_private_segment_wavefront_offset 0
		.amdhsa_system_sgpr_workgroup_id_x 1
		.amdhsa_system_sgpr_workgroup_id_y 0
		.amdhsa_system_sgpr_workgroup_id_z 0
		.amdhsa_system_sgpr_workgroup_info 0
		.amdhsa_system_vgpr_workitem_id 0
		.amdhsa_next_free_vgpr 1
		.amdhsa_next_free_sgpr 0
		.amdhsa_accum_offset 4
		.amdhsa_reserve_vcc 0
		.amdhsa_reserve_flat_scratch 0
		.amdhsa_float_round_mode_32 0
		.amdhsa_float_round_mode_16_64 0
		.amdhsa_float_denorm_mode_32 3
		.amdhsa_float_denorm_mode_16_64 3
		.amdhsa_dx10_clamp 1
		.amdhsa_ieee_mode 1
		.amdhsa_fp16_overflow 0
		.amdhsa_tg_split 0
		.amdhsa_exception_fp_ieee_invalid_op 0
		.amdhsa_exception_fp_denorm_src 0
		.amdhsa_exception_fp_ieee_div_zero 0
		.amdhsa_exception_fp_ieee_overflow 0
		.amdhsa_exception_fp_ieee_underflow 0
		.amdhsa_exception_fp_ieee_inexact 0
		.amdhsa_exception_int_div_zero 0
	.end_amdhsa_kernel
	.section	.text._ZN7rocprim17ROCPRIM_400000_NS6detail17trampoline_kernelINS0_14default_configENS1_35adjacent_difference_config_selectorILb1EsEEZNS1_24adjacent_difference_implIS3_Lb1ELb0EPsS7_N6thrust23THRUST_200600_302600_NS4plusIsEEEE10hipError_tPvRmT2_T3_mT4_P12ihipStream_tbEUlT_E_NS1_11comp_targetILNS1_3genE9ELNS1_11target_archE1100ELNS1_3gpuE3ELNS1_3repE0EEENS1_30default_config_static_selectorELNS0_4arch9wavefront6targetE1EEEvT1_,"axG",@progbits,_ZN7rocprim17ROCPRIM_400000_NS6detail17trampoline_kernelINS0_14default_configENS1_35adjacent_difference_config_selectorILb1EsEEZNS1_24adjacent_difference_implIS3_Lb1ELb0EPsS7_N6thrust23THRUST_200600_302600_NS4plusIsEEEE10hipError_tPvRmT2_T3_mT4_P12ihipStream_tbEUlT_E_NS1_11comp_targetILNS1_3genE9ELNS1_11target_archE1100ELNS1_3gpuE3ELNS1_3repE0EEENS1_30default_config_static_selectorELNS0_4arch9wavefront6targetE1EEEvT1_,comdat
.Lfunc_end100:
	.size	_ZN7rocprim17ROCPRIM_400000_NS6detail17trampoline_kernelINS0_14default_configENS1_35adjacent_difference_config_selectorILb1EsEEZNS1_24adjacent_difference_implIS3_Lb1ELb0EPsS7_N6thrust23THRUST_200600_302600_NS4plusIsEEEE10hipError_tPvRmT2_T3_mT4_P12ihipStream_tbEUlT_E_NS1_11comp_targetILNS1_3genE9ELNS1_11target_archE1100ELNS1_3gpuE3ELNS1_3repE0EEENS1_30default_config_static_selectorELNS0_4arch9wavefront6targetE1EEEvT1_, .Lfunc_end100-_ZN7rocprim17ROCPRIM_400000_NS6detail17trampoline_kernelINS0_14default_configENS1_35adjacent_difference_config_selectorILb1EsEEZNS1_24adjacent_difference_implIS3_Lb1ELb0EPsS7_N6thrust23THRUST_200600_302600_NS4plusIsEEEE10hipError_tPvRmT2_T3_mT4_P12ihipStream_tbEUlT_E_NS1_11comp_targetILNS1_3genE9ELNS1_11target_archE1100ELNS1_3gpuE3ELNS1_3repE0EEENS1_30default_config_static_selectorELNS0_4arch9wavefront6targetE1EEEvT1_
                                        ; -- End function
	.section	.AMDGPU.csdata,"",@progbits
; Kernel info:
; codeLenInByte = 0
; NumSgprs: 4
; NumVgprs: 0
; NumAgprs: 0
; TotalNumVgprs: 0
; ScratchSize: 0
; MemoryBound: 0
; FloatMode: 240
; IeeeMode: 1
; LDSByteSize: 0 bytes/workgroup (compile time only)
; SGPRBlocks: 0
; VGPRBlocks: 0
; NumSGPRsForWavesPerEU: 4
; NumVGPRsForWavesPerEU: 1
; AccumOffset: 4
; Occupancy: 8
; WaveLimiterHint : 0
; COMPUTE_PGM_RSRC2:SCRATCH_EN: 0
; COMPUTE_PGM_RSRC2:USER_SGPR: 6
; COMPUTE_PGM_RSRC2:TRAP_HANDLER: 0
; COMPUTE_PGM_RSRC2:TGID_X_EN: 1
; COMPUTE_PGM_RSRC2:TGID_Y_EN: 0
; COMPUTE_PGM_RSRC2:TGID_Z_EN: 0
; COMPUTE_PGM_RSRC2:TIDIG_COMP_CNT: 0
; COMPUTE_PGM_RSRC3_GFX90A:ACCUM_OFFSET: 0
; COMPUTE_PGM_RSRC3_GFX90A:TG_SPLIT: 0
	.section	.text._ZN7rocprim17ROCPRIM_400000_NS6detail17trampoline_kernelINS0_14default_configENS1_35adjacent_difference_config_selectorILb1EsEEZNS1_24adjacent_difference_implIS3_Lb1ELb0EPsS7_N6thrust23THRUST_200600_302600_NS4plusIsEEEE10hipError_tPvRmT2_T3_mT4_P12ihipStream_tbEUlT_E_NS1_11comp_targetILNS1_3genE8ELNS1_11target_archE1030ELNS1_3gpuE2ELNS1_3repE0EEENS1_30default_config_static_selectorELNS0_4arch9wavefront6targetE1EEEvT1_,"axG",@progbits,_ZN7rocprim17ROCPRIM_400000_NS6detail17trampoline_kernelINS0_14default_configENS1_35adjacent_difference_config_selectorILb1EsEEZNS1_24adjacent_difference_implIS3_Lb1ELb0EPsS7_N6thrust23THRUST_200600_302600_NS4plusIsEEEE10hipError_tPvRmT2_T3_mT4_P12ihipStream_tbEUlT_E_NS1_11comp_targetILNS1_3genE8ELNS1_11target_archE1030ELNS1_3gpuE2ELNS1_3repE0EEENS1_30default_config_static_selectorELNS0_4arch9wavefront6targetE1EEEvT1_,comdat
	.protected	_ZN7rocprim17ROCPRIM_400000_NS6detail17trampoline_kernelINS0_14default_configENS1_35adjacent_difference_config_selectorILb1EsEEZNS1_24adjacent_difference_implIS3_Lb1ELb0EPsS7_N6thrust23THRUST_200600_302600_NS4plusIsEEEE10hipError_tPvRmT2_T3_mT4_P12ihipStream_tbEUlT_E_NS1_11comp_targetILNS1_3genE8ELNS1_11target_archE1030ELNS1_3gpuE2ELNS1_3repE0EEENS1_30default_config_static_selectorELNS0_4arch9wavefront6targetE1EEEvT1_ ; -- Begin function _ZN7rocprim17ROCPRIM_400000_NS6detail17trampoline_kernelINS0_14default_configENS1_35adjacent_difference_config_selectorILb1EsEEZNS1_24adjacent_difference_implIS3_Lb1ELb0EPsS7_N6thrust23THRUST_200600_302600_NS4plusIsEEEE10hipError_tPvRmT2_T3_mT4_P12ihipStream_tbEUlT_E_NS1_11comp_targetILNS1_3genE8ELNS1_11target_archE1030ELNS1_3gpuE2ELNS1_3repE0EEENS1_30default_config_static_selectorELNS0_4arch9wavefront6targetE1EEEvT1_
	.globl	_ZN7rocprim17ROCPRIM_400000_NS6detail17trampoline_kernelINS0_14default_configENS1_35adjacent_difference_config_selectorILb1EsEEZNS1_24adjacent_difference_implIS3_Lb1ELb0EPsS7_N6thrust23THRUST_200600_302600_NS4plusIsEEEE10hipError_tPvRmT2_T3_mT4_P12ihipStream_tbEUlT_E_NS1_11comp_targetILNS1_3genE8ELNS1_11target_archE1030ELNS1_3gpuE2ELNS1_3repE0EEENS1_30default_config_static_selectorELNS0_4arch9wavefront6targetE1EEEvT1_
	.p2align	8
	.type	_ZN7rocprim17ROCPRIM_400000_NS6detail17trampoline_kernelINS0_14default_configENS1_35adjacent_difference_config_selectorILb1EsEEZNS1_24adjacent_difference_implIS3_Lb1ELb0EPsS7_N6thrust23THRUST_200600_302600_NS4plusIsEEEE10hipError_tPvRmT2_T3_mT4_P12ihipStream_tbEUlT_E_NS1_11comp_targetILNS1_3genE8ELNS1_11target_archE1030ELNS1_3gpuE2ELNS1_3repE0EEENS1_30default_config_static_selectorELNS0_4arch9wavefront6targetE1EEEvT1_,@function
_ZN7rocprim17ROCPRIM_400000_NS6detail17trampoline_kernelINS0_14default_configENS1_35adjacent_difference_config_selectorILb1EsEEZNS1_24adjacent_difference_implIS3_Lb1ELb0EPsS7_N6thrust23THRUST_200600_302600_NS4plusIsEEEE10hipError_tPvRmT2_T3_mT4_P12ihipStream_tbEUlT_E_NS1_11comp_targetILNS1_3genE8ELNS1_11target_archE1030ELNS1_3gpuE2ELNS1_3repE0EEENS1_30default_config_static_selectorELNS0_4arch9wavefront6targetE1EEEvT1_: ; @_ZN7rocprim17ROCPRIM_400000_NS6detail17trampoline_kernelINS0_14default_configENS1_35adjacent_difference_config_selectorILb1EsEEZNS1_24adjacent_difference_implIS3_Lb1ELb0EPsS7_N6thrust23THRUST_200600_302600_NS4plusIsEEEE10hipError_tPvRmT2_T3_mT4_P12ihipStream_tbEUlT_E_NS1_11comp_targetILNS1_3genE8ELNS1_11target_archE1030ELNS1_3gpuE2ELNS1_3repE0EEENS1_30default_config_static_selectorELNS0_4arch9wavefront6targetE1EEEvT1_
; %bb.0:
	.section	.rodata,"a",@progbits
	.p2align	6, 0x0
	.amdhsa_kernel _ZN7rocprim17ROCPRIM_400000_NS6detail17trampoline_kernelINS0_14default_configENS1_35adjacent_difference_config_selectorILb1EsEEZNS1_24adjacent_difference_implIS3_Lb1ELb0EPsS7_N6thrust23THRUST_200600_302600_NS4plusIsEEEE10hipError_tPvRmT2_T3_mT4_P12ihipStream_tbEUlT_E_NS1_11comp_targetILNS1_3genE8ELNS1_11target_archE1030ELNS1_3gpuE2ELNS1_3repE0EEENS1_30default_config_static_selectorELNS0_4arch9wavefront6targetE1EEEvT1_
		.amdhsa_group_segment_fixed_size 0
		.amdhsa_private_segment_fixed_size 0
		.amdhsa_kernarg_size 56
		.amdhsa_user_sgpr_count 6
		.amdhsa_user_sgpr_private_segment_buffer 1
		.amdhsa_user_sgpr_dispatch_ptr 0
		.amdhsa_user_sgpr_queue_ptr 0
		.amdhsa_user_sgpr_kernarg_segment_ptr 1
		.amdhsa_user_sgpr_dispatch_id 0
		.amdhsa_user_sgpr_flat_scratch_init 0
		.amdhsa_user_sgpr_kernarg_preload_length 0
		.amdhsa_user_sgpr_kernarg_preload_offset 0
		.amdhsa_user_sgpr_private_segment_size 0
		.amdhsa_uses_dynamic_stack 0
		.amdhsa_system_sgpr_private_segment_wavefront_offset 0
		.amdhsa_system_sgpr_workgroup_id_x 1
		.amdhsa_system_sgpr_workgroup_id_y 0
		.amdhsa_system_sgpr_workgroup_id_z 0
		.amdhsa_system_sgpr_workgroup_info 0
		.amdhsa_system_vgpr_workitem_id 0
		.amdhsa_next_free_vgpr 1
		.amdhsa_next_free_sgpr 0
		.amdhsa_accum_offset 4
		.amdhsa_reserve_vcc 0
		.amdhsa_reserve_flat_scratch 0
		.amdhsa_float_round_mode_32 0
		.amdhsa_float_round_mode_16_64 0
		.amdhsa_float_denorm_mode_32 3
		.amdhsa_float_denorm_mode_16_64 3
		.amdhsa_dx10_clamp 1
		.amdhsa_ieee_mode 1
		.amdhsa_fp16_overflow 0
		.amdhsa_tg_split 0
		.amdhsa_exception_fp_ieee_invalid_op 0
		.amdhsa_exception_fp_denorm_src 0
		.amdhsa_exception_fp_ieee_div_zero 0
		.amdhsa_exception_fp_ieee_overflow 0
		.amdhsa_exception_fp_ieee_underflow 0
		.amdhsa_exception_fp_ieee_inexact 0
		.amdhsa_exception_int_div_zero 0
	.end_amdhsa_kernel
	.section	.text._ZN7rocprim17ROCPRIM_400000_NS6detail17trampoline_kernelINS0_14default_configENS1_35adjacent_difference_config_selectorILb1EsEEZNS1_24adjacent_difference_implIS3_Lb1ELb0EPsS7_N6thrust23THRUST_200600_302600_NS4plusIsEEEE10hipError_tPvRmT2_T3_mT4_P12ihipStream_tbEUlT_E_NS1_11comp_targetILNS1_3genE8ELNS1_11target_archE1030ELNS1_3gpuE2ELNS1_3repE0EEENS1_30default_config_static_selectorELNS0_4arch9wavefront6targetE1EEEvT1_,"axG",@progbits,_ZN7rocprim17ROCPRIM_400000_NS6detail17trampoline_kernelINS0_14default_configENS1_35adjacent_difference_config_selectorILb1EsEEZNS1_24adjacent_difference_implIS3_Lb1ELb0EPsS7_N6thrust23THRUST_200600_302600_NS4plusIsEEEE10hipError_tPvRmT2_T3_mT4_P12ihipStream_tbEUlT_E_NS1_11comp_targetILNS1_3genE8ELNS1_11target_archE1030ELNS1_3gpuE2ELNS1_3repE0EEENS1_30default_config_static_selectorELNS0_4arch9wavefront6targetE1EEEvT1_,comdat
.Lfunc_end101:
	.size	_ZN7rocprim17ROCPRIM_400000_NS6detail17trampoline_kernelINS0_14default_configENS1_35adjacent_difference_config_selectorILb1EsEEZNS1_24adjacent_difference_implIS3_Lb1ELb0EPsS7_N6thrust23THRUST_200600_302600_NS4plusIsEEEE10hipError_tPvRmT2_T3_mT4_P12ihipStream_tbEUlT_E_NS1_11comp_targetILNS1_3genE8ELNS1_11target_archE1030ELNS1_3gpuE2ELNS1_3repE0EEENS1_30default_config_static_selectorELNS0_4arch9wavefront6targetE1EEEvT1_, .Lfunc_end101-_ZN7rocprim17ROCPRIM_400000_NS6detail17trampoline_kernelINS0_14default_configENS1_35adjacent_difference_config_selectorILb1EsEEZNS1_24adjacent_difference_implIS3_Lb1ELb0EPsS7_N6thrust23THRUST_200600_302600_NS4plusIsEEEE10hipError_tPvRmT2_T3_mT4_P12ihipStream_tbEUlT_E_NS1_11comp_targetILNS1_3genE8ELNS1_11target_archE1030ELNS1_3gpuE2ELNS1_3repE0EEENS1_30default_config_static_selectorELNS0_4arch9wavefront6targetE1EEEvT1_
                                        ; -- End function
	.section	.AMDGPU.csdata,"",@progbits
; Kernel info:
; codeLenInByte = 0
; NumSgprs: 4
; NumVgprs: 0
; NumAgprs: 0
; TotalNumVgprs: 0
; ScratchSize: 0
; MemoryBound: 0
; FloatMode: 240
; IeeeMode: 1
; LDSByteSize: 0 bytes/workgroup (compile time only)
; SGPRBlocks: 0
; VGPRBlocks: 0
; NumSGPRsForWavesPerEU: 4
; NumVGPRsForWavesPerEU: 1
; AccumOffset: 4
; Occupancy: 8
; WaveLimiterHint : 0
; COMPUTE_PGM_RSRC2:SCRATCH_EN: 0
; COMPUTE_PGM_RSRC2:USER_SGPR: 6
; COMPUTE_PGM_RSRC2:TRAP_HANDLER: 0
; COMPUTE_PGM_RSRC2:TGID_X_EN: 1
; COMPUTE_PGM_RSRC2:TGID_Y_EN: 0
; COMPUTE_PGM_RSRC2:TGID_Z_EN: 0
; COMPUTE_PGM_RSRC2:TIDIG_COMP_CNT: 0
; COMPUTE_PGM_RSRC3_GFX90A:ACCUM_OFFSET: 0
; COMPUTE_PGM_RSRC3_GFX90A:TG_SPLIT: 0
	.section	.text._ZN7rocprim17ROCPRIM_400000_NS6detail17trampoline_kernelINS0_14default_configENS1_35adjacent_difference_config_selectorILb0EiEEZNS1_24adjacent_difference_implIS3_Lb0ELb0EPiS7_N6thrust23THRUST_200600_302600_NS5minusIiEEEE10hipError_tPvRmT2_T3_mT4_P12ihipStream_tbEUlT_E_NS1_11comp_targetILNS1_3genE0ELNS1_11target_archE4294967295ELNS1_3gpuE0ELNS1_3repE0EEENS1_30default_config_static_selectorELNS0_4arch9wavefront6targetE1EEEvT1_,"axG",@progbits,_ZN7rocprim17ROCPRIM_400000_NS6detail17trampoline_kernelINS0_14default_configENS1_35adjacent_difference_config_selectorILb0EiEEZNS1_24adjacent_difference_implIS3_Lb0ELb0EPiS7_N6thrust23THRUST_200600_302600_NS5minusIiEEEE10hipError_tPvRmT2_T3_mT4_P12ihipStream_tbEUlT_E_NS1_11comp_targetILNS1_3genE0ELNS1_11target_archE4294967295ELNS1_3gpuE0ELNS1_3repE0EEENS1_30default_config_static_selectorELNS0_4arch9wavefront6targetE1EEEvT1_,comdat
	.protected	_ZN7rocprim17ROCPRIM_400000_NS6detail17trampoline_kernelINS0_14default_configENS1_35adjacent_difference_config_selectorILb0EiEEZNS1_24adjacent_difference_implIS3_Lb0ELb0EPiS7_N6thrust23THRUST_200600_302600_NS5minusIiEEEE10hipError_tPvRmT2_T3_mT4_P12ihipStream_tbEUlT_E_NS1_11comp_targetILNS1_3genE0ELNS1_11target_archE4294967295ELNS1_3gpuE0ELNS1_3repE0EEENS1_30default_config_static_selectorELNS0_4arch9wavefront6targetE1EEEvT1_ ; -- Begin function _ZN7rocprim17ROCPRIM_400000_NS6detail17trampoline_kernelINS0_14default_configENS1_35adjacent_difference_config_selectorILb0EiEEZNS1_24adjacent_difference_implIS3_Lb0ELb0EPiS7_N6thrust23THRUST_200600_302600_NS5minusIiEEEE10hipError_tPvRmT2_T3_mT4_P12ihipStream_tbEUlT_E_NS1_11comp_targetILNS1_3genE0ELNS1_11target_archE4294967295ELNS1_3gpuE0ELNS1_3repE0EEENS1_30default_config_static_selectorELNS0_4arch9wavefront6targetE1EEEvT1_
	.globl	_ZN7rocprim17ROCPRIM_400000_NS6detail17trampoline_kernelINS0_14default_configENS1_35adjacent_difference_config_selectorILb0EiEEZNS1_24adjacent_difference_implIS3_Lb0ELb0EPiS7_N6thrust23THRUST_200600_302600_NS5minusIiEEEE10hipError_tPvRmT2_T3_mT4_P12ihipStream_tbEUlT_E_NS1_11comp_targetILNS1_3genE0ELNS1_11target_archE4294967295ELNS1_3gpuE0ELNS1_3repE0EEENS1_30default_config_static_selectorELNS0_4arch9wavefront6targetE1EEEvT1_
	.p2align	8
	.type	_ZN7rocprim17ROCPRIM_400000_NS6detail17trampoline_kernelINS0_14default_configENS1_35adjacent_difference_config_selectorILb0EiEEZNS1_24adjacent_difference_implIS3_Lb0ELb0EPiS7_N6thrust23THRUST_200600_302600_NS5minusIiEEEE10hipError_tPvRmT2_T3_mT4_P12ihipStream_tbEUlT_E_NS1_11comp_targetILNS1_3genE0ELNS1_11target_archE4294967295ELNS1_3gpuE0ELNS1_3repE0EEENS1_30default_config_static_selectorELNS0_4arch9wavefront6targetE1EEEvT1_,@function
_ZN7rocprim17ROCPRIM_400000_NS6detail17trampoline_kernelINS0_14default_configENS1_35adjacent_difference_config_selectorILb0EiEEZNS1_24adjacent_difference_implIS3_Lb0ELb0EPiS7_N6thrust23THRUST_200600_302600_NS5minusIiEEEE10hipError_tPvRmT2_T3_mT4_P12ihipStream_tbEUlT_E_NS1_11comp_targetILNS1_3genE0ELNS1_11target_archE4294967295ELNS1_3gpuE0ELNS1_3repE0EEENS1_30default_config_static_selectorELNS0_4arch9wavefront6targetE1EEEvT1_: ; @_ZN7rocprim17ROCPRIM_400000_NS6detail17trampoline_kernelINS0_14default_configENS1_35adjacent_difference_config_selectorILb0EiEEZNS1_24adjacent_difference_implIS3_Lb0ELb0EPiS7_N6thrust23THRUST_200600_302600_NS5minusIiEEEE10hipError_tPvRmT2_T3_mT4_P12ihipStream_tbEUlT_E_NS1_11comp_targetILNS1_3genE0ELNS1_11target_archE4294967295ELNS1_3gpuE0ELNS1_3repE0EEENS1_30default_config_static_selectorELNS0_4arch9wavefront6targetE1EEEvT1_
; %bb.0:
	.section	.rodata,"a",@progbits
	.p2align	6, 0x0
	.amdhsa_kernel _ZN7rocprim17ROCPRIM_400000_NS6detail17trampoline_kernelINS0_14default_configENS1_35adjacent_difference_config_selectorILb0EiEEZNS1_24adjacent_difference_implIS3_Lb0ELb0EPiS7_N6thrust23THRUST_200600_302600_NS5minusIiEEEE10hipError_tPvRmT2_T3_mT4_P12ihipStream_tbEUlT_E_NS1_11comp_targetILNS1_3genE0ELNS1_11target_archE4294967295ELNS1_3gpuE0ELNS1_3repE0EEENS1_30default_config_static_selectorELNS0_4arch9wavefront6targetE1EEEvT1_
		.amdhsa_group_segment_fixed_size 0
		.amdhsa_private_segment_fixed_size 0
		.amdhsa_kernarg_size 56
		.amdhsa_user_sgpr_count 6
		.amdhsa_user_sgpr_private_segment_buffer 1
		.amdhsa_user_sgpr_dispatch_ptr 0
		.amdhsa_user_sgpr_queue_ptr 0
		.amdhsa_user_sgpr_kernarg_segment_ptr 1
		.amdhsa_user_sgpr_dispatch_id 0
		.amdhsa_user_sgpr_flat_scratch_init 0
		.amdhsa_user_sgpr_kernarg_preload_length 0
		.amdhsa_user_sgpr_kernarg_preload_offset 0
		.amdhsa_user_sgpr_private_segment_size 0
		.amdhsa_uses_dynamic_stack 0
		.amdhsa_system_sgpr_private_segment_wavefront_offset 0
		.amdhsa_system_sgpr_workgroup_id_x 1
		.amdhsa_system_sgpr_workgroup_id_y 0
		.amdhsa_system_sgpr_workgroup_id_z 0
		.amdhsa_system_sgpr_workgroup_info 0
		.amdhsa_system_vgpr_workitem_id 0
		.amdhsa_next_free_vgpr 1
		.amdhsa_next_free_sgpr 0
		.amdhsa_accum_offset 4
		.amdhsa_reserve_vcc 0
		.amdhsa_reserve_flat_scratch 0
		.amdhsa_float_round_mode_32 0
		.amdhsa_float_round_mode_16_64 0
		.amdhsa_float_denorm_mode_32 3
		.amdhsa_float_denorm_mode_16_64 3
		.amdhsa_dx10_clamp 1
		.amdhsa_ieee_mode 1
		.amdhsa_fp16_overflow 0
		.amdhsa_tg_split 0
		.amdhsa_exception_fp_ieee_invalid_op 0
		.amdhsa_exception_fp_denorm_src 0
		.amdhsa_exception_fp_ieee_div_zero 0
		.amdhsa_exception_fp_ieee_overflow 0
		.amdhsa_exception_fp_ieee_underflow 0
		.amdhsa_exception_fp_ieee_inexact 0
		.amdhsa_exception_int_div_zero 0
	.end_amdhsa_kernel
	.section	.text._ZN7rocprim17ROCPRIM_400000_NS6detail17trampoline_kernelINS0_14default_configENS1_35adjacent_difference_config_selectorILb0EiEEZNS1_24adjacent_difference_implIS3_Lb0ELb0EPiS7_N6thrust23THRUST_200600_302600_NS5minusIiEEEE10hipError_tPvRmT2_T3_mT4_P12ihipStream_tbEUlT_E_NS1_11comp_targetILNS1_3genE0ELNS1_11target_archE4294967295ELNS1_3gpuE0ELNS1_3repE0EEENS1_30default_config_static_selectorELNS0_4arch9wavefront6targetE1EEEvT1_,"axG",@progbits,_ZN7rocprim17ROCPRIM_400000_NS6detail17trampoline_kernelINS0_14default_configENS1_35adjacent_difference_config_selectorILb0EiEEZNS1_24adjacent_difference_implIS3_Lb0ELb0EPiS7_N6thrust23THRUST_200600_302600_NS5minusIiEEEE10hipError_tPvRmT2_T3_mT4_P12ihipStream_tbEUlT_E_NS1_11comp_targetILNS1_3genE0ELNS1_11target_archE4294967295ELNS1_3gpuE0ELNS1_3repE0EEENS1_30default_config_static_selectorELNS0_4arch9wavefront6targetE1EEEvT1_,comdat
.Lfunc_end102:
	.size	_ZN7rocprim17ROCPRIM_400000_NS6detail17trampoline_kernelINS0_14default_configENS1_35adjacent_difference_config_selectorILb0EiEEZNS1_24adjacent_difference_implIS3_Lb0ELb0EPiS7_N6thrust23THRUST_200600_302600_NS5minusIiEEEE10hipError_tPvRmT2_T3_mT4_P12ihipStream_tbEUlT_E_NS1_11comp_targetILNS1_3genE0ELNS1_11target_archE4294967295ELNS1_3gpuE0ELNS1_3repE0EEENS1_30default_config_static_selectorELNS0_4arch9wavefront6targetE1EEEvT1_, .Lfunc_end102-_ZN7rocprim17ROCPRIM_400000_NS6detail17trampoline_kernelINS0_14default_configENS1_35adjacent_difference_config_selectorILb0EiEEZNS1_24adjacent_difference_implIS3_Lb0ELb0EPiS7_N6thrust23THRUST_200600_302600_NS5minusIiEEEE10hipError_tPvRmT2_T3_mT4_P12ihipStream_tbEUlT_E_NS1_11comp_targetILNS1_3genE0ELNS1_11target_archE4294967295ELNS1_3gpuE0ELNS1_3repE0EEENS1_30default_config_static_selectorELNS0_4arch9wavefront6targetE1EEEvT1_
                                        ; -- End function
	.section	.AMDGPU.csdata,"",@progbits
; Kernel info:
; codeLenInByte = 0
; NumSgprs: 4
; NumVgprs: 0
; NumAgprs: 0
; TotalNumVgprs: 0
; ScratchSize: 0
; MemoryBound: 0
; FloatMode: 240
; IeeeMode: 1
; LDSByteSize: 0 bytes/workgroup (compile time only)
; SGPRBlocks: 0
; VGPRBlocks: 0
; NumSGPRsForWavesPerEU: 4
; NumVGPRsForWavesPerEU: 1
; AccumOffset: 4
; Occupancy: 8
; WaveLimiterHint : 0
; COMPUTE_PGM_RSRC2:SCRATCH_EN: 0
; COMPUTE_PGM_RSRC2:USER_SGPR: 6
; COMPUTE_PGM_RSRC2:TRAP_HANDLER: 0
; COMPUTE_PGM_RSRC2:TGID_X_EN: 1
; COMPUTE_PGM_RSRC2:TGID_Y_EN: 0
; COMPUTE_PGM_RSRC2:TGID_Z_EN: 0
; COMPUTE_PGM_RSRC2:TIDIG_COMP_CNT: 0
; COMPUTE_PGM_RSRC3_GFX90A:ACCUM_OFFSET: 0
; COMPUTE_PGM_RSRC3_GFX90A:TG_SPLIT: 0
	.section	.text._ZN7rocprim17ROCPRIM_400000_NS6detail17trampoline_kernelINS0_14default_configENS1_35adjacent_difference_config_selectorILb0EiEEZNS1_24adjacent_difference_implIS3_Lb0ELb0EPiS7_N6thrust23THRUST_200600_302600_NS5minusIiEEEE10hipError_tPvRmT2_T3_mT4_P12ihipStream_tbEUlT_E_NS1_11comp_targetILNS1_3genE10ELNS1_11target_archE1201ELNS1_3gpuE5ELNS1_3repE0EEENS1_30default_config_static_selectorELNS0_4arch9wavefront6targetE1EEEvT1_,"axG",@progbits,_ZN7rocprim17ROCPRIM_400000_NS6detail17trampoline_kernelINS0_14default_configENS1_35adjacent_difference_config_selectorILb0EiEEZNS1_24adjacent_difference_implIS3_Lb0ELb0EPiS7_N6thrust23THRUST_200600_302600_NS5minusIiEEEE10hipError_tPvRmT2_T3_mT4_P12ihipStream_tbEUlT_E_NS1_11comp_targetILNS1_3genE10ELNS1_11target_archE1201ELNS1_3gpuE5ELNS1_3repE0EEENS1_30default_config_static_selectorELNS0_4arch9wavefront6targetE1EEEvT1_,comdat
	.protected	_ZN7rocprim17ROCPRIM_400000_NS6detail17trampoline_kernelINS0_14default_configENS1_35adjacent_difference_config_selectorILb0EiEEZNS1_24adjacent_difference_implIS3_Lb0ELb0EPiS7_N6thrust23THRUST_200600_302600_NS5minusIiEEEE10hipError_tPvRmT2_T3_mT4_P12ihipStream_tbEUlT_E_NS1_11comp_targetILNS1_3genE10ELNS1_11target_archE1201ELNS1_3gpuE5ELNS1_3repE0EEENS1_30default_config_static_selectorELNS0_4arch9wavefront6targetE1EEEvT1_ ; -- Begin function _ZN7rocprim17ROCPRIM_400000_NS6detail17trampoline_kernelINS0_14default_configENS1_35adjacent_difference_config_selectorILb0EiEEZNS1_24adjacent_difference_implIS3_Lb0ELb0EPiS7_N6thrust23THRUST_200600_302600_NS5minusIiEEEE10hipError_tPvRmT2_T3_mT4_P12ihipStream_tbEUlT_E_NS1_11comp_targetILNS1_3genE10ELNS1_11target_archE1201ELNS1_3gpuE5ELNS1_3repE0EEENS1_30default_config_static_selectorELNS0_4arch9wavefront6targetE1EEEvT1_
	.globl	_ZN7rocprim17ROCPRIM_400000_NS6detail17trampoline_kernelINS0_14default_configENS1_35adjacent_difference_config_selectorILb0EiEEZNS1_24adjacent_difference_implIS3_Lb0ELb0EPiS7_N6thrust23THRUST_200600_302600_NS5minusIiEEEE10hipError_tPvRmT2_T3_mT4_P12ihipStream_tbEUlT_E_NS1_11comp_targetILNS1_3genE10ELNS1_11target_archE1201ELNS1_3gpuE5ELNS1_3repE0EEENS1_30default_config_static_selectorELNS0_4arch9wavefront6targetE1EEEvT1_
	.p2align	8
	.type	_ZN7rocprim17ROCPRIM_400000_NS6detail17trampoline_kernelINS0_14default_configENS1_35adjacent_difference_config_selectorILb0EiEEZNS1_24adjacent_difference_implIS3_Lb0ELb0EPiS7_N6thrust23THRUST_200600_302600_NS5minusIiEEEE10hipError_tPvRmT2_T3_mT4_P12ihipStream_tbEUlT_E_NS1_11comp_targetILNS1_3genE10ELNS1_11target_archE1201ELNS1_3gpuE5ELNS1_3repE0EEENS1_30default_config_static_selectorELNS0_4arch9wavefront6targetE1EEEvT1_,@function
_ZN7rocprim17ROCPRIM_400000_NS6detail17trampoline_kernelINS0_14default_configENS1_35adjacent_difference_config_selectorILb0EiEEZNS1_24adjacent_difference_implIS3_Lb0ELb0EPiS7_N6thrust23THRUST_200600_302600_NS5minusIiEEEE10hipError_tPvRmT2_T3_mT4_P12ihipStream_tbEUlT_E_NS1_11comp_targetILNS1_3genE10ELNS1_11target_archE1201ELNS1_3gpuE5ELNS1_3repE0EEENS1_30default_config_static_selectorELNS0_4arch9wavefront6targetE1EEEvT1_: ; @_ZN7rocprim17ROCPRIM_400000_NS6detail17trampoline_kernelINS0_14default_configENS1_35adjacent_difference_config_selectorILb0EiEEZNS1_24adjacent_difference_implIS3_Lb0ELb0EPiS7_N6thrust23THRUST_200600_302600_NS5minusIiEEEE10hipError_tPvRmT2_T3_mT4_P12ihipStream_tbEUlT_E_NS1_11comp_targetILNS1_3genE10ELNS1_11target_archE1201ELNS1_3gpuE5ELNS1_3repE0EEENS1_30default_config_static_selectorELNS0_4arch9wavefront6targetE1EEEvT1_
; %bb.0:
	.section	.rodata,"a",@progbits
	.p2align	6, 0x0
	.amdhsa_kernel _ZN7rocprim17ROCPRIM_400000_NS6detail17trampoline_kernelINS0_14default_configENS1_35adjacent_difference_config_selectorILb0EiEEZNS1_24adjacent_difference_implIS3_Lb0ELb0EPiS7_N6thrust23THRUST_200600_302600_NS5minusIiEEEE10hipError_tPvRmT2_T3_mT4_P12ihipStream_tbEUlT_E_NS1_11comp_targetILNS1_3genE10ELNS1_11target_archE1201ELNS1_3gpuE5ELNS1_3repE0EEENS1_30default_config_static_selectorELNS0_4arch9wavefront6targetE1EEEvT1_
		.amdhsa_group_segment_fixed_size 0
		.amdhsa_private_segment_fixed_size 0
		.amdhsa_kernarg_size 56
		.amdhsa_user_sgpr_count 6
		.amdhsa_user_sgpr_private_segment_buffer 1
		.amdhsa_user_sgpr_dispatch_ptr 0
		.amdhsa_user_sgpr_queue_ptr 0
		.amdhsa_user_sgpr_kernarg_segment_ptr 1
		.amdhsa_user_sgpr_dispatch_id 0
		.amdhsa_user_sgpr_flat_scratch_init 0
		.amdhsa_user_sgpr_kernarg_preload_length 0
		.amdhsa_user_sgpr_kernarg_preload_offset 0
		.amdhsa_user_sgpr_private_segment_size 0
		.amdhsa_uses_dynamic_stack 0
		.amdhsa_system_sgpr_private_segment_wavefront_offset 0
		.amdhsa_system_sgpr_workgroup_id_x 1
		.amdhsa_system_sgpr_workgroup_id_y 0
		.amdhsa_system_sgpr_workgroup_id_z 0
		.amdhsa_system_sgpr_workgroup_info 0
		.amdhsa_system_vgpr_workitem_id 0
		.amdhsa_next_free_vgpr 1
		.amdhsa_next_free_sgpr 0
		.amdhsa_accum_offset 4
		.amdhsa_reserve_vcc 0
		.amdhsa_reserve_flat_scratch 0
		.amdhsa_float_round_mode_32 0
		.amdhsa_float_round_mode_16_64 0
		.amdhsa_float_denorm_mode_32 3
		.amdhsa_float_denorm_mode_16_64 3
		.amdhsa_dx10_clamp 1
		.amdhsa_ieee_mode 1
		.amdhsa_fp16_overflow 0
		.amdhsa_tg_split 0
		.amdhsa_exception_fp_ieee_invalid_op 0
		.amdhsa_exception_fp_denorm_src 0
		.amdhsa_exception_fp_ieee_div_zero 0
		.amdhsa_exception_fp_ieee_overflow 0
		.amdhsa_exception_fp_ieee_underflow 0
		.amdhsa_exception_fp_ieee_inexact 0
		.amdhsa_exception_int_div_zero 0
	.end_amdhsa_kernel
	.section	.text._ZN7rocprim17ROCPRIM_400000_NS6detail17trampoline_kernelINS0_14default_configENS1_35adjacent_difference_config_selectorILb0EiEEZNS1_24adjacent_difference_implIS3_Lb0ELb0EPiS7_N6thrust23THRUST_200600_302600_NS5minusIiEEEE10hipError_tPvRmT2_T3_mT4_P12ihipStream_tbEUlT_E_NS1_11comp_targetILNS1_3genE10ELNS1_11target_archE1201ELNS1_3gpuE5ELNS1_3repE0EEENS1_30default_config_static_selectorELNS0_4arch9wavefront6targetE1EEEvT1_,"axG",@progbits,_ZN7rocprim17ROCPRIM_400000_NS6detail17trampoline_kernelINS0_14default_configENS1_35adjacent_difference_config_selectorILb0EiEEZNS1_24adjacent_difference_implIS3_Lb0ELb0EPiS7_N6thrust23THRUST_200600_302600_NS5minusIiEEEE10hipError_tPvRmT2_T3_mT4_P12ihipStream_tbEUlT_E_NS1_11comp_targetILNS1_3genE10ELNS1_11target_archE1201ELNS1_3gpuE5ELNS1_3repE0EEENS1_30default_config_static_selectorELNS0_4arch9wavefront6targetE1EEEvT1_,comdat
.Lfunc_end103:
	.size	_ZN7rocprim17ROCPRIM_400000_NS6detail17trampoline_kernelINS0_14default_configENS1_35adjacent_difference_config_selectorILb0EiEEZNS1_24adjacent_difference_implIS3_Lb0ELb0EPiS7_N6thrust23THRUST_200600_302600_NS5minusIiEEEE10hipError_tPvRmT2_T3_mT4_P12ihipStream_tbEUlT_E_NS1_11comp_targetILNS1_3genE10ELNS1_11target_archE1201ELNS1_3gpuE5ELNS1_3repE0EEENS1_30default_config_static_selectorELNS0_4arch9wavefront6targetE1EEEvT1_, .Lfunc_end103-_ZN7rocprim17ROCPRIM_400000_NS6detail17trampoline_kernelINS0_14default_configENS1_35adjacent_difference_config_selectorILb0EiEEZNS1_24adjacent_difference_implIS3_Lb0ELb0EPiS7_N6thrust23THRUST_200600_302600_NS5minusIiEEEE10hipError_tPvRmT2_T3_mT4_P12ihipStream_tbEUlT_E_NS1_11comp_targetILNS1_3genE10ELNS1_11target_archE1201ELNS1_3gpuE5ELNS1_3repE0EEENS1_30default_config_static_selectorELNS0_4arch9wavefront6targetE1EEEvT1_
                                        ; -- End function
	.section	.AMDGPU.csdata,"",@progbits
; Kernel info:
; codeLenInByte = 0
; NumSgprs: 4
; NumVgprs: 0
; NumAgprs: 0
; TotalNumVgprs: 0
; ScratchSize: 0
; MemoryBound: 0
; FloatMode: 240
; IeeeMode: 1
; LDSByteSize: 0 bytes/workgroup (compile time only)
; SGPRBlocks: 0
; VGPRBlocks: 0
; NumSGPRsForWavesPerEU: 4
; NumVGPRsForWavesPerEU: 1
; AccumOffset: 4
; Occupancy: 8
; WaveLimiterHint : 0
; COMPUTE_PGM_RSRC2:SCRATCH_EN: 0
; COMPUTE_PGM_RSRC2:USER_SGPR: 6
; COMPUTE_PGM_RSRC2:TRAP_HANDLER: 0
; COMPUTE_PGM_RSRC2:TGID_X_EN: 1
; COMPUTE_PGM_RSRC2:TGID_Y_EN: 0
; COMPUTE_PGM_RSRC2:TGID_Z_EN: 0
; COMPUTE_PGM_RSRC2:TIDIG_COMP_CNT: 0
; COMPUTE_PGM_RSRC3_GFX90A:ACCUM_OFFSET: 0
; COMPUTE_PGM_RSRC3_GFX90A:TG_SPLIT: 0
	.section	.text._ZN7rocprim17ROCPRIM_400000_NS6detail17trampoline_kernelINS0_14default_configENS1_35adjacent_difference_config_selectorILb0EiEEZNS1_24adjacent_difference_implIS3_Lb0ELb0EPiS7_N6thrust23THRUST_200600_302600_NS5minusIiEEEE10hipError_tPvRmT2_T3_mT4_P12ihipStream_tbEUlT_E_NS1_11comp_targetILNS1_3genE5ELNS1_11target_archE942ELNS1_3gpuE9ELNS1_3repE0EEENS1_30default_config_static_selectorELNS0_4arch9wavefront6targetE1EEEvT1_,"axG",@progbits,_ZN7rocprim17ROCPRIM_400000_NS6detail17trampoline_kernelINS0_14default_configENS1_35adjacent_difference_config_selectorILb0EiEEZNS1_24adjacent_difference_implIS3_Lb0ELb0EPiS7_N6thrust23THRUST_200600_302600_NS5minusIiEEEE10hipError_tPvRmT2_T3_mT4_P12ihipStream_tbEUlT_E_NS1_11comp_targetILNS1_3genE5ELNS1_11target_archE942ELNS1_3gpuE9ELNS1_3repE0EEENS1_30default_config_static_selectorELNS0_4arch9wavefront6targetE1EEEvT1_,comdat
	.protected	_ZN7rocprim17ROCPRIM_400000_NS6detail17trampoline_kernelINS0_14default_configENS1_35adjacent_difference_config_selectorILb0EiEEZNS1_24adjacent_difference_implIS3_Lb0ELb0EPiS7_N6thrust23THRUST_200600_302600_NS5minusIiEEEE10hipError_tPvRmT2_T3_mT4_P12ihipStream_tbEUlT_E_NS1_11comp_targetILNS1_3genE5ELNS1_11target_archE942ELNS1_3gpuE9ELNS1_3repE0EEENS1_30default_config_static_selectorELNS0_4arch9wavefront6targetE1EEEvT1_ ; -- Begin function _ZN7rocprim17ROCPRIM_400000_NS6detail17trampoline_kernelINS0_14default_configENS1_35adjacent_difference_config_selectorILb0EiEEZNS1_24adjacent_difference_implIS3_Lb0ELb0EPiS7_N6thrust23THRUST_200600_302600_NS5minusIiEEEE10hipError_tPvRmT2_T3_mT4_P12ihipStream_tbEUlT_E_NS1_11comp_targetILNS1_3genE5ELNS1_11target_archE942ELNS1_3gpuE9ELNS1_3repE0EEENS1_30default_config_static_selectorELNS0_4arch9wavefront6targetE1EEEvT1_
	.globl	_ZN7rocprim17ROCPRIM_400000_NS6detail17trampoline_kernelINS0_14default_configENS1_35adjacent_difference_config_selectorILb0EiEEZNS1_24adjacent_difference_implIS3_Lb0ELb0EPiS7_N6thrust23THRUST_200600_302600_NS5minusIiEEEE10hipError_tPvRmT2_T3_mT4_P12ihipStream_tbEUlT_E_NS1_11comp_targetILNS1_3genE5ELNS1_11target_archE942ELNS1_3gpuE9ELNS1_3repE0EEENS1_30default_config_static_selectorELNS0_4arch9wavefront6targetE1EEEvT1_
	.p2align	8
	.type	_ZN7rocprim17ROCPRIM_400000_NS6detail17trampoline_kernelINS0_14default_configENS1_35adjacent_difference_config_selectorILb0EiEEZNS1_24adjacent_difference_implIS3_Lb0ELb0EPiS7_N6thrust23THRUST_200600_302600_NS5minusIiEEEE10hipError_tPvRmT2_T3_mT4_P12ihipStream_tbEUlT_E_NS1_11comp_targetILNS1_3genE5ELNS1_11target_archE942ELNS1_3gpuE9ELNS1_3repE0EEENS1_30default_config_static_selectorELNS0_4arch9wavefront6targetE1EEEvT1_,@function
_ZN7rocprim17ROCPRIM_400000_NS6detail17trampoline_kernelINS0_14default_configENS1_35adjacent_difference_config_selectorILb0EiEEZNS1_24adjacent_difference_implIS3_Lb0ELb0EPiS7_N6thrust23THRUST_200600_302600_NS5minusIiEEEE10hipError_tPvRmT2_T3_mT4_P12ihipStream_tbEUlT_E_NS1_11comp_targetILNS1_3genE5ELNS1_11target_archE942ELNS1_3gpuE9ELNS1_3repE0EEENS1_30default_config_static_selectorELNS0_4arch9wavefront6targetE1EEEvT1_: ; @_ZN7rocprim17ROCPRIM_400000_NS6detail17trampoline_kernelINS0_14default_configENS1_35adjacent_difference_config_selectorILb0EiEEZNS1_24adjacent_difference_implIS3_Lb0ELb0EPiS7_N6thrust23THRUST_200600_302600_NS5minusIiEEEE10hipError_tPvRmT2_T3_mT4_P12ihipStream_tbEUlT_E_NS1_11comp_targetILNS1_3genE5ELNS1_11target_archE942ELNS1_3gpuE9ELNS1_3repE0EEENS1_30default_config_static_selectorELNS0_4arch9wavefront6targetE1EEEvT1_
; %bb.0:
	.section	.rodata,"a",@progbits
	.p2align	6, 0x0
	.amdhsa_kernel _ZN7rocprim17ROCPRIM_400000_NS6detail17trampoline_kernelINS0_14default_configENS1_35adjacent_difference_config_selectorILb0EiEEZNS1_24adjacent_difference_implIS3_Lb0ELb0EPiS7_N6thrust23THRUST_200600_302600_NS5minusIiEEEE10hipError_tPvRmT2_T3_mT4_P12ihipStream_tbEUlT_E_NS1_11comp_targetILNS1_3genE5ELNS1_11target_archE942ELNS1_3gpuE9ELNS1_3repE0EEENS1_30default_config_static_selectorELNS0_4arch9wavefront6targetE1EEEvT1_
		.amdhsa_group_segment_fixed_size 0
		.amdhsa_private_segment_fixed_size 0
		.amdhsa_kernarg_size 56
		.amdhsa_user_sgpr_count 6
		.amdhsa_user_sgpr_private_segment_buffer 1
		.amdhsa_user_sgpr_dispatch_ptr 0
		.amdhsa_user_sgpr_queue_ptr 0
		.amdhsa_user_sgpr_kernarg_segment_ptr 1
		.amdhsa_user_sgpr_dispatch_id 0
		.amdhsa_user_sgpr_flat_scratch_init 0
		.amdhsa_user_sgpr_kernarg_preload_length 0
		.amdhsa_user_sgpr_kernarg_preload_offset 0
		.amdhsa_user_sgpr_private_segment_size 0
		.amdhsa_uses_dynamic_stack 0
		.amdhsa_system_sgpr_private_segment_wavefront_offset 0
		.amdhsa_system_sgpr_workgroup_id_x 1
		.amdhsa_system_sgpr_workgroup_id_y 0
		.amdhsa_system_sgpr_workgroup_id_z 0
		.amdhsa_system_sgpr_workgroup_info 0
		.amdhsa_system_vgpr_workitem_id 0
		.amdhsa_next_free_vgpr 1
		.amdhsa_next_free_sgpr 0
		.amdhsa_accum_offset 4
		.amdhsa_reserve_vcc 0
		.amdhsa_reserve_flat_scratch 0
		.amdhsa_float_round_mode_32 0
		.amdhsa_float_round_mode_16_64 0
		.amdhsa_float_denorm_mode_32 3
		.amdhsa_float_denorm_mode_16_64 3
		.amdhsa_dx10_clamp 1
		.amdhsa_ieee_mode 1
		.amdhsa_fp16_overflow 0
		.amdhsa_tg_split 0
		.amdhsa_exception_fp_ieee_invalid_op 0
		.amdhsa_exception_fp_denorm_src 0
		.amdhsa_exception_fp_ieee_div_zero 0
		.amdhsa_exception_fp_ieee_overflow 0
		.amdhsa_exception_fp_ieee_underflow 0
		.amdhsa_exception_fp_ieee_inexact 0
		.amdhsa_exception_int_div_zero 0
	.end_amdhsa_kernel
	.section	.text._ZN7rocprim17ROCPRIM_400000_NS6detail17trampoline_kernelINS0_14default_configENS1_35adjacent_difference_config_selectorILb0EiEEZNS1_24adjacent_difference_implIS3_Lb0ELb0EPiS7_N6thrust23THRUST_200600_302600_NS5minusIiEEEE10hipError_tPvRmT2_T3_mT4_P12ihipStream_tbEUlT_E_NS1_11comp_targetILNS1_3genE5ELNS1_11target_archE942ELNS1_3gpuE9ELNS1_3repE0EEENS1_30default_config_static_selectorELNS0_4arch9wavefront6targetE1EEEvT1_,"axG",@progbits,_ZN7rocprim17ROCPRIM_400000_NS6detail17trampoline_kernelINS0_14default_configENS1_35adjacent_difference_config_selectorILb0EiEEZNS1_24adjacent_difference_implIS3_Lb0ELb0EPiS7_N6thrust23THRUST_200600_302600_NS5minusIiEEEE10hipError_tPvRmT2_T3_mT4_P12ihipStream_tbEUlT_E_NS1_11comp_targetILNS1_3genE5ELNS1_11target_archE942ELNS1_3gpuE9ELNS1_3repE0EEENS1_30default_config_static_selectorELNS0_4arch9wavefront6targetE1EEEvT1_,comdat
.Lfunc_end104:
	.size	_ZN7rocprim17ROCPRIM_400000_NS6detail17trampoline_kernelINS0_14default_configENS1_35adjacent_difference_config_selectorILb0EiEEZNS1_24adjacent_difference_implIS3_Lb0ELb0EPiS7_N6thrust23THRUST_200600_302600_NS5minusIiEEEE10hipError_tPvRmT2_T3_mT4_P12ihipStream_tbEUlT_E_NS1_11comp_targetILNS1_3genE5ELNS1_11target_archE942ELNS1_3gpuE9ELNS1_3repE0EEENS1_30default_config_static_selectorELNS0_4arch9wavefront6targetE1EEEvT1_, .Lfunc_end104-_ZN7rocprim17ROCPRIM_400000_NS6detail17trampoline_kernelINS0_14default_configENS1_35adjacent_difference_config_selectorILb0EiEEZNS1_24adjacent_difference_implIS3_Lb0ELb0EPiS7_N6thrust23THRUST_200600_302600_NS5minusIiEEEE10hipError_tPvRmT2_T3_mT4_P12ihipStream_tbEUlT_E_NS1_11comp_targetILNS1_3genE5ELNS1_11target_archE942ELNS1_3gpuE9ELNS1_3repE0EEENS1_30default_config_static_selectorELNS0_4arch9wavefront6targetE1EEEvT1_
                                        ; -- End function
	.section	.AMDGPU.csdata,"",@progbits
; Kernel info:
; codeLenInByte = 0
; NumSgprs: 4
; NumVgprs: 0
; NumAgprs: 0
; TotalNumVgprs: 0
; ScratchSize: 0
; MemoryBound: 0
; FloatMode: 240
; IeeeMode: 1
; LDSByteSize: 0 bytes/workgroup (compile time only)
; SGPRBlocks: 0
; VGPRBlocks: 0
; NumSGPRsForWavesPerEU: 4
; NumVGPRsForWavesPerEU: 1
; AccumOffset: 4
; Occupancy: 8
; WaveLimiterHint : 0
; COMPUTE_PGM_RSRC2:SCRATCH_EN: 0
; COMPUTE_PGM_RSRC2:USER_SGPR: 6
; COMPUTE_PGM_RSRC2:TRAP_HANDLER: 0
; COMPUTE_PGM_RSRC2:TGID_X_EN: 1
; COMPUTE_PGM_RSRC2:TGID_Y_EN: 0
; COMPUTE_PGM_RSRC2:TGID_Z_EN: 0
; COMPUTE_PGM_RSRC2:TIDIG_COMP_CNT: 0
; COMPUTE_PGM_RSRC3_GFX90A:ACCUM_OFFSET: 0
; COMPUTE_PGM_RSRC3_GFX90A:TG_SPLIT: 0
	.section	.text._ZN7rocprim17ROCPRIM_400000_NS6detail17trampoline_kernelINS0_14default_configENS1_35adjacent_difference_config_selectorILb0EiEEZNS1_24adjacent_difference_implIS3_Lb0ELb0EPiS7_N6thrust23THRUST_200600_302600_NS5minusIiEEEE10hipError_tPvRmT2_T3_mT4_P12ihipStream_tbEUlT_E_NS1_11comp_targetILNS1_3genE4ELNS1_11target_archE910ELNS1_3gpuE8ELNS1_3repE0EEENS1_30default_config_static_selectorELNS0_4arch9wavefront6targetE1EEEvT1_,"axG",@progbits,_ZN7rocprim17ROCPRIM_400000_NS6detail17trampoline_kernelINS0_14default_configENS1_35adjacent_difference_config_selectorILb0EiEEZNS1_24adjacent_difference_implIS3_Lb0ELb0EPiS7_N6thrust23THRUST_200600_302600_NS5minusIiEEEE10hipError_tPvRmT2_T3_mT4_P12ihipStream_tbEUlT_E_NS1_11comp_targetILNS1_3genE4ELNS1_11target_archE910ELNS1_3gpuE8ELNS1_3repE0EEENS1_30default_config_static_selectorELNS0_4arch9wavefront6targetE1EEEvT1_,comdat
	.protected	_ZN7rocprim17ROCPRIM_400000_NS6detail17trampoline_kernelINS0_14default_configENS1_35adjacent_difference_config_selectorILb0EiEEZNS1_24adjacent_difference_implIS3_Lb0ELb0EPiS7_N6thrust23THRUST_200600_302600_NS5minusIiEEEE10hipError_tPvRmT2_T3_mT4_P12ihipStream_tbEUlT_E_NS1_11comp_targetILNS1_3genE4ELNS1_11target_archE910ELNS1_3gpuE8ELNS1_3repE0EEENS1_30default_config_static_selectorELNS0_4arch9wavefront6targetE1EEEvT1_ ; -- Begin function _ZN7rocprim17ROCPRIM_400000_NS6detail17trampoline_kernelINS0_14default_configENS1_35adjacent_difference_config_selectorILb0EiEEZNS1_24adjacent_difference_implIS3_Lb0ELb0EPiS7_N6thrust23THRUST_200600_302600_NS5minusIiEEEE10hipError_tPvRmT2_T3_mT4_P12ihipStream_tbEUlT_E_NS1_11comp_targetILNS1_3genE4ELNS1_11target_archE910ELNS1_3gpuE8ELNS1_3repE0EEENS1_30default_config_static_selectorELNS0_4arch9wavefront6targetE1EEEvT1_
	.globl	_ZN7rocprim17ROCPRIM_400000_NS6detail17trampoline_kernelINS0_14default_configENS1_35adjacent_difference_config_selectorILb0EiEEZNS1_24adjacent_difference_implIS3_Lb0ELb0EPiS7_N6thrust23THRUST_200600_302600_NS5minusIiEEEE10hipError_tPvRmT2_T3_mT4_P12ihipStream_tbEUlT_E_NS1_11comp_targetILNS1_3genE4ELNS1_11target_archE910ELNS1_3gpuE8ELNS1_3repE0EEENS1_30default_config_static_selectorELNS0_4arch9wavefront6targetE1EEEvT1_
	.p2align	8
	.type	_ZN7rocprim17ROCPRIM_400000_NS6detail17trampoline_kernelINS0_14default_configENS1_35adjacent_difference_config_selectorILb0EiEEZNS1_24adjacent_difference_implIS3_Lb0ELb0EPiS7_N6thrust23THRUST_200600_302600_NS5minusIiEEEE10hipError_tPvRmT2_T3_mT4_P12ihipStream_tbEUlT_E_NS1_11comp_targetILNS1_3genE4ELNS1_11target_archE910ELNS1_3gpuE8ELNS1_3repE0EEENS1_30default_config_static_selectorELNS0_4arch9wavefront6targetE1EEEvT1_,@function
_ZN7rocprim17ROCPRIM_400000_NS6detail17trampoline_kernelINS0_14default_configENS1_35adjacent_difference_config_selectorILb0EiEEZNS1_24adjacent_difference_implIS3_Lb0ELb0EPiS7_N6thrust23THRUST_200600_302600_NS5minusIiEEEE10hipError_tPvRmT2_T3_mT4_P12ihipStream_tbEUlT_E_NS1_11comp_targetILNS1_3genE4ELNS1_11target_archE910ELNS1_3gpuE8ELNS1_3repE0EEENS1_30default_config_static_selectorELNS0_4arch9wavefront6targetE1EEEvT1_: ; @_ZN7rocprim17ROCPRIM_400000_NS6detail17trampoline_kernelINS0_14default_configENS1_35adjacent_difference_config_selectorILb0EiEEZNS1_24adjacent_difference_implIS3_Lb0ELb0EPiS7_N6thrust23THRUST_200600_302600_NS5minusIiEEEE10hipError_tPvRmT2_T3_mT4_P12ihipStream_tbEUlT_E_NS1_11comp_targetILNS1_3genE4ELNS1_11target_archE910ELNS1_3gpuE8ELNS1_3repE0EEENS1_30default_config_static_selectorELNS0_4arch9wavefront6targetE1EEEvT1_
; %bb.0:
	s_load_dwordx8 s[8:15], s[4:5], 0x0
	s_mov_b32 s2, 0x59999780
	s_movk_i32 s7, 0xa00
	s_load_dwordx2 s[0:1], s[4:5], 0x30
	s_mul_i32 s4, s6, 0xa00
	s_waitcnt lgkmcnt(0)
	s_lshl_b64 s[10:11], s[10:11], 2
	s_add_u32 s20, s8, s10
	s_addc_u32 s21, s9, s11
	s_add_u32 s2, 0xe0, s2
	s_addc_u32 s8, 0, 0
	v_add_co_u32_e64 v1, s[2:3], s2, 2.0
	s_cmp_lg_u64 s[2:3], 0
	s_addc_u32 s2, s8, 0x199999
	v_readfirstlane_b32 s8, v1
	s_mul_hi_u32 s9, s8, 0xfffff600
	s_mul_i32 s3, s2, 0xfffff600
	s_sub_i32 s9, s9, s8
	s_add_i32 s9, s9, s3
	s_mul_i32 s17, s8, 0xfffff600
	s_mul_hi_u32 s3, s8, s9
	s_mul_i32 s16, s8, s9
	s_mul_hi_u32 s8, s8, s17
	s_add_u32 s8, s8, s16
	s_addc_u32 s3, 0, s3
	s_mul_hi_u32 s18, s2, s17
	s_mul_i32 s17, s2, s17
	s_add_u32 s8, s8, s17
	s_mul_hi_u32 s16, s2, s9
	s_addc_u32 s3, s3, s18
	s_addc_u32 s8, s16, 0
	s_mul_i32 s9, s2, s9
	s_add_u32 s3, s3, s9
	s_addc_u32 s8, 0, s8
	v_add_co_u32_e32 v1, vcc, s3, v1
	s_cmp_lg_u64 vcc, 0
	s_addc_u32 s2, s2, s8
	v_readfirstlane_b32 s9, v1
	s_mul_i32 s8, s14, s2
	s_mul_hi_u32 s16, s14, s9
	s_mul_hi_u32 s3, s14, s2
	s_add_u32 s8, s16, s8
	s_addc_u32 s3, 0, s3
	s_mul_hi_u32 s17, s15, s9
	s_mul_i32 s9, s15, s9
	s_add_u32 s8, s8, s9
	s_mul_hi_u32 s16, s15, s2
	s_addc_u32 s3, s3, s17
	s_addc_u32 s8, s16, 0
	s_mul_i32 s2, s15, s2
	s_add_u32 s2, s3, s2
	s_addc_u32 s3, 0, s8
	s_add_u32 s8, s2, 1
	s_addc_u32 s9, s3, 0
	s_add_u32 s16, s2, 2
	s_mul_i32 s18, s3, 0xa00
	s_mul_hi_u32 s19, s2, 0xa00
	s_addc_u32 s17, s3, 0
	s_add_i32 s19, s19, s18
	s_mul_i32 s18, s2, 0xa00
	v_mov_b32_e32 v1, s18
	v_sub_co_u32_e32 v1, vcc, s14, v1
	s_cmp_lg_u64 vcc, 0
	s_subb_u32 s18, s15, s19
	v_subrev_co_u32_e32 v2, vcc, s7, v1
	s_cmp_lg_u64 vcc, 0
	s_subb_u32 s7, s18, 0
	v_readfirstlane_b32 s19, v2
	s_cmpk_gt_u32 s19, 0x9ff
	s_cselect_b32 s19, -1, 0
	s_cmp_eq_u32 s7, 0
	s_cselect_b32 s7, s19, -1
	s_cmp_lg_u32 s7, 0
	s_cselect_b32 s7, s16, s8
	s_cselect_b32 s8, s17, s9
	v_readfirstlane_b32 s9, v1
	s_cmpk_gt_u32 s9, 0x9ff
	s_cselect_b32 s9, -1, 0
	s_cmp_eq_u32 s18, 0
	s_cselect_b32 s9, s9, -1
	s_cmp_lg_u32 s9, 0
	s_cselect_b32 s8, s8, s3
	s_cselect_b32 s7, s7, s2
	s_mul_i32 s2, s8, 0xa00
	s_mul_hi_u32 s3, s7, 0xa00
	s_add_i32 s3, s3, s2
	s_mul_i32 s2, s7, 0xa00
	s_sub_u32 s2, s14, s2
	s_subb_u32 s3, s15, s3
	s_cmp_lg_u64 s[2:3], 0
	s_cselect_b64 s[2:3], -1, 0
	v_cndmask_b32_e64 v1, 0, 1, s[2:3]
	v_readfirstlane_b32 s2, v1
	s_add_u32 s2, s7, s2
	s_addc_u32 s3, s8, 0
	s_add_u32 s6, s0, s6
	s_addc_u32 s7, s1, 0
	s_add_u32 s8, s2, -1
	s_addc_u32 s9, s3, -1
	v_pk_mov_b32 v[2:3], s[8:9], s[8:9] op_sel:[0,1]
	v_cmp_ge_u64_e64 s[0:1], s[6:7], v[2:3]
	s_mov_b32 s5, 0
	s_mov_b64 s[16:17], -1
	s_and_b64 vcc, exec, s[0:1]
	s_mul_i32 s15, s8, 0xfffff600
	s_cbranch_vccz .LBB105_12
; %bb.1:
	s_add_i32 s22, s15, s14
	s_lshl_b64 s[16:17], s[4:5], 2
	s_add_u32 s16, s20, s16
	s_addc_u32 s17, s21, s17
	v_cmp_gt_u32_e32 vcc, s22, v0
                                        ; implicit-def: $vgpr2_vgpr3_vgpr4_vgpr5_vgpr6
	s_and_saveexec_b64 s[18:19], vcc
	s_cbranch_execz .LBB105_3
; %bb.2:
	v_lshlrev_b32_e32 v1, 2, v0
	global_load_dword v2, v1, s[16:17]
.LBB105_3:
	s_or_b64 exec, exec, s[18:19]
	v_or_b32_e32 v1, 0x200, v0
	v_cmp_gt_u32_e32 vcc, s22, v1
	s_and_saveexec_b64 s[18:19], vcc
	s_cbranch_execz .LBB105_5
; %bb.4:
	v_lshlrev_b32_e32 v1, 2, v0
	global_load_dword v3, v1, s[16:17] offset:2048
.LBB105_5:
	s_or_b64 exec, exec, s[18:19]
	v_or_b32_e32 v1, 0x400, v0
	v_cmp_gt_u32_e32 vcc, s22, v1
	s_and_saveexec_b64 s[18:19], vcc
	s_cbranch_execz .LBB105_7
; %bb.6:
	v_lshlrev_b32_e32 v1, 2, v1
	global_load_dword v4, v1, s[16:17]
.LBB105_7:
	s_or_b64 exec, exec, s[18:19]
	v_or_b32_e32 v1, 0x600, v0
	v_cmp_gt_u32_e32 vcc, s22, v1
	s_and_saveexec_b64 s[18:19], vcc
	s_cbranch_execz .LBB105_9
; %bb.8:
	v_lshlrev_b32_e32 v1, 2, v1
	global_load_dword v5, v1, s[16:17]
.LBB105_9:
	;; [unrolled: 9-line block ×3, first 2 shown]
	s_or_b64 exec, exec, s[18:19]
	v_lshlrev_b32_e32 v1, 2, v0
	s_mov_b64 s[16:17], 0
	s_waitcnt vmcnt(0)
	ds_write2st64_b32 v1, v2, v3 offset1:8
	ds_write2st64_b32 v1, v4, v5 offset0:16 offset1:24
	ds_write_b32 v1, v6 offset:8192
	s_waitcnt lgkmcnt(0)
	s_barrier
.LBB105_12:
	s_and_b64 vcc, exec, s[16:17]
	v_lshlrev_b32_e32 v1, 2, v0
	s_cbranch_vccz .LBB105_14
; %bb.13:
	s_lshl_b64 s[16:17], s[4:5], 2
	s_add_u32 s16, s20, s16
	s_addc_u32 s17, s21, s17
	v_mov_b32_e32 v2, s17
	v_add_co_u32_e32 v4, vcc, s16, v1
	v_addc_co_u32_e32 v5, vcc, 0, v2, vcc
	v_add_co_u32_e32 v2, vcc, 0x1000, v4
	v_addc_co_u32_e32 v3, vcc, 0, v5, vcc
	global_load_dword v6, v1, s[16:17]
	global_load_dword v7, v1, s[16:17] offset:2048
	global_load_dword v8, v[2:3], off
	global_load_dword v9, v[2:3], off offset:2048
	v_add_co_u32_e32 v2, vcc, 0x2000, v4
	v_addc_co_u32_e32 v3, vcc, 0, v5, vcc
	global_load_dword v2, v[2:3], off
	s_waitcnt vmcnt(3)
	ds_write2st64_b32 v1, v6, v7 offset1:8
	s_waitcnt vmcnt(1)
	ds_write2st64_b32 v1, v8, v9 offset0:16 offset1:24
	s_waitcnt vmcnt(0)
	ds_write_b32 v1, v2 offset:8192
	s_waitcnt lgkmcnt(0)
	s_barrier
.LBB105_14:
	v_mul_u32_u24_e32 v2, 5, v0
	v_lshlrev_b32_e32 v3, 2, v2
	ds_read_b32 v2, v3
	ds_read2_b32 v[20:21], v3 offset0:1 offset1:2
	ds_read2_b32 v[22:23], v3 offset0:3 offset1:4
	s_cmp_eq_u64 s[6:7], 0
	s_waitcnt lgkmcnt(0)
	s_barrier
	s_cbranch_scc1 .LBB105_19
; %bb.15:
	s_lshl_b64 s[16:17], s[4:5], 2
	s_add_u32 s5, s20, s16
	s_addc_u32 s17, s21, s17
	s_add_u32 s16, s5, -4
	s_addc_u32 s17, s17, -1
	s_load_dword s5, s[16:17], 0x0
	s_cmp_eq_u64 s[6:7], s[8:9]
	s_cbranch_scc1 .LBB105_20
; %bb.16:
	v_cmp_ne_u32_e32 vcc, 0, v0
	s_waitcnt lgkmcnt(0)
	v_mov_b32_e32 v3, s5
	ds_write_b32 v1, v23
	s_waitcnt lgkmcnt(0)
	s_barrier
	s_and_saveexec_b64 s[8:9], vcc
	s_cbranch_execz .LBB105_18
; %bb.17:
	v_add_u32_e32 v3, -4, v1
	ds_read_b32 v3, v3
.LBB105_18:
	s_or_b64 exec, exec, s[8:9]
	v_sub_u32_e32 v8, v23, v22
	v_sub_u32_e32 v9, v22, v21
	;; [unrolled: 1-line block ×4, first 2 shown]
	s_cbranch_execz .LBB105_21
	s_branch .LBB105_24
.LBB105_19:
                                        ; implicit-def: $vgpr14_vgpr15_vgpr16_vgpr17_vgpr18
                                        ; implicit-def: $vgpr10_vgpr11_vgpr12_vgpr13_vgpr14
	s_mov_b64 s[6:7], 0
                                        ; implicit-def: $vgpr6_vgpr7_vgpr8_vgpr9_vgpr10
                                        ; implicit-def: $vgpr3
                                        ; implicit-def: $vgpr4_vgpr5_vgpr6_vgpr7_vgpr8
	s_branch .LBB105_25
.LBB105_20:
                                        ; implicit-def: $vgpr14_vgpr15_vgpr16_vgpr17_vgpr18
                                        ; implicit-def: $vgpr10_vgpr11_vgpr12_vgpr13_vgpr14
                                        ; implicit-def: $vgpr3
                                        ; implicit-def: $vgpr6_vgpr7_vgpr8_vgpr9_vgpr10
                                        ; implicit-def: $vgpr4_vgpr5_vgpr6_vgpr7_vgpr8
.LBB105_21:
	s_waitcnt lgkmcnt(0)
	v_mul_u32_u24_e32 v3, 5, v0
	v_cmp_ne_u32_e32 vcc, 0, v0
	v_mov_b32_e32 v4, s5
	ds_write_b32 v1, v23
	s_waitcnt lgkmcnt(0)
	s_barrier
	s_and_saveexec_b64 s[8:9], vcc
	s_cbranch_execz .LBB105_23
; %bb.22:
	v_add_u32_e32 v4, -4, v1
	ds_read_b32 v4, v4
.LBB105_23:
	s_or_b64 exec, exec, s[8:9]
	s_mul_i32 s5, s6, 0xfffff600
	s_add_i32 s5, s5, s14
	v_add_u32_e32 v5, 4, v3
	v_sub_u32_e32 v6, v23, v22
	v_cmp_gt_u32_e32 vcc, s5, v5
	v_add_u32_e32 v5, 3, v3
	v_cndmask_b32_e32 v8, v23, v6, vcc
	v_sub_u32_e32 v6, v22, v21
	v_cmp_gt_u32_e32 vcc, s5, v5
	v_add_u32_e32 v5, 2, v3
	v_cndmask_b32_e32 v9, v22, v6, vcc
	;; [unrolled: 4-line block ×3, first 2 shown]
	v_sub_u32_e32 v6, v20, v2
	v_cmp_gt_u32_e32 vcc, s5, v5
	v_cndmask_b32_e32 v15, v20, v6, vcc
	v_cmp_gt_u32_e32 vcc, s5, v3
	s_waitcnt lgkmcnt(0)
	v_cndmask_b32_e32 v3, 0, v4, vcc
.LBB105_24:
	s_mov_b64 s[6:7], -1
	s_cbranch_execnz .LBB105_33
.LBB105_25:
	s_cmp_lg_u64 s[2:3], 1
	v_sub_u32_e32 v9, v22, v21
	v_sub_u32_e32 v8, v23, v22
	;; [unrolled: 1-line block ×4, first 2 shown]
	v_cmp_ne_u32_e32 vcc, 0, v0
	s_cbranch_scc0 .LBB105_29
; %bb.26:
	ds_write_b32 v1, v23
	s_waitcnt lgkmcnt(0)
	s_barrier
	s_waitcnt lgkmcnt(0)
                                        ; implicit-def: $vgpr3
	s_and_saveexec_b64 s[2:3], vcc
	s_cbranch_execz .LBB105_28
; %bb.27:
	v_add_u32_e32 v3, -4, v1
	ds_read_b32 v3, v3
	s_or_b64 s[6:7], s[6:7], exec
.LBB105_28:
	s_or_b64 exec, exec, s[2:3]
	s_branch .LBB105_33
.LBB105_29:
                                        ; implicit-def: $vgpr3
	s_cbranch_execz .LBB105_33
; %bb.30:
	v_mad_u32_u24 v4, v0, 5, 4
	v_cmp_gt_u32_e32 vcc, s14, v4
	v_mad_u32_u24 v4, v0, 5, 3
	v_cndmask_b32_e32 v8, v23, v8, vcc
	v_cmp_gt_u32_e32 vcc, s14, v4
	v_mad_u32_u24 v4, v0, 5, 2
	v_cndmask_b32_e32 v9, v22, v9, vcc
	v_cmp_gt_u32_e32 vcc, s14, v4
	v_mad_u32_u24 v4, v0, 5, 1
	s_waitcnt lgkmcnt(0)
	v_mul_u32_u24_e32 v3, 5, v0
	v_cndmask_b32_e32 v12, v21, v12, vcc
	v_cmp_gt_u32_e32 vcc, s14, v4
	v_cndmask_b32_e32 v15, v20, v15, vcc
	v_cmp_ne_u32_e32 vcc, 0, v0
	v_cmp_gt_u32_e64 s[2:3], s14, v3
	s_and_b64 s[8:9], vcc, s[2:3]
	ds_write_b32 v1, v23
	s_waitcnt lgkmcnt(0)
	s_barrier
	s_waitcnt lgkmcnt(0)
                                        ; implicit-def: $vgpr3
	s_and_saveexec_b64 s[2:3], s[8:9]
	s_cbranch_execz .LBB105_32
; %bb.31:
	v_add_u32_e32 v3, -4, v1
	ds_read_b32 v3, v3
	s_or_b64 s[6:7], s[6:7], exec
.LBB105_32:
	s_or_b64 exec, exec, s[2:3]
.LBB105_33:
	s_and_saveexec_b64 s[2:3], s[6:7]
	s_cbranch_execz .LBB105_35
; %bb.34:
	s_waitcnt lgkmcnt(0)
	v_sub_u32_e32 v2, v2, v3
.LBB105_35:
	s_or_b64 exec, exec, s[2:3]
	s_add_u32 s6, s12, s10
	s_addc_u32 s7, s13, s11
	s_and_b64 vcc, exec, s[0:1]
	s_waitcnt lgkmcnt(0)
	v_mul_u32_u24_e32 v3, 20, v0
	v_lshlrev_b32_e32 v13, 4, v0
	s_barrier
	s_cbranch_vccz .LBB105_45
; %bb.36:
	s_mov_b32 s5, 0
	s_add_i32 s15, s15, s14
	s_lshl_b64 s[0:1], s[4:5], 2
	v_sub_u32_e32 v4, v3, v13
	s_add_u32 s0, s6, s0
	ds_write2_b32 v3, v2, v15 offset1:1
	ds_write2_b32 v3, v12, v9 offset0:2 offset1:3
	ds_write_b32 v3, v8 offset:16
	s_waitcnt lgkmcnt(0)
	s_barrier
	ds_read2st64_b32 v[10:11], v4 offset0:8 offset1:16
	ds_read2st64_b32 v[4:5], v4 offset0:24 offset1:32
	s_addc_u32 s1, s7, s1
	v_mov_b32_e32 v7, s1
	v_add_co_u32_e32 v6, vcc, s0, v1
	v_addc_co_u32_e32 v7, vcc, 0, v7, vcc
	v_cmp_gt_u32_e32 vcc, s15, v0
	s_and_saveexec_b64 s[0:1], vcc
	s_cbranch_execz .LBB105_38
; %bb.37:
	v_sub_u32_e32 v14, 0, v13
	v_add_u32_e32 v14, v3, v14
	ds_read_b32 v14, v14
	s_waitcnt lgkmcnt(0)
	global_store_dword v[6:7], v14, off
.LBB105_38:
	s_or_b64 exec, exec, s[0:1]
	v_or_b32_e32 v14, 0x200, v0
	v_cmp_gt_u32_e32 vcc, s15, v14
	s_and_saveexec_b64 s[0:1], vcc
	s_cbranch_execz .LBB105_40
; %bb.39:
	s_waitcnt lgkmcnt(1)
	global_store_dword v[6:7], v10, off offset:2048
.LBB105_40:
	s_or_b64 exec, exec, s[0:1]
	s_waitcnt lgkmcnt(1)
	v_or_b32_e32 v10, 0x400, v0
	v_cmp_gt_u32_e32 vcc, s15, v10
	s_and_saveexec_b64 s[0:1], vcc
	s_cbranch_execz .LBB105_42
; %bb.41:
	v_add_co_u32_e32 v16, vcc, 0x1000, v6
	v_addc_co_u32_e32 v17, vcc, 0, v7, vcc
	global_store_dword v[16:17], v11, off
.LBB105_42:
	s_or_b64 exec, exec, s[0:1]
	v_or_b32_e32 v10, 0x600, v0
	v_cmp_gt_u32_e32 vcc, s15, v10
	s_and_saveexec_b64 s[0:1], vcc
	s_cbranch_execz .LBB105_44
; %bb.43:
	v_add_co_u32_e32 v10, vcc, 0x1000, v6
	v_addc_co_u32_e32 v11, vcc, 0, v7, vcc
	s_waitcnt lgkmcnt(0)
	global_store_dword v[10:11], v4, off offset:2048
.LBB105_44:
	s_or_b64 exec, exec, s[0:1]
	v_or_b32_e32 v0, 0x800, v0
	v_cmp_gt_u32_e64 s[0:1], s15, v0
	s_branch .LBB105_47
.LBB105_45:
	s_mov_b64 s[0:1], 0
                                        ; implicit-def: $vgpr5
                                        ; implicit-def: $vgpr6_vgpr7
	s_cbranch_execz .LBB105_47
; %bb.46:
	s_mov_b32 s5, 0
	s_lshl_b64 s[2:3], s[4:5], 2
	s_add_u32 s2, s6, s2
	s_addc_u32 s3, s7, s3
	v_sub_u32_e32 v0, v3, v13
	ds_write2_b32 v3, v2, v15 offset1:1
	ds_write2_b32 v3, v12, v9 offset0:2 offset1:3
	ds_write_b32 v3, v8 offset:16
	s_waitcnt lgkmcnt(0)
	s_barrier
	ds_read2st64_b32 v[2:3], v0 offset1:8
	ds_read2st64_b32 v[8:9], v0 offset0:16 offset1:24
	ds_read_b32 v5, v0 offset:8192
	v_mov_b32_e32 v0, s3
	v_add_co_u32_e32 v6, vcc, s2, v1
	v_addc_co_u32_e32 v7, vcc, 0, v0, vcc
	v_add_co_u32_e32 v0, vcc, 0x1000, v6
	s_waitcnt lgkmcnt(2)
	global_store_dword v1, v2, s[2:3]
	global_store_dword v1, v3, s[2:3] offset:2048
	v_addc_co_u32_e32 v1, vcc, 0, v7, vcc
	s_or_b64 s[0:1], s[0:1], exec
	s_waitcnt lgkmcnt(1)
	global_store_dword v[0:1], v8, off
	global_store_dword v[0:1], v9, off offset:2048
.LBB105_47:
	s_and_saveexec_b64 s[2:3], s[0:1]
	s_cbranch_execnz .LBB105_49
; %bb.48:
	s_endpgm
.LBB105_49:
	v_add_co_u32_e32 v0, vcc, 0x2000, v6
	v_addc_co_u32_e32 v1, vcc, 0, v7, vcc
	s_waitcnt lgkmcnt(0)
	global_store_dword v[0:1], v5, off
	s_endpgm
	.section	.rodata,"a",@progbits
	.p2align	6, 0x0
	.amdhsa_kernel _ZN7rocprim17ROCPRIM_400000_NS6detail17trampoline_kernelINS0_14default_configENS1_35adjacent_difference_config_selectorILb0EiEEZNS1_24adjacent_difference_implIS3_Lb0ELb0EPiS7_N6thrust23THRUST_200600_302600_NS5minusIiEEEE10hipError_tPvRmT2_T3_mT4_P12ihipStream_tbEUlT_E_NS1_11comp_targetILNS1_3genE4ELNS1_11target_archE910ELNS1_3gpuE8ELNS1_3repE0EEENS1_30default_config_static_selectorELNS0_4arch9wavefront6targetE1EEEvT1_
		.amdhsa_group_segment_fixed_size 10240
		.amdhsa_private_segment_fixed_size 0
		.amdhsa_kernarg_size 56
		.amdhsa_user_sgpr_count 6
		.amdhsa_user_sgpr_private_segment_buffer 1
		.amdhsa_user_sgpr_dispatch_ptr 0
		.amdhsa_user_sgpr_queue_ptr 0
		.amdhsa_user_sgpr_kernarg_segment_ptr 1
		.amdhsa_user_sgpr_dispatch_id 0
		.amdhsa_user_sgpr_flat_scratch_init 0
		.amdhsa_user_sgpr_kernarg_preload_length 0
		.amdhsa_user_sgpr_kernarg_preload_offset 0
		.amdhsa_user_sgpr_private_segment_size 0
		.amdhsa_uses_dynamic_stack 0
		.amdhsa_system_sgpr_private_segment_wavefront_offset 0
		.amdhsa_system_sgpr_workgroup_id_x 1
		.amdhsa_system_sgpr_workgroup_id_y 0
		.amdhsa_system_sgpr_workgroup_id_z 0
		.amdhsa_system_sgpr_workgroup_info 0
		.amdhsa_system_vgpr_workitem_id 0
		.amdhsa_next_free_vgpr 24
		.amdhsa_next_free_sgpr 23
		.amdhsa_accum_offset 24
		.amdhsa_reserve_vcc 1
		.amdhsa_reserve_flat_scratch 0
		.amdhsa_float_round_mode_32 0
		.amdhsa_float_round_mode_16_64 0
		.amdhsa_float_denorm_mode_32 3
		.amdhsa_float_denorm_mode_16_64 3
		.amdhsa_dx10_clamp 1
		.amdhsa_ieee_mode 1
		.amdhsa_fp16_overflow 0
		.amdhsa_tg_split 0
		.amdhsa_exception_fp_ieee_invalid_op 0
		.amdhsa_exception_fp_denorm_src 0
		.amdhsa_exception_fp_ieee_div_zero 0
		.amdhsa_exception_fp_ieee_overflow 0
		.amdhsa_exception_fp_ieee_underflow 0
		.amdhsa_exception_fp_ieee_inexact 0
		.amdhsa_exception_int_div_zero 0
	.end_amdhsa_kernel
	.section	.text._ZN7rocprim17ROCPRIM_400000_NS6detail17trampoline_kernelINS0_14default_configENS1_35adjacent_difference_config_selectorILb0EiEEZNS1_24adjacent_difference_implIS3_Lb0ELb0EPiS7_N6thrust23THRUST_200600_302600_NS5minusIiEEEE10hipError_tPvRmT2_T3_mT4_P12ihipStream_tbEUlT_E_NS1_11comp_targetILNS1_3genE4ELNS1_11target_archE910ELNS1_3gpuE8ELNS1_3repE0EEENS1_30default_config_static_selectorELNS0_4arch9wavefront6targetE1EEEvT1_,"axG",@progbits,_ZN7rocprim17ROCPRIM_400000_NS6detail17trampoline_kernelINS0_14default_configENS1_35adjacent_difference_config_selectorILb0EiEEZNS1_24adjacent_difference_implIS3_Lb0ELb0EPiS7_N6thrust23THRUST_200600_302600_NS5minusIiEEEE10hipError_tPvRmT2_T3_mT4_P12ihipStream_tbEUlT_E_NS1_11comp_targetILNS1_3genE4ELNS1_11target_archE910ELNS1_3gpuE8ELNS1_3repE0EEENS1_30default_config_static_selectorELNS0_4arch9wavefront6targetE1EEEvT1_,comdat
.Lfunc_end105:
	.size	_ZN7rocprim17ROCPRIM_400000_NS6detail17trampoline_kernelINS0_14default_configENS1_35adjacent_difference_config_selectorILb0EiEEZNS1_24adjacent_difference_implIS3_Lb0ELb0EPiS7_N6thrust23THRUST_200600_302600_NS5minusIiEEEE10hipError_tPvRmT2_T3_mT4_P12ihipStream_tbEUlT_E_NS1_11comp_targetILNS1_3genE4ELNS1_11target_archE910ELNS1_3gpuE8ELNS1_3repE0EEENS1_30default_config_static_selectorELNS0_4arch9wavefront6targetE1EEEvT1_, .Lfunc_end105-_ZN7rocprim17ROCPRIM_400000_NS6detail17trampoline_kernelINS0_14default_configENS1_35adjacent_difference_config_selectorILb0EiEEZNS1_24adjacent_difference_implIS3_Lb0ELb0EPiS7_N6thrust23THRUST_200600_302600_NS5minusIiEEEE10hipError_tPvRmT2_T3_mT4_P12ihipStream_tbEUlT_E_NS1_11comp_targetILNS1_3genE4ELNS1_11target_archE910ELNS1_3gpuE8ELNS1_3repE0EEENS1_30default_config_static_selectorELNS0_4arch9wavefront6targetE1EEEvT1_
                                        ; -- End function
	.section	.AMDGPU.csdata,"",@progbits
; Kernel info:
; codeLenInByte = 1944
; NumSgprs: 27
; NumVgprs: 24
; NumAgprs: 0
; TotalNumVgprs: 24
; ScratchSize: 0
; MemoryBound: 0
; FloatMode: 240
; IeeeMode: 1
; LDSByteSize: 10240 bytes/workgroup (compile time only)
; SGPRBlocks: 3
; VGPRBlocks: 2
; NumSGPRsForWavesPerEU: 27
; NumVGPRsForWavesPerEU: 24
; AccumOffset: 24
; Occupancy: 8
; WaveLimiterHint : 1
; COMPUTE_PGM_RSRC2:SCRATCH_EN: 0
; COMPUTE_PGM_RSRC2:USER_SGPR: 6
; COMPUTE_PGM_RSRC2:TRAP_HANDLER: 0
; COMPUTE_PGM_RSRC2:TGID_X_EN: 1
; COMPUTE_PGM_RSRC2:TGID_Y_EN: 0
; COMPUTE_PGM_RSRC2:TGID_Z_EN: 0
; COMPUTE_PGM_RSRC2:TIDIG_COMP_CNT: 0
; COMPUTE_PGM_RSRC3_GFX90A:ACCUM_OFFSET: 5
; COMPUTE_PGM_RSRC3_GFX90A:TG_SPLIT: 0
	.section	.text._ZN7rocprim17ROCPRIM_400000_NS6detail17trampoline_kernelINS0_14default_configENS1_35adjacent_difference_config_selectorILb0EiEEZNS1_24adjacent_difference_implIS3_Lb0ELb0EPiS7_N6thrust23THRUST_200600_302600_NS5minusIiEEEE10hipError_tPvRmT2_T3_mT4_P12ihipStream_tbEUlT_E_NS1_11comp_targetILNS1_3genE3ELNS1_11target_archE908ELNS1_3gpuE7ELNS1_3repE0EEENS1_30default_config_static_selectorELNS0_4arch9wavefront6targetE1EEEvT1_,"axG",@progbits,_ZN7rocprim17ROCPRIM_400000_NS6detail17trampoline_kernelINS0_14default_configENS1_35adjacent_difference_config_selectorILb0EiEEZNS1_24adjacent_difference_implIS3_Lb0ELb0EPiS7_N6thrust23THRUST_200600_302600_NS5minusIiEEEE10hipError_tPvRmT2_T3_mT4_P12ihipStream_tbEUlT_E_NS1_11comp_targetILNS1_3genE3ELNS1_11target_archE908ELNS1_3gpuE7ELNS1_3repE0EEENS1_30default_config_static_selectorELNS0_4arch9wavefront6targetE1EEEvT1_,comdat
	.protected	_ZN7rocprim17ROCPRIM_400000_NS6detail17trampoline_kernelINS0_14default_configENS1_35adjacent_difference_config_selectorILb0EiEEZNS1_24adjacent_difference_implIS3_Lb0ELb0EPiS7_N6thrust23THRUST_200600_302600_NS5minusIiEEEE10hipError_tPvRmT2_T3_mT4_P12ihipStream_tbEUlT_E_NS1_11comp_targetILNS1_3genE3ELNS1_11target_archE908ELNS1_3gpuE7ELNS1_3repE0EEENS1_30default_config_static_selectorELNS0_4arch9wavefront6targetE1EEEvT1_ ; -- Begin function _ZN7rocprim17ROCPRIM_400000_NS6detail17trampoline_kernelINS0_14default_configENS1_35adjacent_difference_config_selectorILb0EiEEZNS1_24adjacent_difference_implIS3_Lb0ELb0EPiS7_N6thrust23THRUST_200600_302600_NS5minusIiEEEE10hipError_tPvRmT2_T3_mT4_P12ihipStream_tbEUlT_E_NS1_11comp_targetILNS1_3genE3ELNS1_11target_archE908ELNS1_3gpuE7ELNS1_3repE0EEENS1_30default_config_static_selectorELNS0_4arch9wavefront6targetE1EEEvT1_
	.globl	_ZN7rocprim17ROCPRIM_400000_NS6detail17trampoline_kernelINS0_14default_configENS1_35adjacent_difference_config_selectorILb0EiEEZNS1_24adjacent_difference_implIS3_Lb0ELb0EPiS7_N6thrust23THRUST_200600_302600_NS5minusIiEEEE10hipError_tPvRmT2_T3_mT4_P12ihipStream_tbEUlT_E_NS1_11comp_targetILNS1_3genE3ELNS1_11target_archE908ELNS1_3gpuE7ELNS1_3repE0EEENS1_30default_config_static_selectorELNS0_4arch9wavefront6targetE1EEEvT1_
	.p2align	8
	.type	_ZN7rocprim17ROCPRIM_400000_NS6detail17trampoline_kernelINS0_14default_configENS1_35adjacent_difference_config_selectorILb0EiEEZNS1_24adjacent_difference_implIS3_Lb0ELb0EPiS7_N6thrust23THRUST_200600_302600_NS5minusIiEEEE10hipError_tPvRmT2_T3_mT4_P12ihipStream_tbEUlT_E_NS1_11comp_targetILNS1_3genE3ELNS1_11target_archE908ELNS1_3gpuE7ELNS1_3repE0EEENS1_30default_config_static_selectorELNS0_4arch9wavefront6targetE1EEEvT1_,@function
_ZN7rocprim17ROCPRIM_400000_NS6detail17trampoline_kernelINS0_14default_configENS1_35adjacent_difference_config_selectorILb0EiEEZNS1_24adjacent_difference_implIS3_Lb0ELb0EPiS7_N6thrust23THRUST_200600_302600_NS5minusIiEEEE10hipError_tPvRmT2_T3_mT4_P12ihipStream_tbEUlT_E_NS1_11comp_targetILNS1_3genE3ELNS1_11target_archE908ELNS1_3gpuE7ELNS1_3repE0EEENS1_30default_config_static_selectorELNS0_4arch9wavefront6targetE1EEEvT1_: ; @_ZN7rocprim17ROCPRIM_400000_NS6detail17trampoline_kernelINS0_14default_configENS1_35adjacent_difference_config_selectorILb0EiEEZNS1_24adjacent_difference_implIS3_Lb0ELb0EPiS7_N6thrust23THRUST_200600_302600_NS5minusIiEEEE10hipError_tPvRmT2_T3_mT4_P12ihipStream_tbEUlT_E_NS1_11comp_targetILNS1_3genE3ELNS1_11target_archE908ELNS1_3gpuE7ELNS1_3repE0EEENS1_30default_config_static_selectorELNS0_4arch9wavefront6targetE1EEEvT1_
; %bb.0:
	.section	.rodata,"a",@progbits
	.p2align	6, 0x0
	.amdhsa_kernel _ZN7rocprim17ROCPRIM_400000_NS6detail17trampoline_kernelINS0_14default_configENS1_35adjacent_difference_config_selectorILb0EiEEZNS1_24adjacent_difference_implIS3_Lb0ELb0EPiS7_N6thrust23THRUST_200600_302600_NS5minusIiEEEE10hipError_tPvRmT2_T3_mT4_P12ihipStream_tbEUlT_E_NS1_11comp_targetILNS1_3genE3ELNS1_11target_archE908ELNS1_3gpuE7ELNS1_3repE0EEENS1_30default_config_static_selectorELNS0_4arch9wavefront6targetE1EEEvT1_
		.amdhsa_group_segment_fixed_size 0
		.amdhsa_private_segment_fixed_size 0
		.amdhsa_kernarg_size 56
		.amdhsa_user_sgpr_count 6
		.amdhsa_user_sgpr_private_segment_buffer 1
		.amdhsa_user_sgpr_dispatch_ptr 0
		.amdhsa_user_sgpr_queue_ptr 0
		.amdhsa_user_sgpr_kernarg_segment_ptr 1
		.amdhsa_user_sgpr_dispatch_id 0
		.amdhsa_user_sgpr_flat_scratch_init 0
		.amdhsa_user_sgpr_kernarg_preload_length 0
		.amdhsa_user_sgpr_kernarg_preload_offset 0
		.amdhsa_user_sgpr_private_segment_size 0
		.amdhsa_uses_dynamic_stack 0
		.amdhsa_system_sgpr_private_segment_wavefront_offset 0
		.amdhsa_system_sgpr_workgroup_id_x 1
		.amdhsa_system_sgpr_workgroup_id_y 0
		.amdhsa_system_sgpr_workgroup_id_z 0
		.amdhsa_system_sgpr_workgroup_info 0
		.amdhsa_system_vgpr_workitem_id 0
		.amdhsa_next_free_vgpr 1
		.amdhsa_next_free_sgpr 0
		.amdhsa_accum_offset 4
		.amdhsa_reserve_vcc 0
		.amdhsa_reserve_flat_scratch 0
		.amdhsa_float_round_mode_32 0
		.amdhsa_float_round_mode_16_64 0
		.amdhsa_float_denorm_mode_32 3
		.amdhsa_float_denorm_mode_16_64 3
		.amdhsa_dx10_clamp 1
		.amdhsa_ieee_mode 1
		.amdhsa_fp16_overflow 0
		.amdhsa_tg_split 0
		.amdhsa_exception_fp_ieee_invalid_op 0
		.amdhsa_exception_fp_denorm_src 0
		.amdhsa_exception_fp_ieee_div_zero 0
		.amdhsa_exception_fp_ieee_overflow 0
		.amdhsa_exception_fp_ieee_underflow 0
		.amdhsa_exception_fp_ieee_inexact 0
		.amdhsa_exception_int_div_zero 0
	.end_amdhsa_kernel
	.section	.text._ZN7rocprim17ROCPRIM_400000_NS6detail17trampoline_kernelINS0_14default_configENS1_35adjacent_difference_config_selectorILb0EiEEZNS1_24adjacent_difference_implIS3_Lb0ELb0EPiS7_N6thrust23THRUST_200600_302600_NS5minusIiEEEE10hipError_tPvRmT2_T3_mT4_P12ihipStream_tbEUlT_E_NS1_11comp_targetILNS1_3genE3ELNS1_11target_archE908ELNS1_3gpuE7ELNS1_3repE0EEENS1_30default_config_static_selectorELNS0_4arch9wavefront6targetE1EEEvT1_,"axG",@progbits,_ZN7rocprim17ROCPRIM_400000_NS6detail17trampoline_kernelINS0_14default_configENS1_35adjacent_difference_config_selectorILb0EiEEZNS1_24adjacent_difference_implIS3_Lb0ELb0EPiS7_N6thrust23THRUST_200600_302600_NS5minusIiEEEE10hipError_tPvRmT2_T3_mT4_P12ihipStream_tbEUlT_E_NS1_11comp_targetILNS1_3genE3ELNS1_11target_archE908ELNS1_3gpuE7ELNS1_3repE0EEENS1_30default_config_static_selectorELNS0_4arch9wavefront6targetE1EEEvT1_,comdat
.Lfunc_end106:
	.size	_ZN7rocprim17ROCPRIM_400000_NS6detail17trampoline_kernelINS0_14default_configENS1_35adjacent_difference_config_selectorILb0EiEEZNS1_24adjacent_difference_implIS3_Lb0ELb0EPiS7_N6thrust23THRUST_200600_302600_NS5minusIiEEEE10hipError_tPvRmT2_T3_mT4_P12ihipStream_tbEUlT_E_NS1_11comp_targetILNS1_3genE3ELNS1_11target_archE908ELNS1_3gpuE7ELNS1_3repE0EEENS1_30default_config_static_selectorELNS0_4arch9wavefront6targetE1EEEvT1_, .Lfunc_end106-_ZN7rocprim17ROCPRIM_400000_NS6detail17trampoline_kernelINS0_14default_configENS1_35adjacent_difference_config_selectorILb0EiEEZNS1_24adjacent_difference_implIS3_Lb0ELb0EPiS7_N6thrust23THRUST_200600_302600_NS5minusIiEEEE10hipError_tPvRmT2_T3_mT4_P12ihipStream_tbEUlT_E_NS1_11comp_targetILNS1_3genE3ELNS1_11target_archE908ELNS1_3gpuE7ELNS1_3repE0EEENS1_30default_config_static_selectorELNS0_4arch9wavefront6targetE1EEEvT1_
                                        ; -- End function
	.section	.AMDGPU.csdata,"",@progbits
; Kernel info:
; codeLenInByte = 0
; NumSgprs: 4
; NumVgprs: 0
; NumAgprs: 0
; TotalNumVgprs: 0
; ScratchSize: 0
; MemoryBound: 0
; FloatMode: 240
; IeeeMode: 1
; LDSByteSize: 0 bytes/workgroup (compile time only)
; SGPRBlocks: 0
; VGPRBlocks: 0
; NumSGPRsForWavesPerEU: 4
; NumVGPRsForWavesPerEU: 1
; AccumOffset: 4
; Occupancy: 8
; WaveLimiterHint : 0
; COMPUTE_PGM_RSRC2:SCRATCH_EN: 0
; COMPUTE_PGM_RSRC2:USER_SGPR: 6
; COMPUTE_PGM_RSRC2:TRAP_HANDLER: 0
; COMPUTE_PGM_RSRC2:TGID_X_EN: 1
; COMPUTE_PGM_RSRC2:TGID_Y_EN: 0
; COMPUTE_PGM_RSRC2:TGID_Z_EN: 0
; COMPUTE_PGM_RSRC2:TIDIG_COMP_CNT: 0
; COMPUTE_PGM_RSRC3_GFX90A:ACCUM_OFFSET: 0
; COMPUTE_PGM_RSRC3_GFX90A:TG_SPLIT: 0
	.section	.text._ZN7rocprim17ROCPRIM_400000_NS6detail17trampoline_kernelINS0_14default_configENS1_35adjacent_difference_config_selectorILb0EiEEZNS1_24adjacent_difference_implIS3_Lb0ELb0EPiS7_N6thrust23THRUST_200600_302600_NS5minusIiEEEE10hipError_tPvRmT2_T3_mT4_P12ihipStream_tbEUlT_E_NS1_11comp_targetILNS1_3genE2ELNS1_11target_archE906ELNS1_3gpuE6ELNS1_3repE0EEENS1_30default_config_static_selectorELNS0_4arch9wavefront6targetE1EEEvT1_,"axG",@progbits,_ZN7rocprim17ROCPRIM_400000_NS6detail17trampoline_kernelINS0_14default_configENS1_35adjacent_difference_config_selectorILb0EiEEZNS1_24adjacent_difference_implIS3_Lb0ELb0EPiS7_N6thrust23THRUST_200600_302600_NS5minusIiEEEE10hipError_tPvRmT2_T3_mT4_P12ihipStream_tbEUlT_E_NS1_11comp_targetILNS1_3genE2ELNS1_11target_archE906ELNS1_3gpuE6ELNS1_3repE0EEENS1_30default_config_static_selectorELNS0_4arch9wavefront6targetE1EEEvT1_,comdat
	.protected	_ZN7rocprim17ROCPRIM_400000_NS6detail17trampoline_kernelINS0_14default_configENS1_35adjacent_difference_config_selectorILb0EiEEZNS1_24adjacent_difference_implIS3_Lb0ELb0EPiS7_N6thrust23THRUST_200600_302600_NS5minusIiEEEE10hipError_tPvRmT2_T3_mT4_P12ihipStream_tbEUlT_E_NS1_11comp_targetILNS1_3genE2ELNS1_11target_archE906ELNS1_3gpuE6ELNS1_3repE0EEENS1_30default_config_static_selectorELNS0_4arch9wavefront6targetE1EEEvT1_ ; -- Begin function _ZN7rocprim17ROCPRIM_400000_NS6detail17trampoline_kernelINS0_14default_configENS1_35adjacent_difference_config_selectorILb0EiEEZNS1_24adjacent_difference_implIS3_Lb0ELb0EPiS7_N6thrust23THRUST_200600_302600_NS5minusIiEEEE10hipError_tPvRmT2_T3_mT4_P12ihipStream_tbEUlT_E_NS1_11comp_targetILNS1_3genE2ELNS1_11target_archE906ELNS1_3gpuE6ELNS1_3repE0EEENS1_30default_config_static_selectorELNS0_4arch9wavefront6targetE1EEEvT1_
	.globl	_ZN7rocprim17ROCPRIM_400000_NS6detail17trampoline_kernelINS0_14default_configENS1_35adjacent_difference_config_selectorILb0EiEEZNS1_24adjacent_difference_implIS3_Lb0ELb0EPiS7_N6thrust23THRUST_200600_302600_NS5minusIiEEEE10hipError_tPvRmT2_T3_mT4_P12ihipStream_tbEUlT_E_NS1_11comp_targetILNS1_3genE2ELNS1_11target_archE906ELNS1_3gpuE6ELNS1_3repE0EEENS1_30default_config_static_selectorELNS0_4arch9wavefront6targetE1EEEvT1_
	.p2align	8
	.type	_ZN7rocprim17ROCPRIM_400000_NS6detail17trampoline_kernelINS0_14default_configENS1_35adjacent_difference_config_selectorILb0EiEEZNS1_24adjacent_difference_implIS3_Lb0ELb0EPiS7_N6thrust23THRUST_200600_302600_NS5minusIiEEEE10hipError_tPvRmT2_T3_mT4_P12ihipStream_tbEUlT_E_NS1_11comp_targetILNS1_3genE2ELNS1_11target_archE906ELNS1_3gpuE6ELNS1_3repE0EEENS1_30default_config_static_selectorELNS0_4arch9wavefront6targetE1EEEvT1_,@function
_ZN7rocprim17ROCPRIM_400000_NS6detail17trampoline_kernelINS0_14default_configENS1_35adjacent_difference_config_selectorILb0EiEEZNS1_24adjacent_difference_implIS3_Lb0ELb0EPiS7_N6thrust23THRUST_200600_302600_NS5minusIiEEEE10hipError_tPvRmT2_T3_mT4_P12ihipStream_tbEUlT_E_NS1_11comp_targetILNS1_3genE2ELNS1_11target_archE906ELNS1_3gpuE6ELNS1_3repE0EEENS1_30default_config_static_selectorELNS0_4arch9wavefront6targetE1EEEvT1_: ; @_ZN7rocprim17ROCPRIM_400000_NS6detail17trampoline_kernelINS0_14default_configENS1_35adjacent_difference_config_selectorILb0EiEEZNS1_24adjacent_difference_implIS3_Lb0ELb0EPiS7_N6thrust23THRUST_200600_302600_NS5minusIiEEEE10hipError_tPvRmT2_T3_mT4_P12ihipStream_tbEUlT_E_NS1_11comp_targetILNS1_3genE2ELNS1_11target_archE906ELNS1_3gpuE6ELNS1_3repE0EEENS1_30default_config_static_selectorELNS0_4arch9wavefront6targetE1EEEvT1_
; %bb.0:
	.section	.rodata,"a",@progbits
	.p2align	6, 0x0
	.amdhsa_kernel _ZN7rocprim17ROCPRIM_400000_NS6detail17trampoline_kernelINS0_14default_configENS1_35adjacent_difference_config_selectorILb0EiEEZNS1_24adjacent_difference_implIS3_Lb0ELb0EPiS7_N6thrust23THRUST_200600_302600_NS5minusIiEEEE10hipError_tPvRmT2_T3_mT4_P12ihipStream_tbEUlT_E_NS1_11comp_targetILNS1_3genE2ELNS1_11target_archE906ELNS1_3gpuE6ELNS1_3repE0EEENS1_30default_config_static_selectorELNS0_4arch9wavefront6targetE1EEEvT1_
		.amdhsa_group_segment_fixed_size 0
		.amdhsa_private_segment_fixed_size 0
		.amdhsa_kernarg_size 56
		.amdhsa_user_sgpr_count 6
		.amdhsa_user_sgpr_private_segment_buffer 1
		.amdhsa_user_sgpr_dispatch_ptr 0
		.amdhsa_user_sgpr_queue_ptr 0
		.amdhsa_user_sgpr_kernarg_segment_ptr 1
		.amdhsa_user_sgpr_dispatch_id 0
		.amdhsa_user_sgpr_flat_scratch_init 0
		.amdhsa_user_sgpr_kernarg_preload_length 0
		.amdhsa_user_sgpr_kernarg_preload_offset 0
		.amdhsa_user_sgpr_private_segment_size 0
		.amdhsa_uses_dynamic_stack 0
		.amdhsa_system_sgpr_private_segment_wavefront_offset 0
		.amdhsa_system_sgpr_workgroup_id_x 1
		.amdhsa_system_sgpr_workgroup_id_y 0
		.amdhsa_system_sgpr_workgroup_id_z 0
		.amdhsa_system_sgpr_workgroup_info 0
		.amdhsa_system_vgpr_workitem_id 0
		.amdhsa_next_free_vgpr 1
		.amdhsa_next_free_sgpr 0
		.amdhsa_accum_offset 4
		.amdhsa_reserve_vcc 0
		.amdhsa_reserve_flat_scratch 0
		.amdhsa_float_round_mode_32 0
		.amdhsa_float_round_mode_16_64 0
		.amdhsa_float_denorm_mode_32 3
		.amdhsa_float_denorm_mode_16_64 3
		.amdhsa_dx10_clamp 1
		.amdhsa_ieee_mode 1
		.amdhsa_fp16_overflow 0
		.amdhsa_tg_split 0
		.amdhsa_exception_fp_ieee_invalid_op 0
		.amdhsa_exception_fp_denorm_src 0
		.amdhsa_exception_fp_ieee_div_zero 0
		.amdhsa_exception_fp_ieee_overflow 0
		.amdhsa_exception_fp_ieee_underflow 0
		.amdhsa_exception_fp_ieee_inexact 0
		.amdhsa_exception_int_div_zero 0
	.end_amdhsa_kernel
	.section	.text._ZN7rocprim17ROCPRIM_400000_NS6detail17trampoline_kernelINS0_14default_configENS1_35adjacent_difference_config_selectorILb0EiEEZNS1_24adjacent_difference_implIS3_Lb0ELb0EPiS7_N6thrust23THRUST_200600_302600_NS5minusIiEEEE10hipError_tPvRmT2_T3_mT4_P12ihipStream_tbEUlT_E_NS1_11comp_targetILNS1_3genE2ELNS1_11target_archE906ELNS1_3gpuE6ELNS1_3repE0EEENS1_30default_config_static_selectorELNS0_4arch9wavefront6targetE1EEEvT1_,"axG",@progbits,_ZN7rocprim17ROCPRIM_400000_NS6detail17trampoline_kernelINS0_14default_configENS1_35adjacent_difference_config_selectorILb0EiEEZNS1_24adjacent_difference_implIS3_Lb0ELb0EPiS7_N6thrust23THRUST_200600_302600_NS5minusIiEEEE10hipError_tPvRmT2_T3_mT4_P12ihipStream_tbEUlT_E_NS1_11comp_targetILNS1_3genE2ELNS1_11target_archE906ELNS1_3gpuE6ELNS1_3repE0EEENS1_30default_config_static_selectorELNS0_4arch9wavefront6targetE1EEEvT1_,comdat
.Lfunc_end107:
	.size	_ZN7rocprim17ROCPRIM_400000_NS6detail17trampoline_kernelINS0_14default_configENS1_35adjacent_difference_config_selectorILb0EiEEZNS1_24adjacent_difference_implIS3_Lb0ELb0EPiS7_N6thrust23THRUST_200600_302600_NS5minusIiEEEE10hipError_tPvRmT2_T3_mT4_P12ihipStream_tbEUlT_E_NS1_11comp_targetILNS1_3genE2ELNS1_11target_archE906ELNS1_3gpuE6ELNS1_3repE0EEENS1_30default_config_static_selectorELNS0_4arch9wavefront6targetE1EEEvT1_, .Lfunc_end107-_ZN7rocprim17ROCPRIM_400000_NS6detail17trampoline_kernelINS0_14default_configENS1_35adjacent_difference_config_selectorILb0EiEEZNS1_24adjacent_difference_implIS3_Lb0ELb0EPiS7_N6thrust23THRUST_200600_302600_NS5minusIiEEEE10hipError_tPvRmT2_T3_mT4_P12ihipStream_tbEUlT_E_NS1_11comp_targetILNS1_3genE2ELNS1_11target_archE906ELNS1_3gpuE6ELNS1_3repE0EEENS1_30default_config_static_selectorELNS0_4arch9wavefront6targetE1EEEvT1_
                                        ; -- End function
	.section	.AMDGPU.csdata,"",@progbits
; Kernel info:
; codeLenInByte = 0
; NumSgprs: 4
; NumVgprs: 0
; NumAgprs: 0
; TotalNumVgprs: 0
; ScratchSize: 0
; MemoryBound: 0
; FloatMode: 240
; IeeeMode: 1
; LDSByteSize: 0 bytes/workgroup (compile time only)
; SGPRBlocks: 0
; VGPRBlocks: 0
; NumSGPRsForWavesPerEU: 4
; NumVGPRsForWavesPerEU: 1
; AccumOffset: 4
; Occupancy: 8
; WaveLimiterHint : 0
; COMPUTE_PGM_RSRC2:SCRATCH_EN: 0
; COMPUTE_PGM_RSRC2:USER_SGPR: 6
; COMPUTE_PGM_RSRC2:TRAP_HANDLER: 0
; COMPUTE_PGM_RSRC2:TGID_X_EN: 1
; COMPUTE_PGM_RSRC2:TGID_Y_EN: 0
; COMPUTE_PGM_RSRC2:TGID_Z_EN: 0
; COMPUTE_PGM_RSRC2:TIDIG_COMP_CNT: 0
; COMPUTE_PGM_RSRC3_GFX90A:ACCUM_OFFSET: 0
; COMPUTE_PGM_RSRC3_GFX90A:TG_SPLIT: 0
	.section	.text._ZN7rocprim17ROCPRIM_400000_NS6detail17trampoline_kernelINS0_14default_configENS1_35adjacent_difference_config_selectorILb0EiEEZNS1_24adjacent_difference_implIS3_Lb0ELb0EPiS7_N6thrust23THRUST_200600_302600_NS5minusIiEEEE10hipError_tPvRmT2_T3_mT4_P12ihipStream_tbEUlT_E_NS1_11comp_targetILNS1_3genE9ELNS1_11target_archE1100ELNS1_3gpuE3ELNS1_3repE0EEENS1_30default_config_static_selectorELNS0_4arch9wavefront6targetE1EEEvT1_,"axG",@progbits,_ZN7rocprim17ROCPRIM_400000_NS6detail17trampoline_kernelINS0_14default_configENS1_35adjacent_difference_config_selectorILb0EiEEZNS1_24adjacent_difference_implIS3_Lb0ELb0EPiS7_N6thrust23THRUST_200600_302600_NS5minusIiEEEE10hipError_tPvRmT2_T3_mT4_P12ihipStream_tbEUlT_E_NS1_11comp_targetILNS1_3genE9ELNS1_11target_archE1100ELNS1_3gpuE3ELNS1_3repE0EEENS1_30default_config_static_selectorELNS0_4arch9wavefront6targetE1EEEvT1_,comdat
	.protected	_ZN7rocprim17ROCPRIM_400000_NS6detail17trampoline_kernelINS0_14default_configENS1_35adjacent_difference_config_selectorILb0EiEEZNS1_24adjacent_difference_implIS3_Lb0ELb0EPiS7_N6thrust23THRUST_200600_302600_NS5minusIiEEEE10hipError_tPvRmT2_T3_mT4_P12ihipStream_tbEUlT_E_NS1_11comp_targetILNS1_3genE9ELNS1_11target_archE1100ELNS1_3gpuE3ELNS1_3repE0EEENS1_30default_config_static_selectorELNS0_4arch9wavefront6targetE1EEEvT1_ ; -- Begin function _ZN7rocprim17ROCPRIM_400000_NS6detail17trampoline_kernelINS0_14default_configENS1_35adjacent_difference_config_selectorILb0EiEEZNS1_24adjacent_difference_implIS3_Lb0ELb0EPiS7_N6thrust23THRUST_200600_302600_NS5minusIiEEEE10hipError_tPvRmT2_T3_mT4_P12ihipStream_tbEUlT_E_NS1_11comp_targetILNS1_3genE9ELNS1_11target_archE1100ELNS1_3gpuE3ELNS1_3repE0EEENS1_30default_config_static_selectorELNS0_4arch9wavefront6targetE1EEEvT1_
	.globl	_ZN7rocprim17ROCPRIM_400000_NS6detail17trampoline_kernelINS0_14default_configENS1_35adjacent_difference_config_selectorILb0EiEEZNS1_24adjacent_difference_implIS3_Lb0ELb0EPiS7_N6thrust23THRUST_200600_302600_NS5minusIiEEEE10hipError_tPvRmT2_T3_mT4_P12ihipStream_tbEUlT_E_NS1_11comp_targetILNS1_3genE9ELNS1_11target_archE1100ELNS1_3gpuE3ELNS1_3repE0EEENS1_30default_config_static_selectorELNS0_4arch9wavefront6targetE1EEEvT1_
	.p2align	8
	.type	_ZN7rocprim17ROCPRIM_400000_NS6detail17trampoline_kernelINS0_14default_configENS1_35adjacent_difference_config_selectorILb0EiEEZNS1_24adjacent_difference_implIS3_Lb0ELb0EPiS7_N6thrust23THRUST_200600_302600_NS5minusIiEEEE10hipError_tPvRmT2_T3_mT4_P12ihipStream_tbEUlT_E_NS1_11comp_targetILNS1_3genE9ELNS1_11target_archE1100ELNS1_3gpuE3ELNS1_3repE0EEENS1_30default_config_static_selectorELNS0_4arch9wavefront6targetE1EEEvT1_,@function
_ZN7rocprim17ROCPRIM_400000_NS6detail17trampoline_kernelINS0_14default_configENS1_35adjacent_difference_config_selectorILb0EiEEZNS1_24adjacent_difference_implIS3_Lb0ELb0EPiS7_N6thrust23THRUST_200600_302600_NS5minusIiEEEE10hipError_tPvRmT2_T3_mT4_P12ihipStream_tbEUlT_E_NS1_11comp_targetILNS1_3genE9ELNS1_11target_archE1100ELNS1_3gpuE3ELNS1_3repE0EEENS1_30default_config_static_selectorELNS0_4arch9wavefront6targetE1EEEvT1_: ; @_ZN7rocprim17ROCPRIM_400000_NS6detail17trampoline_kernelINS0_14default_configENS1_35adjacent_difference_config_selectorILb0EiEEZNS1_24adjacent_difference_implIS3_Lb0ELb0EPiS7_N6thrust23THRUST_200600_302600_NS5minusIiEEEE10hipError_tPvRmT2_T3_mT4_P12ihipStream_tbEUlT_E_NS1_11comp_targetILNS1_3genE9ELNS1_11target_archE1100ELNS1_3gpuE3ELNS1_3repE0EEENS1_30default_config_static_selectorELNS0_4arch9wavefront6targetE1EEEvT1_
; %bb.0:
	.section	.rodata,"a",@progbits
	.p2align	6, 0x0
	.amdhsa_kernel _ZN7rocprim17ROCPRIM_400000_NS6detail17trampoline_kernelINS0_14default_configENS1_35adjacent_difference_config_selectorILb0EiEEZNS1_24adjacent_difference_implIS3_Lb0ELb0EPiS7_N6thrust23THRUST_200600_302600_NS5minusIiEEEE10hipError_tPvRmT2_T3_mT4_P12ihipStream_tbEUlT_E_NS1_11comp_targetILNS1_3genE9ELNS1_11target_archE1100ELNS1_3gpuE3ELNS1_3repE0EEENS1_30default_config_static_selectorELNS0_4arch9wavefront6targetE1EEEvT1_
		.amdhsa_group_segment_fixed_size 0
		.amdhsa_private_segment_fixed_size 0
		.amdhsa_kernarg_size 56
		.amdhsa_user_sgpr_count 6
		.amdhsa_user_sgpr_private_segment_buffer 1
		.amdhsa_user_sgpr_dispatch_ptr 0
		.amdhsa_user_sgpr_queue_ptr 0
		.amdhsa_user_sgpr_kernarg_segment_ptr 1
		.amdhsa_user_sgpr_dispatch_id 0
		.amdhsa_user_sgpr_flat_scratch_init 0
		.amdhsa_user_sgpr_kernarg_preload_length 0
		.amdhsa_user_sgpr_kernarg_preload_offset 0
		.amdhsa_user_sgpr_private_segment_size 0
		.amdhsa_uses_dynamic_stack 0
		.amdhsa_system_sgpr_private_segment_wavefront_offset 0
		.amdhsa_system_sgpr_workgroup_id_x 1
		.amdhsa_system_sgpr_workgroup_id_y 0
		.amdhsa_system_sgpr_workgroup_id_z 0
		.amdhsa_system_sgpr_workgroup_info 0
		.amdhsa_system_vgpr_workitem_id 0
		.amdhsa_next_free_vgpr 1
		.amdhsa_next_free_sgpr 0
		.amdhsa_accum_offset 4
		.amdhsa_reserve_vcc 0
		.amdhsa_reserve_flat_scratch 0
		.amdhsa_float_round_mode_32 0
		.amdhsa_float_round_mode_16_64 0
		.amdhsa_float_denorm_mode_32 3
		.amdhsa_float_denorm_mode_16_64 3
		.amdhsa_dx10_clamp 1
		.amdhsa_ieee_mode 1
		.amdhsa_fp16_overflow 0
		.amdhsa_tg_split 0
		.amdhsa_exception_fp_ieee_invalid_op 0
		.amdhsa_exception_fp_denorm_src 0
		.amdhsa_exception_fp_ieee_div_zero 0
		.amdhsa_exception_fp_ieee_overflow 0
		.amdhsa_exception_fp_ieee_underflow 0
		.amdhsa_exception_fp_ieee_inexact 0
		.amdhsa_exception_int_div_zero 0
	.end_amdhsa_kernel
	.section	.text._ZN7rocprim17ROCPRIM_400000_NS6detail17trampoline_kernelINS0_14default_configENS1_35adjacent_difference_config_selectorILb0EiEEZNS1_24adjacent_difference_implIS3_Lb0ELb0EPiS7_N6thrust23THRUST_200600_302600_NS5minusIiEEEE10hipError_tPvRmT2_T3_mT4_P12ihipStream_tbEUlT_E_NS1_11comp_targetILNS1_3genE9ELNS1_11target_archE1100ELNS1_3gpuE3ELNS1_3repE0EEENS1_30default_config_static_selectorELNS0_4arch9wavefront6targetE1EEEvT1_,"axG",@progbits,_ZN7rocprim17ROCPRIM_400000_NS6detail17trampoline_kernelINS0_14default_configENS1_35adjacent_difference_config_selectorILb0EiEEZNS1_24adjacent_difference_implIS3_Lb0ELb0EPiS7_N6thrust23THRUST_200600_302600_NS5minusIiEEEE10hipError_tPvRmT2_T3_mT4_P12ihipStream_tbEUlT_E_NS1_11comp_targetILNS1_3genE9ELNS1_11target_archE1100ELNS1_3gpuE3ELNS1_3repE0EEENS1_30default_config_static_selectorELNS0_4arch9wavefront6targetE1EEEvT1_,comdat
.Lfunc_end108:
	.size	_ZN7rocprim17ROCPRIM_400000_NS6detail17trampoline_kernelINS0_14default_configENS1_35adjacent_difference_config_selectorILb0EiEEZNS1_24adjacent_difference_implIS3_Lb0ELb0EPiS7_N6thrust23THRUST_200600_302600_NS5minusIiEEEE10hipError_tPvRmT2_T3_mT4_P12ihipStream_tbEUlT_E_NS1_11comp_targetILNS1_3genE9ELNS1_11target_archE1100ELNS1_3gpuE3ELNS1_3repE0EEENS1_30default_config_static_selectorELNS0_4arch9wavefront6targetE1EEEvT1_, .Lfunc_end108-_ZN7rocprim17ROCPRIM_400000_NS6detail17trampoline_kernelINS0_14default_configENS1_35adjacent_difference_config_selectorILb0EiEEZNS1_24adjacent_difference_implIS3_Lb0ELb0EPiS7_N6thrust23THRUST_200600_302600_NS5minusIiEEEE10hipError_tPvRmT2_T3_mT4_P12ihipStream_tbEUlT_E_NS1_11comp_targetILNS1_3genE9ELNS1_11target_archE1100ELNS1_3gpuE3ELNS1_3repE0EEENS1_30default_config_static_selectorELNS0_4arch9wavefront6targetE1EEEvT1_
                                        ; -- End function
	.section	.AMDGPU.csdata,"",@progbits
; Kernel info:
; codeLenInByte = 0
; NumSgprs: 4
; NumVgprs: 0
; NumAgprs: 0
; TotalNumVgprs: 0
; ScratchSize: 0
; MemoryBound: 0
; FloatMode: 240
; IeeeMode: 1
; LDSByteSize: 0 bytes/workgroup (compile time only)
; SGPRBlocks: 0
; VGPRBlocks: 0
; NumSGPRsForWavesPerEU: 4
; NumVGPRsForWavesPerEU: 1
; AccumOffset: 4
; Occupancy: 8
; WaveLimiterHint : 0
; COMPUTE_PGM_RSRC2:SCRATCH_EN: 0
; COMPUTE_PGM_RSRC2:USER_SGPR: 6
; COMPUTE_PGM_RSRC2:TRAP_HANDLER: 0
; COMPUTE_PGM_RSRC2:TGID_X_EN: 1
; COMPUTE_PGM_RSRC2:TGID_Y_EN: 0
; COMPUTE_PGM_RSRC2:TGID_Z_EN: 0
; COMPUTE_PGM_RSRC2:TIDIG_COMP_CNT: 0
; COMPUTE_PGM_RSRC3_GFX90A:ACCUM_OFFSET: 0
; COMPUTE_PGM_RSRC3_GFX90A:TG_SPLIT: 0
	.section	.text._ZN7rocprim17ROCPRIM_400000_NS6detail17trampoline_kernelINS0_14default_configENS1_35adjacent_difference_config_selectorILb0EiEEZNS1_24adjacent_difference_implIS3_Lb0ELb0EPiS7_N6thrust23THRUST_200600_302600_NS5minusIiEEEE10hipError_tPvRmT2_T3_mT4_P12ihipStream_tbEUlT_E_NS1_11comp_targetILNS1_3genE8ELNS1_11target_archE1030ELNS1_3gpuE2ELNS1_3repE0EEENS1_30default_config_static_selectorELNS0_4arch9wavefront6targetE1EEEvT1_,"axG",@progbits,_ZN7rocprim17ROCPRIM_400000_NS6detail17trampoline_kernelINS0_14default_configENS1_35adjacent_difference_config_selectorILb0EiEEZNS1_24adjacent_difference_implIS3_Lb0ELb0EPiS7_N6thrust23THRUST_200600_302600_NS5minusIiEEEE10hipError_tPvRmT2_T3_mT4_P12ihipStream_tbEUlT_E_NS1_11comp_targetILNS1_3genE8ELNS1_11target_archE1030ELNS1_3gpuE2ELNS1_3repE0EEENS1_30default_config_static_selectorELNS0_4arch9wavefront6targetE1EEEvT1_,comdat
	.protected	_ZN7rocprim17ROCPRIM_400000_NS6detail17trampoline_kernelINS0_14default_configENS1_35adjacent_difference_config_selectorILb0EiEEZNS1_24adjacent_difference_implIS3_Lb0ELb0EPiS7_N6thrust23THRUST_200600_302600_NS5minusIiEEEE10hipError_tPvRmT2_T3_mT4_P12ihipStream_tbEUlT_E_NS1_11comp_targetILNS1_3genE8ELNS1_11target_archE1030ELNS1_3gpuE2ELNS1_3repE0EEENS1_30default_config_static_selectorELNS0_4arch9wavefront6targetE1EEEvT1_ ; -- Begin function _ZN7rocprim17ROCPRIM_400000_NS6detail17trampoline_kernelINS0_14default_configENS1_35adjacent_difference_config_selectorILb0EiEEZNS1_24adjacent_difference_implIS3_Lb0ELb0EPiS7_N6thrust23THRUST_200600_302600_NS5minusIiEEEE10hipError_tPvRmT2_T3_mT4_P12ihipStream_tbEUlT_E_NS1_11comp_targetILNS1_3genE8ELNS1_11target_archE1030ELNS1_3gpuE2ELNS1_3repE0EEENS1_30default_config_static_selectorELNS0_4arch9wavefront6targetE1EEEvT1_
	.globl	_ZN7rocprim17ROCPRIM_400000_NS6detail17trampoline_kernelINS0_14default_configENS1_35adjacent_difference_config_selectorILb0EiEEZNS1_24adjacent_difference_implIS3_Lb0ELb0EPiS7_N6thrust23THRUST_200600_302600_NS5minusIiEEEE10hipError_tPvRmT2_T3_mT4_P12ihipStream_tbEUlT_E_NS1_11comp_targetILNS1_3genE8ELNS1_11target_archE1030ELNS1_3gpuE2ELNS1_3repE0EEENS1_30default_config_static_selectorELNS0_4arch9wavefront6targetE1EEEvT1_
	.p2align	8
	.type	_ZN7rocprim17ROCPRIM_400000_NS6detail17trampoline_kernelINS0_14default_configENS1_35adjacent_difference_config_selectorILb0EiEEZNS1_24adjacent_difference_implIS3_Lb0ELb0EPiS7_N6thrust23THRUST_200600_302600_NS5minusIiEEEE10hipError_tPvRmT2_T3_mT4_P12ihipStream_tbEUlT_E_NS1_11comp_targetILNS1_3genE8ELNS1_11target_archE1030ELNS1_3gpuE2ELNS1_3repE0EEENS1_30default_config_static_selectorELNS0_4arch9wavefront6targetE1EEEvT1_,@function
_ZN7rocprim17ROCPRIM_400000_NS6detail17trampoline_kernelINS0_14default_configENS1_35adjacent_difference_config_selectorILb0EiEEZNS1_24adjacent_difference_implIS3_Lb0ELb0EPiS7_N6thrust23THRUST_200600_302600_NS5minusIiEEEE10hipError_tPvRmT2_T3_mT4_P12ihipStream_tbEUlT_E_NS1_11comp_targetILNS1_3genE8ELNS1_11target_archE1030ELNS1_3gpuE2ELNS1_3repE0EEENS1_30default_config_static_selectorELNS0_4arch9wavefront6targetE1EEEvT1_: ; @_ZN7rocprim17ROCPRIM_400000_NS6detail17trampoline_kernelINS0_14default_configENS1_35adjacent_difference_config_selectorILb0EiEEZNS1_24adjacent_difference_implIS3_Lb0ELb0EPiS7_N6thrust23THRUST_200600_302600_NS5minusIiEEEE10hipError_tPvRmT2_T3_mT4_P12ihipStream_tbEUlT_E_NS1_11comp_targetILNS1_3genE8ELNS1_11target_archE1030ELNS1_3gpuE2ELNS1_3repE0EEENS1_30default_config_static_selectorELNS0_4arch9wavefront6targetE1EEEvT1_
; %bb.0:
	.section	.rodata,"a",@progbits
	.p2align	6, 0x0
	.amdhsa_kernel _ZN7rocprim17ROCPRIM_400000_NS6detail17trampoline_kernelINS0_14default_configENS1_35adjacent_difference_config_selectorILb0EiEEZNS1_24adjacent_difference_implIS3_Lb0ELb0EPiS7_N6thrust23THRUST_200600_302600_NS5minusIiEEEE10hipError_tPvRmT2_T3_mT4_P12ihipStream_tbEUlT_E_NS1_11comp_targetILNS1_3genE8ELNS1_11target_archE1030ELNS1_3gpuE2ELNS1_3repE0EEENS1_30default_config_static_selectorELNS0_4arch9wavefront6targetE1EEEvT1_
		.amdhsa_group_segment_fixed_size 0
		.amdhsa_private_segment_fixed_size 0
		.amdhsa_kernarg_size 56
		.amdhsa_user_sgpr_count 6
		.amdhsa_user_sgpr_private_segment_buffer 1
		.amdhsa_user_sgpr_dispatch_ptr 0
		.amdhsa_user_sgpr_queue_ptr 0
		.amdhsa_user_sgpr_kernarg_segment_ptr 1
		.amdhsa_user_sgpr_dispatch_id 0
		.amdhsa_user_sgpr_flat_scratch_init 0
		.amdhsa_user_sgpr_kernarg_preload_length 0
		.amdhsa_user_sgpr_kernarg_preload_offset 0
		.amdhsa_user_sgpr_private_segment_size 0
		.amdhsa_uses_dynamic_stack 0
		.amdhsa_system_sgpr_private_segment_wavefront_offset 0
		.amdhsa_system_sgpr_workgroup_id_x 1
		.amdhsa_system_sgpr_workgroup_id_y 0
		.amdhsa_system_sgpr_workgroup_id_z 0
		.amdhsa_system_sgpr_workgroup_info 0
		.amdhsa_system_vgpr_workitem_id 0
		.amdhsa_next_free_vgpr 1
		.amdhsa_next_free_sgpr 0
		.amdhsa_accum_offset 4
		.amdhsa_reserve_vcc 0
		.amdhsa_reserve_flat_scratch 0
		.amdhsa_float_round_mode_32 0
		.amdhsa_float_round_mode_16_64 0
		.amdhsa_float_denorm_mode_32 3
		.amdhsa_float_denorm_mode_16_64 3
		.amdhsa_dx10_clamp 1
		.amdhsa_ieee_mode 1
		.amdhsa_fp16_overflow 0
		.amdhsa_tg_split 0
		.amdhsa_exception_fp_ieee_invalid_op 0
		.amdhsa_exception_fp_denorm_src 0
		.amdhsa_exception_fp_ieee_div_zero 0
		.amdhsa_exception_fp_ieee_overflow 0
		.amdhsa_exception_fp_ieee_underflow 0
		.amdhsa_exception_fp_ieee_inexact 0
		.amdhsa_exception_int_div_zero 0
	.end_amdhsa_kernel
	.section	.text._ZN7rocprim17ROCPRIM_400000_NS6detail17trampoline_kernelINS0_14default_configENS1_35adjacent_difference_config_selectorILb0EiEEZNS1_24adjacent_difference_implIS3_Lb0ELb0EPiS7_N6thrust23THRUST_200600_302600_NS5minusIiEEEE10hipError_tPvRmT2_T3_mT4_P12ihipStream_tbEUlT_E_NS1_11comp_targetILNS1_3genE8ELNS1_11target_archE1030ELNS1_3gpuE2ELNS1_3repE0EEENS1_30default_config_static_selectorELNS0_4arch9wavefront6targetE1EEEvT1_,"axG",@progbits,_ZN7rocprim17ROCPRIM_400000_NS6detail17trampoline_kernelINS0_14default_configENS1_35adjacent_difference_config_selectorILb0EiEEZNS1_24adjacent_difference_implIS3_Lb0ELb0EPiS7_N6thrust23THRUST_200600_302600_NS5minusIiEEEE10hipError_tPvRmT2_T3_mT4_P12ihipStream_tbEUlT_E_NS1_11comp_targetILNS1_3genE8ELNS1_11target_archE1030ELNS1_3gpuE2ELNS1_3repE0EEENS1_30default_config_static_selectorELNS0_4arch9wavefront6targetE1EEEvT1_,comdat
.Lfunc_end109:
	.size	_ZN7rocprim17ROCPRIM_400000_NS6detail17trampoline_kernelINS0_14default_configENS1_35adjacent_difference_config_selectorILb0EiEEZNS1_24adjacent_difference_implIS3_Lb0ELb0EPiS7_N6thrust23THRUST_200600_302600_NS5minusIiEEEE10hipError_tPvRmT2_T3_mT4_P12ihipStream_tbEUlT_E_NS1_11comp_targetILNS1_3genE8ELNS1_11target_archE1030ELNS1_3gpuE2ELNS1_3repE0EEENS1_30default_config_static_selectorELNS0_4arch9wavefront6targetE1EEEvT1_, .Lfunc_end109-_ZN7rocprim17ROCPRIM_400000_NS6detail17trampoline_kernelINS0_14default_configENS1_35adjacent_difference_config_selectorILb0EiEEZNS1_24adjacent_difference_implIS3_Lb0ELb0EPiS7_N6thrust23THRUST_200600_302600_NS5minusIiEEEE10hipError_tPvRmT2_T3_mT4_P12ihipStream_tbEUlT_E_NS1_11comp_targetILNS1_3genE8ELNS1_11target_archE1030ELNS1_3gpuE2ELNS1_3repE0EEENS1_30default_config_static_selectorELNS0_4arch9wavefront6targetE1EEEvT1_
                                        ; -- End function
	.section	.AMDGPU.csdata,"",@progbits
; Kernel info:
; codeLenInByte = 0
; NumSgprs: 4
; NumVgprs: 0
; NumAgprs: 0
; TotalNumVgprs: 0
; ScratchSize: 0
; MemoryBound: 0
; FloatMode: 240
; IeeeMode: 1
; LDSByteSize: 0 bytes/workgroup (compile time only)
; SGPRBlocks: 0
; VGPRBlocks: 0
; NumSGPRsForWavesPerEU: 4
; NumVGPRsForWavesPerEU: 1
; AccumOffset: 4
; Occupancy: 8
; WaveLimiterHint : 0
; COMPUTE_PGM_RSRC2:SCRATCH_EN: 0
; COMPUTE_PGM_RSRC2:USER_SGPR: 6
; COMPUTE_PGM_RSRC2:TRAP_HANDLER: 0
; COMPUTE_PGM_RSRC2:TGID_X_EN: 1
; COMPUTE_PGM_RSRC2:TGID_Y_EN: 0
; COMPUTE_PGM_RSRC2:TGID_Z_EN: 0
; COMPUTE_PGM_RSRC2:TIDIG_COMP_CNT: 0
; COMPUTE_PGM_RSRC3_GFX90A:ACCUM_OFFSET: 0
; COMPUTE_PGM_RSRC3_GFX90A:TG_SPLIT: 0
	.section	.text._ZN7rocprim17ROCPRIM_400000_NS6detail17trampoline_kernelINS0_14default_configENS1_25transform_config_selectorIiLb0EEEZNS1_14transform_implILb0ES3_S5_NS0_18transform_iteratorINS0_17counting_iteratorImlEEZNS1_24adjacent_difference_implIS3_Lb1ELb0EPiSB_N6thrust23THRUST_200600_302600_NS5minusIiEEEE10hipError_tPvRmT2_T3_mT4_P12ihipStream_tbEUlmE_iEESB_NS0_8identityIvEEEESG_SJ_SK_mSL_SN_bEUlT_E_NS1_11comp_targetILNS1_3genE0ELNS1_11target_archE4294967295ELNS1_3gpuE0ELNS1_3repE0EEENS1_30default_config_static_selectorELNS0_4arch9wavefront6targetE1EEEvT1_,"axG",@progbits,_ZN7rocprim17ROCPRIM_400000_NS6detail17trampoline_kernelINS0_14default_configENS1_25transform_config_selectorIiLb0EEEZNS1_14transform_implILb0ES3_S5_NS0_18transform_iteratorINS0_17counting_iteratorImlEEZNS1_24adjacent_difference_implIS3_Lb1ELb0EPiSB_N6thrust23THRUST_200600_302600_NS5minusIiEEEE10hipError_tPvRmT2_T3_mT4_P12ihipStream_tbEUlmE_iEESB_NS0_8identityIvEEEESG_SJ_SK_mSL_SN_bEUlT_E_NS1_11comp_targetILNS1_3genE0ELNS1_11target_archE4294967295ELNS1_3gpuE0ELNS1_3repE0EEENS1_30default_config_static_selectorELNS0_4arch9wavefront6targetE1EEEvT1_,comdat
	.protected	_ZN7rocprim17ROCPRIM_400000_NS6detail17trampoline_kernelINS0_14default_configENS1_25transform_config_selectorIiLb0EEEZNS1_14transform_implILb0ES3_S5_NS0_18transform_iteratorINS0_17counting_iteratorImlEEZNS1_24adjacent_difference_implIS3_Lb1ELb0EPiSB_N6thrust23THRUST_200600_302600_NS5minusIiEEEE10hipError_tPvRmT2_T3_mT4_P12ihipStream_tbEUlmE_iEESB_NS0_8identityIvEEEESG_SJ_SK_mSL_SN_bEUlT_E_NS1_11comp_targetILNS1_3genE0ELNS1_11target_archE4294967295ELNS1_3gpuE0ELNS1_3repE0EEENS1_30default_config_static_selectorELNS0_4arch9wavefront6targetE1EEEvT1_ ; -- Begin function _ZN7rocprim17ROCPRIM_400000_NS6detail17trampoline_kernelINS0_14default_configENS1_25transform_config_selectorIiLb0EEEZNS1_14transform_implILb0ES3_S5_NS0_18transform_iteratorINS0_17counting_iteratorImlEEZNS1_24adjacent_difference_implIS3_Lb1ELb0EPiSB_N6thrust23THRUST_200600_302600_NS5minusIiEEEE10hipError_tPvRmT2_T3_mT4_P12ihipStream_tbEUlmE_iEESB_NS0_8identityIvEEEESG_SJ_SK_mSL_SN_bEUlT_E_NS1_11comp_targetILNS1_3genE0ELNS1_11target_archE4294967295ELNS1_3gpuE0ELNS1_3repE0EEENS1_30default_config_static_selectorELNS0_4arch9wavefront6targetE1EEEvT1_
	.globl	_ZN7rocprim17ROCPRIM_400000_NS6detail17trampoline_kernelINS0_14default_configENS1_25transform_config_selectorIiLb0EEEZNS1_14transform_implILb0ES3_S5_NS0_18transform_iteratorINS0_17counting_iteratorImlEEZNS1_24adjacent_difference_implIS3_Lb1ELb0EPiSB_N6thrust23THRUST_200600_302600_NS5minusIiEEEE10hipError_tPvRmT2_T3_mT4_P12ihipStream_tbEUlmE_iEESB_NS0_8identityIvEEEESG_SJ_SK_mSL_SN_bEUlT_E_NS1_11comp_targetILNS1_3genE0ELNS1_11target_archE4294967295ELNS1_3gpuE0ELNS1_3repE0EEENS1_30default_config_static_selectorELNS0_4arch9wavefront6targetE1EEEvT1_
	.p2align	8
	.type	_ZN7rocprim17ROCPRIM_400000_NS6detail17trampoline_kernelINS0_14default_configENS1_25transform_config_selectorIiLb0EEEZNS1_14transform_implILb0ES3_S5_NS0_18transform_iteratorINS0_17counting_iteratorImlEEZNS1_24adjacent_difference_implIS3_Lb1ELb0EPiSB_N6thrust23THRUST_200600_302600_NS5minusIiEEEE10hipError_tPvRmT2_T3_mT4_P12ihipStream_tbEUlmE_iEESB_NS0_8identityIvEEEESG_SJ_SK_mSL_SN_bEUlT_E_NS1_11comp_targetILNS1_3genE0ELNS1_11target_archE4294967295ELNS1_3gpuE0ELNS1_3repE0EEENS1_30default_config_static_selectorELNS0_4arch9wavefront6targetE1EEEvT1_,@function
_ZN7rocprim17ROCPRIM_400000_NS6detail17trampoline_kernelINS0_14default_configENS1_25transform_config_selectorIiLb0EEEZNS1_14transform_implILb0ES3_S5_NS0_18transform_iteratorINS0_17counting_iteratorImlEEZNS1_24adjacent_difference_implIS3_Lb1ELb0EPiSB_N6thrust23THRUST_200600_302600_NS5minusIiEEEE10hipError_tPvRmT2_T3_mT4_P12ihipStream_tbEUlmE_iEESB_NS0_8identityIvEEEESG_SJ_SK_mSL_SN_bEUlT_E_NS1_11comp_targetILNS1_3genE0ELNS1_11target_archE4294967295ELNS1_3gpuE0ELNS1_3repE0EEENS1_30default_config_static_selectorELNS0_4arch9wavefront6targetE1EEEvT1_: ; @_ZN7rocprim17ROCPRIM_400000_NS6detail17trampoline_kernelINS0_14default_configENS1_25transform_config_selectorIiLb0EEEZNS1_14transform_implILb0ES3_S5_NS0_18transform_iteratorINS0_17counting_iteratorImlEEZNS1_24adjacent_difference_implIS3_Lb1ELb0EPiSB_N6thrust23THRUST_200600_302600_NS5minusIiEEEE10hipError_tPvRmT2_T3_mT4_P12ihipStream_tbEUlmE_iEESB_NS0_8identityIvEEEESG_SJ_SK_mSL_SN_bEUlT_E_NS1_11comp_targetILNS1_3genE0ELNS1_11target_archE4294967295ELNS1_3gpuE0ELNS1_3repE0EEENS1_30default_config_static_selectorELNS0_4arch9wavefront6targetE1EEEvT1_
; %bb.0:
	.section	.rodata,"a",@progbits
	.p2align	6, 0x0
	.amdhsa_kernel _ZN7rocprim17ROCPRIM_400000_NS6detail17trampoline_kernelINS0_14default_configENS1_25transform_config_selectorIiLb0EEEZNS1_14transform_implILb0ES3_S5_NS0_18transform_iteratorINS0_17counting_iteratorImlEEZNS1_24adjacent_difference_implIS3_Lb1ELb0EPiSB_N6thrust23THRUST_200600_302600_NS5minusIiEEEE10hipError_tPvRmT2_T3_mT4_P12ihipStream_tbEUlmE_iEESB_NS0_8identityIvEEEESG_SJ_SK_mSL_SN_bEUlT_E_NS1_11comp_targetILNS1_3genE0ELNS1_11target_archE4294967295ELNS1_3gpuE0ELNS1_3repE0EEENS1_30default_config_static_selectorELNS0_4arch9wavefront6targetE1EEEvT1_
		.amdhsa_group_segment_fixed_size 0
		.amdhsa_private_segment_fixed_size 0
		.amdhsa_kernarg_size 56
		.amdhsa_user_sgpr_count 6
		.amdhsa_user_sgpr_private_segment_buffer 1
		.amdhsa_user_sgpr_dispatch_ptr 0
		.amdhsa_user_sgpr_queue_ptr 0
		.amdhsa_user_sgpr_kernarg_segment_ptr 1
		.amdhsa_user_sgpr_dispatch_id 0
		.amdhsa_user_sgpr_flat_scratch_init 0
		.amdhsa_user_sgpr_kernarg_preload_length 0
		.amdhsa_user_sgpr_kernarg_preload_offset 0
		.amdhsa_user_sgpr_private_segment_size 0
		.amdhsa_uses_dynamic_stack 0
		.amdhsa_system_sgpr_private_segment_wavefront_offset 0
		.amdhsa_system_sgpr_workgroup_id_x 1
		.amdhsa_system_sgpr_workgroup_id_y 0
		.amdhsa_system_sgpr_workgroup_id_z 0
		.amdhsa_system_sgpr_workgroup_info 0
		.amdhsa_system_vgpr_workitem_id 0
		.amdhsa_next_free_vgpr 1
		.amdhsa_next_free_sgpr 0
		.amdhsa_accum_offset 4
		.amdhsa_reserve_vcc 0
		.amdhsa_reserve_flat_scratch 0
		.amdhsa_float_round_mode_32 0
		.amdhsa_float_round_mode_16_64 0
		.amdhsa_float_denorm_mode_32 3
		.amdhsa_float_denorm_mode_16_64 3
		.amdhsa_dx10_clamp 1
		.amdhsa_ieee_mode 1
		.amdhsa_fp16_overflow 0
		.amdhsa_tg_split 0
		.amdhsa_exception_fp_ieee_invalid_op 0
		.amdhsa_exception_fp_denorm_src 0
		.amdhsa_exception_fp_ieee_div_zero 0
		.amdhsa_exception_fp_ieee_overflow 0
		.amdhsa_exception_fp_ieee_underflow 0
		.amdhsa_exception_fp_ieee_inexact 0
		.amdhsa_exception_int_div_zero 0
	.end_amdhsa_kernel
	.section	.text._ZN7rocprim17ROCPRIM_400000_NS6detail17trampoline_kernelINS0_14default_configENS1_25transform_config_selectorIiLb0EEEZNS1_14transform_implILb0ES3_S5_NS0_18transform_iteratorINS0_17counting_iteratorImlEEZNS1_24adjacent_difference_implIS3_Lb1ELb0EPiSB_N6thrust23THRUST_200600_302600_NS5minusIiEEEE10hipError_tPvRmT2_T3_mT4_P12ihipStream_tbEUlmE_iEESB_NS0_8identityIvEEEESG_SJ_SK_mSL_SN_bEUlT_E_NS1_11comp_targetILNS1_3genE0ELNS1_11target_archE4294967295ELNS1_3gpuE0ELNS1_3repE0EEENS1_30default_config_static_selectorELNS0_4arch9wavefront6targetE1EEEvT1_,"axG",@progbits,_ZN7rocprim17ROCPRIM_400000_NS6detail17trampoline_kernelINS0_14default_configENS1_25transform_config_selectorIiLb0EEEZNS1_14transform_implILb0ES3_S5_NS0_18transform_iteratorINS0_17counting_iteratorImlEEZNS1_24adjacent_difference_implIS3_Lb1ELb0EPiSB_N6thrust23THRUST_200600_302600_NS5minusIiEEEE10hipError_tPvRmT2_T3_mT4_P12ihipStream_tbEUlmE_iEESB_NS0_8identityIvEEEESG_SJ_SK_mSL_SN_bEUlT_E_NS1_11comp_targetILNS1_3genE0ELNS1_11target_archE4294967295ELNS1_3gpuE0ELNS1_3repE0EEENS1_30default_config_static_selectorELNS0_4arch9wavefront6targetE1EEEvT1_,comdat
.Lfunc_end110:
	.size	_ZN7rocprim17ROCPRIM_400000_NS6detail17trampoline_kernelINS0_14default_configENS1_25transform_config_selectorIiLb0EEEZNS1_14transform_implILb0ES3_S5_NS0_18transform_iteratorINS0_17counting_iteratorImlEEZNS1_24adjacent_difference_implIS3_Lb1ELb0EPiSB_N6thrust23THRUST_200600_302600_NS5minusIiEEEE10hipError_tPvRmT2_T3_mT4_P12ihipStream_tbEUlmE_iEESB_NS0_8identityIvEEEESG_SJ_SK_mSL_SN_bEUlT_E_NS1_11comp_targetILNS1_3genE0ELNS1_11target_archE4294967295ELNS1_3gpuE0ELNS1_3repE0EEENS1_30default_config_static_selectorELNS0_4arch9wavefront6targetE1EEEvT1_, .Lfunc_end110-_ZN7rocprim17ROCPRIM_400000_NS6detail17trampoline_kernelINS0_14default_configENS1_25transform_config_selectorIiLb0EEEZNS1_14transform_implILb0ES3_S5_NS0_18transform_iteratorINS0_17counting_iteratorImlEEZNS1_24adjacent_difference_implIS3_Lb1ELb0EPiSB_N6thrust23THRUST_200600_302600_NS5minusIiEEEE10hipError_tPvRmT2_T3_mT4_P12ihipStream_tbEUlmE_iEESB_NS0_8identityIvEEEESG_SJ_SK_mSL_SN_bEUlT_E_NS1_11comp_targetILNS1_3genE0ELNS1_11target_archE4294967295ELNS1_3gpuE0ELNS1_3repE0EEENS1_30default_config_static_selectorELNS0_4arch9wavefront6targetE1EEEvT1_
                                        ; -- End function
	.section	.AMDGPU.csdata,"",@progbits
; Kernel info:
; codeLenInByte = 0
; NumSgprs: 4
; NumVgprs: 0
; NumAgprs: 0
; TotalNumVgprs: 0
; ScratchSize: 0
; MemoryBound: 0
; FloatMode: 240
; IeeeMode: 1
; LDSByteSize: 0 bytes/workgroup (compile time only)
; SGPRBlocks: 0
; VGPRBlocks: 0
; NumSGPRsForWavesPerEU: 4
; NumVGPRsForWavesPerEU: 1
; AccumOffset: 4
; Occupancy: 8
; WaveLimiterHint : 0
; COMPUTE_PGM_RSRC2:SCRATCH_EN: 0
; COMPUTE_PGM_RSRC2:USER_SGPR: 6
; COMPUTE_PGM_RSRC2:TRAP_HANDLER: 0
; COMPUTE_PGM_RSRC2:TGID_X_EN: 1
; COMPUTE_PGM_RSRC2:TGID_Y_EN: 0
; COMPUTE_PGM_RSRC2:TGID_Z_EN: 0
; COMPUTE_PGM_RSRC2:TIDIG_COMP_CNT: 0
; COMPUTE_PGM_RSRC3_GFX90A:ACCUM_OFFSET: 0
; COMPUTE_PGM_RSRC3_GFX90A:TG_SPLIT: 0
	.section	.text._ZN7rocprim17ROCPRIM_400000_NS6detail17trampoline_kernelINS0_14default_configENS1_25transform_config_selectorIiLb0EEEZNS1_14transform_implILb0ES3_S5_NS0_18transform_iteratorINS0_17counting_iteratorImlEEZNS1_24adjacent_difference_implIS3_Lb1ELb0EPiSB_N6thrust23THRUST_200600_302600_NS5minusIiEEEE10hipError_tPvRmT2_T3_mT4_P12ihipStream_tbEUlmE_iEESB_NS0_8identityIvEEEESG_SJ_SK_mSL_SN_bEUlT_E_NS1_11comp_targetILNS1_3genE5ELNS1_11target_archE942ELNS1_3gpuE9ELNS1_3repE0EEENS1_30default_config_static_selectorELNS0_4arch9wavefront6targetE1EEEvT1_,"axG",@progbits,_ZN7rocprim17ROCPRIM_400000_NS6detail17trampoline_kernelINS0_14default_configENS1_25transform_config_selectorIiLb0EEEZNS1_14transform_implILb0ES3_S5_NS0_18transform_iteratorINS0_17counting_iteratorImlEEZNS1_24adjacent_difference_implIS3_Lb1ELb0EPiSB_N6thrust23THRUST_200600_302600_NS5minusIiEEEE10hipError_tPvRmT2_T3_mT4_P12ihipStream_tbEUlmE_iEESB_NS0_8identityIvEEEESG_SJ_SK_mSL_SN_bEUlT_E_NS1_11comp_targetILNS1_3genE5ELNS1_11target_archE942ELNS1_3gpuE9ELNS1_3repE0EEENS1_30default_config_static_selectorELNS0_4arch9wavefront6targetE1EEEvT1_,comdat
	.protected	_ZN7rocprim17ROCPRIM_400000_NS6detail17trampoline_kernelINS0_14default_configENS1_25transform_config_selectorIiLb0EEEZNS1_14transform_implILb0ES3_S5_NS0_18transform_iteratorINS0_17counting_iteratorImlEEZNS1_24adjacent_difference_implIS3_Lb1ELb0EPiSB_N6thrust23THRUST_200600_302600_NS5minusIiEEEE10hipError_tPvRmT2_T3_mT4_P12ihipStream_tbEUlmE_iEESB_NS0_8identityIvEEEESG_SJ_SK_mSL_SN_bEUlT_E_NS1_11comp_targetILNS1_3genE5ELNS1_11target_archE942ELNS1_3gpuE9ELNS1_3repE0EEENS1_30default_config_static_selectorELNS0_4arch9wavefront6targetE1EEEvT1_ ; -- Begin function _ZN7rocprim17ROCPRIM_400000_NS6detail17trampoline_kernelINS0_14default_configENS1_25transform_config_selectorIiLb0EEEZNS1_14transform_implILb0ES3_S5_NS0_18transform_iteratorINS0_17counting_iteratorImlEEZNS1_24adjacent_difference_implIS3_Lb1ELb0EPiSB_N6thrust23THRUST_200600_302600_NS5minusIiEEEE10hipError_tPvRmT2_T3_mT4_P12ihipStream_tbEUlmE_iEESB_NS0_8identityIvEEEESG_SJ_SK_mSL_SN_bEUlT_E_NS1_11comp_targetILNS1_3genE5ELNS1_11target_archE942ELNS1_3gpuE9ELNS1_3repE0EEENS1_30default_config_static_selectorELNS0_4arch9wavefront6targetE1EEEvT1_
	.globl	_ZN7rocprim17ROCPRIM_400000_NS6detail17trampoline_kernelINS0_14default_configENS1_25transform_config_selectorIiLb0EEEZNS1_14transform_implILb0ES3_S5_NS0_18transform_iteratorINS0_17counting_iteratorImlEEZNS1_24adjacent_difference_implIS3_Lb1ELb0EPiSB_N6thrust23THRUST_200600_302600_NS5minusIiEEEE10hipError_tPvRmT2_T3_mT4_P12ihipStream_tbEUlmE_iEESB_NS0_8identityIvEEEESG_SJ_SK_mSL_SN_bEUlT_E_NS1_11comp_targetILNS1_3genE5ELNS1_11target_archE942ELNS1_3gpuE9ELNS1_3repE0EEENS1_30default_config_static_selectorELNS0_4arch9wavefront6targetE1EEEvT1_
	.p2align	8
	.type	_ZN7rocprim17ROCPRIM_400000_NS6detail17trampoline_kernelINS0_14default_configENS1_25transform_config_selectorIiLb0EEEZNS1_14transform_implILb0ES3_S5_NS0_18transform_iteratorINS0_17counting_iteratorImlEEZNS1_24adjacent_difference_implIS3_Lb1ELb0EPiSB_N6thrust23THRUST_200600_302600_NS5minusIiEEEE10hipError_tPvRmT2_T3_mT4_P12ihipStream_tbEUlmE_iEESB_NS0_8identityIvEEEESG_SJ_SK_mSL_SN_bEUlT_E_NS1_11comp_targetILNS1_3genE5ELNS1_11target_archE942ELNS1_3gpuE9ELNS1_3repE0EEENS1_30default_config_static_selectorELNS0_4arch9wavefront6targetE1EEEvT1_,@function
_ZN7rocprim17ROCPRIM_400000_NS6detail17trampoline_kernelINS0_14default_configENS1_25transform_config_selectorIiLb0EEEZNS1_14transform_implILb0ES3_S5_NS0_18transform_iteratorINS0_17counting_iteratorImlEEZNS1_24adjacent_difference_implIS3_Lb1ELb0EPiSB_N6thrust23THRUST_200600_302600_NS5minusIiEEEE10hipError_tPvRmT2_T3_mT4_P12ihipStream_tbEUlmE_iEESB_NS0_8identityIvEEEESG_SJ_SK_mSL_SN_bEUlT_E_NS1_11comp_targetILNS1_3genE5ELNS1_11target_archE942ELNS1_3gpuE9ELNS1_3repE0EEENS1_30default_config_static_selectorELNS0_4arch9wavefront6targetE1EEEvT1_: ; @_ZN7rocprim17ROCPRIM_400000_NS6detail17trampoline_kernelINS0_14default_configENS1_25transform_config_selectorIiLb0EEEZNS1_14transform_implILb0ES3_S5_NS0_18transform_iteratorINS0_17counting_iteratorImlEEZNS1_24adjacent_difference_implIS3_Lb1ELb0EPiSB_N6thrust23THRUST_200600_302600_NS5minusIiEEEE10hipError_tPvRmT2_T3_mT4_P12ihipStream_tbEUlmE_iEESB_NS0_8identityIvEEEESG_SJ_SK_mSL_SN_bEUlT_E_NS1_11comp_targetILNS1_3genE5ELNS1_11target_archE942ELNS1_3gpuE9ELNS1_3repE0EEENS1_30default_config_static_selectorELNS0_4arch9wavefront6targetE1EEEvT1_
; %bb.0:
	.section	.rodata,"a",@progbits
	.p2align	6, 0x0
	.amdhsa_kernel _ZN7rocprim17ROCPRIM_400000_NS6detail17trampoline_kernelINS0_14default_configENS1_25transform_config_selectorIiLb0EEEZNS1_14transform_implILb0ES3_S5_NS0_18transform_iteratorINS0_17counting_iteratorImlEEZNS1_24adjacent_difference_implIS3_Lb1ELb0EPiSB_N6thrust23THRUST_200600_302600_NS5minusIiEEEE10hipError_tPvRmT2_T3_mT4_P12ihipStream_tbEUlmE_iEESB_NS0_8identityIvEEEESG_SJ_SK_mSL_SN_bEUlT_E_NS1_11comp_targetILNS1_3genE5ELNS1_11target_archE942ELNS1_3gpuE9ELNS1_3repE0EEENS1_30default_config_static_selectorELNS0_4arch9wavefront6targetE1EEEvT1_
		.amdhsa_group_segment_fixed_size 0
		.amdhsa_private_segment_fixed_size 0
		.amdhsa_kernarg_size 56
		.amdhsa_user_sgpr_count 6
		.amdhsa_user_sgpr_private_segment_buffer 1
		.amdhsa_user_sgpr_dispatch_ptr 0
		.amdhsa_user_sgpr_queue_ptr 0
		.amdhsa_user_sgpr_kernarg_segment_ptr 1
		.amdhsa_user_sgpr_dispatch_id 0
		.amdhsa_user_sgpr_flat_scratch_init 0
		.amdhsa_user_sgpr_kernarg_preload_length 0
		.amdhsa_user_sgpr_kernarg_preload_offset 0
		.amdhsa_user_sgpr_private_segment_size 0
		.amdhsa_uses_dynamic_stack 0
		.amdhsa_system_sgpr_private_segment_wavefront_offset 0
		.amdhsa_system_sgpr_workgroup_id_x 1
		.amdhsa_system_sgpr_workgroup_id_y 0
		.amdhsa_system_sgpr_workgroup_id_z 0
		.amdhsa_system_sgpr_workgroup_info 0
		.amdhsa_system_vgpr_workitem_id 0
		.amdhsa_next_free_vgpr 1
		.amdhsa_next_free_sgpr 0
		.amdhsa_accum_offset 4
		.amdhsa_reserve_vcc 0
		.amdhsa_reserve_flat_scratch 0
		.amdhsa_float_round_mode_32 0
		.amdhsa_float_round_mode_16_64 0
		.amdhsa_float_denorm_mode_32 3
		.amdhsa_float_denorm_mode_16_64 3
		.amdhsa_dx10_clamp 1
		.amdhsa_ieee_mode 1
		.amdhsa_fp16_overflow 0
		.amdhsa_tg_split 0
		.amdhsa_exception_fp_ieee_invalid_op 0
		.amdhsa_exception_fp_denorm_src 0
		.amdhsa_exception_fp_ieee_div_zero 0
		.amdhsa_exception_fp_ieee_overflow 0
		.amdhsa_exception_fp_ieee_underflow 0
		.amdhsa_exception_fp_ieee_inexact 0
		.amdhsa_exception_int_div_zero 0
	.end_amdhsa_kernel
	.section	.text._ZN7rocprim17ROCPRIM_400000_NS6detail17trampoline_kernelINS0_14default_configENS1_25transform_config_selectorIiLb0EEEZNS1_14transform_implILb0ES3_S5_NS0_18transform_iteratorINS0_17counting_iteratorImlEEZNS1_24adjacent_difference_implIS3_Lb1ELb0EPiSB_N6thrust23THRUST_200600_302600_NS5minusIiEEEE10hipError_tPvRmT2_T3_mT4_P12ihipStream_tbEUlmE_iEESB_NS0_8identityIvEEEESG_SJ_SK_mSL_SN_bEUlT_E_NS1_11comp_targetILNS1_3genE5ELNS1_11target_archE942ELNS1_3gpuE9ELNS1_3repE0EEENS1_30default_config_static_selectorELNS0_4arch9wavefront6targetE1EEEvT1_,"axG",@progbits,_ZN7rocprim17ROCPRIM_400000_NS6detail17trampoline_kernelINS0_14default_configENS1_25transform_config_selectorIiLb0EEEZNS1_14transform_implILb0ES3_S5_NS0_18transform_iteratorINS0_17counting_iteratorImlEEZNS1_24adjacent_difference_implIS3_Lb1ELb0EPiSB_N6thrust23THRUST_200600_302600_NS5minusIiEEEE10hipError_tPvRmT2_T3_mT4_P12ihipStream_tbEUlmE_iEESB_NS0_8identityIvEEEESG_SJ_SK_mSL_SN_bEUlT_E_NS1_11comp_targetILNS1_3genE5ELNS1_11target_archE942ELNS1_3gpuE9ELNS1_3repE0EEENS1_30default_config_static_selectorELNS0_4arch9wavefront6targetE1EEEvT1_,comdat
.Lfunc_end111:
	.size	_ZN7rocprim17ROCPRIM_400000_NS6detail17trampoline_kernelINS0_14default_configENS1_25transform_config_selectorIiLb0EEEZNS1_14transform_implILb0ES3_S5_NS0_18transform_iteratorINS0_17counting_iteratorImlEEZNS1_24adjacent_difference_implIS3_Lb1ELb0EPiSB_N6thrust23THRUST_200600_302600_NS5minusIiEEEE10hipError_tPvRmT2_T3_mT4_P12ihipStream_tbEUlmE_iEESB_NS0_8identityIvEEEESG_SJ_SK_mSL_SN_bEUlT_E_NS1_11comp_targetILNS1_3genE5ELNS1_11target_archE942ELNS1_3gpuE9ELNS1_3repE0EEENS1_30default_config_static_selectorELNS0_4arch9wavefront6targetE1EEEvT1_, .Lfunc_end111-_ZN7rocprim17ROCPRIM_400000_NS6detail17trampoline_kernelINS0_14default_configENS1_25transform_config_selectorIiLb0EEEZNS1_14transform_implILb0ES3_S5_NS0_18transform_iteratorINS0_17counting_iteratorImlEEZNS1_24adjacent_difference_implIS3_Lb1ELb0EPiSB_N6thrust23THRUST_200600_302600_NS5minusIiEEEE10hipError_tPvRmT2_T3_mT4_P12ihipStream_tbEUlmE_iEESB_NS0_8identityIvEEEESG_SJ_SK_mSL_SN_bEUlT_E_NS1_11comp_targetILNS1_3genE5ELNS1_11target_archE942ELNS1_3gpuE9ELNS1_3repE0EEENS1_30default_config_static_selectorELNS0_4arch9wavefront6targetE1EEEvT1_
                                        ; -- End function
	.section	.AMDGPU.csdata,"",@progbits
; Kernel info:
; codeLenInByte = 0
; NumSgprs: 4
; NumVgprs: 0
; NumAgprs: 0
; TotalNumVgprs: 0
; ScratchSize: 0
; MemoryBound: 0
; FloatMode: 240
; IeeeMode: 1
; LDSByteSize: 0 bytes/workgroup (compile time only)
; SGPRBlocks: 0
; VGPRBlocks: 0
; NumSGPRsForWavesPerEU: 4
; NumVGPRsForWavesPerEU: 1
; AccumOffset: 4
; Occupancy: 8
; WaveLimiterHint : 0
; COMPUTE_PGM_RSRC2:SCRATCH_EN: 0
; COMPUTE_PGM_RSRC2:USER_SGPR: 6
; COMPUTE_PGM_RSRC2:TRAP_HANDLER: 0
; COMPUTE_PGM_RSRC2:TGID_X_EN: 1
; COMPUTE_PGM_RSRC2:TGID_Y_EN: 0
; COMPUTE_PGM_RSRC2:TGID_Z_EN: 0
; COMPUTE_PGM_RSRC2:TIDIG_COMP_CNT: 0
; COMPUTE_PGM_RSRC3_GFX90A:ACCUM_OFFSET: 0
; COMPUTE_PGM_RSRC3_GFX90A:TG_SPLIT: 0
	.section	.text._ZN7rocprim17ROCPRIM_400000_NS6detail17trampoline_kernelINS0_14default_configENS1_25transform_config_selectorIiLb0EEEZNS1_14transform_implILb0ES3_S5_NS0_18transform_iteratorINS0_17counting_iteratorImlEEZNS1_24adjacent_difference_implIS3_Lb1ELb0EPiSB_N6thrust23THRUST_200600_302600_NS5minusIiEEEE10hipError_tPvRmT2_T3_mT4_P12ihipStream_tbEUlmE_iEESB_NS0_8identityIvEEEESG_SJ_SK_mSL_SN_bEUlT_E_NS1_11comp_targetILNS1_3genE4ELNS1_11target_archE910ELNS1_3gpuE8ELNS1_3repE0EEENS1_30default_config_static_selectorELNS0_4arch9wavefront6targetE1EEEvT1_,"axG",@progbits,_ZN7rocprim17ROCPRIM_400000_NS6detail17trampoline_kernelINS0_14default_configENS1_25transform_config_selectorIiLb0EEEZNS1_14transform_implILb0ES3_S5_NS0_18transform_iteratorINS0_17counting_iteratorImlEEZNS1_24adjacent_difference_implIS3_Lb1ELb0EPiSB_N6thrust23THRUST_200600_302600_NS5minusIiEEEE10hipError_tPvRmT2_T3_mT4_P12ihipStream_tbEUlmE_iEESB_NS0_8identityIvEEEESG_SJ_SK_mSL_SN_bEUlT_E_NS1_11comp_targetILNS1_3genE4ELNS1_11target_archE910ELNS1_3gpuE8ELNS1_3repE0EEENS1_30default_config_static_selectorELNS0_4arch9wavefront6targetE1EEEvT1_,comdat
	.protected	_ZN7rocprim17ROCPRIM_400000_NS6detail17trampoline_kernelINS0_14default_configENS1_25transform_config_selectorIiLb0EEEZNS1_14transform_implILb0ES3_S5_NS0_18transform_iteratorINS0_17counting_iteratorImlEEZNS1_24adjacent_difference_implIS3_Lb1ELb0EPiSB_N6thrust23THRUST_200600_302600_NS5minusIiEEEE10hipError_tPvRmT2_T3_mT4_P12ihipStream_tbEUlmE_iEESB_NS0_8identityIvEEEESG_SJ_SK_mSL_SN_bEUlT_E_NS1_11comp_targetILNS1_3genE4ELNS1_11target_archE910ELNS1_3gpuE8ELNS1_3repE0EEENS1_30default_config_static_selectorELNS0_4arch9wavefront6targetE1EEEvT1_ ; -- Begin function _ZN7rocprim17ROCPRIM_400000_NS6detail17trampoline_kernelINS0_14default_configENS1_25transform_config_selectorIiLb0EEEZNS1_14transform_implILb0ES3_S5_NS0_18transform_iteratorINS0_17counting_iteratorImlEEZNS1_24adjacent_difference_implIS3_Lb1ELb0EPiSB_N6thrust23THRUST_200600_302600_NS5minusIiEEEE10hipError_tPvRmT2_T3_mT4_P12ihipStream_tbEUlmE_iEESB_NS0_8identityIvEEEESG_SJ_SK_mSL_SN_bEUlT_E_NS1_11comp_targetILNS1_3genE4ELNS1_11target_archE910ELNS1_3gpuE8ELNS1_3repE0EEENS1_30default_config_static_selectorELNS0_4arch9wavefront6targetE1EEEvT1_
	.globl	_ZN7rocprim17ROCPRIM_400000_NS6detail17trampoline_kernelINS0_14default_configENS1_25transform_config_selectorIiLb0EEEZNS1_14transform_implILb0ES3_S5_NS0_18transform_iteratorINS0_17counting_iteratorImlEEZNS1_24adjacent_difference_implIS3_Lb1ELb0EPiSB_N6thrust23THRUST_200600_302600_NS5minusIiEEEE10hipError_tPvRmT2_T3_mT4_P12ihipStream_tbEUlmE_iEESB_NS0_8identityIvEEEESG_SJ_SK_mSL_SN_bEUlT_E_NS1_11comp_targetILNS1_3genE4ELNS1_11target_archE910ELNS1_3gpuE8ELNS1_3repE0EEENS1_30default_config_static_selectorELNS0_4arch9wavefront6targetE1EEEvT1_
	.p2align	8
	.type	_ZN7rocprim17ROCPRIM_400000_NS6detail17trampoline_kernelINS0_14default_configENS1_25transform_config_selectorIiLb0EEEZNS1_14transform_implILb0ES3_S5_NS0_18transform_iteratorINS0_17counting_iteratorImlEEZNS1_24adjacent_difference_implIS3_Lb1ELb0EPiSB_N6thrust23THRUST_200600_302600_NS5minusIiEEEE10hipError_tPvRmT2_T3_mT4_P12ihipStream_tbEUlmE_iEESB_NS0_8identityIvEEEESG_SJ_SK_mSL_SN_bEUlT_E_NS1_11comp_targetILNS1_3genE4ELNS1_11target_archE910ELNS1_3gpuE8ELNS1_3repE0EEENS1_30default_config_static_selectorELNS0_4arch9wavefront6targetE1EEEvT1_,@function
_ZN7rocprim17ROCPRIM_400000_NS6detail17trampoline_kernelINS0_14default_configENS1_25transform_config_selectorIiLb0EEEZNS1_14transform_implILb0ES3_S5_NS0_18transform_iteratorINS0_17counting_iteratorImlEEZNS1_24adjacent_difference_implIS3_Lb1ELb0EPiSB_N6thrust23THRUST_200600_302600_NS5minusIiEEEE10hipError_tPvRmT2_T3_mT4_P12ihipStream_tbEUlmE_iEESB_NS0_8identityIvEEEESG_SJ_SK_mSL_SN_bEUlT_E_NS1_11comp_targetILNS1_3genE4ELNS1_11target_archE910ELNS1_3gpuE8ELNS1_3repE0EEENS1_30default_config_static_selectorELNS0_4arch9wavefront6targetE1EEEvT1_: ; @_ZN7rocprim17ROCPRIM_400000_NS6detail17trampoline_kernelINS0_14default_configENS1_25transform_config_selectorIiLb0EEEZNS1_14transform_implILb0ES3_S5_NS0_18transform_iteratorINS0_17counting_iteratorImlEEZNS1_24adjacent_difference_implIS3_Lb1ELb0EPiSB_N6thrust23THRUST_200600_302600_NS5minusIiEEEE10hipError_tPvRmT2_T3_mT4_P12ihipStream_tbEUlmE_iEESB_NS0_8identityIvEEEESG_SJ_SK_mSL_SN_bEUlT_E_NS1_11comp_targetILNS1_3genE4ELNS1_11target_archE910ELNS1_3gpuE8ELNS1_3repE0EEENS1_30default_config_static_selectorELNS0_4arch9wavefront6targetE1EEEvT1_
; %bb.0:
	s_load_dwordx4 s[0:3], s[4:5], 0x18
	s_load_dwordx2 s[14:15], s[4:5], 0x28
	s_load_dwordx4 s[8:11], s[4:5], 0x0
	s_load_dword s12, s[4:5], 0x10
	s_waitcnt lgkmcnt(0)
	s_load_dword s3, s[4:5], 0x38
                                        ; kill: killed $sgpr4_sgpr5
	s_lshl_b64 s[4:5], s[0:1], 2
	s_add_u32 s14, s14, s4
	s_addc_u32 s15, s15, s5
	s_lshl_b32 s4, s6, 11
	s_waitcnt lgkmcnt(0)
	s_add_i32 s3, s3, -1
	s_add_u32 s7, s8, s4
	s_addc_u32 s8, s9, 0
	s_add_u32 s16, s7, s0
	s_addc_u32 s17, s8, s1
	s_mov_b32 s5, 0
	s_cmp_lg_u32 s6, s3
	v_lshlrev_b32_e32 v1, 2, v0
	s_cbranch_scc0 .LBB112_2
; %bb.1:
	v_mov_b32_e32 v2, s17
	v_add_co_u32_e32 v3, vcc, s16, v0
	v_addc_co_u32_e32 v5, vcc, 0, v2, vcc
	v_mad_u64_u32 v[2:3], s[0:1], v3, s12, 0
	v_mov_b32_e32 v4, v3
	v_mad_u64_u32 v[4:5], s[0:1], v5, s12, v[4:5]
	v_mov_b32_e32 v3, v4
	v_lshlrev_b64 v[2:3], 2, v[2:3]
	s_mov_b32 s13, s5
	v_mov_b32_e32 v4, s11
	v_add_co_u32_e32 v2, vcc, s10, v2
	v_addc_co_u32_e32 v3, vcc, v4, v3, vcc
	s_lshl_b64 s[0:1], s[12:13], 12
	global_load_dword v6, v[2:3], off
	v_mov_b32_e32 v4, s1
	v_add_co_u32_e32 v2, vcc, s0, v2
	v_addc_co_u32_e32 v3, vcc, v3, v4, vcc
	global_load_dword v3, v[2:3], off
	s_lshl_b64 s[6:7], s[4:5], 2
	s_add_u32 s6, s14, s6
	s_addc_u32 s7, s15, s7
	v_mov_b32_e32 v2, s7
	v_add_co_u32_e32 v4, vcc, s6, v1
	v_addc_co_u32_e32 v5, vcc, 0, v2, vcc
	s_waitcnt vmcnt(1)
	global_store_dword v1, v6, s[6:7]
	s_mov_b64 s[6:7], -1
	s_cbranch_execz .LBB112_3
	s_branch .LBB112_12
.LBB112_2:
	s_mov_b64 s[6:7], 0
                                        ; implicit-def: $vgpr3
                                        ; implicit-def: $vgpr4_vgpr5
.LBB112_3:
	s_sub_i32 s8, s2, s4
	v_cmp_gt_u32_e32 vcc, s8, v0
                                        ; implicit-def: $vgpr2_vgpr3
	s_and_saveexec_b64 s[2:3], vcc
	s_cbranch_execz .LBB112_5
; %bb.4:
	v_mov_b32_e32 v2, s17
	s_waitcnt vmcnt(1)
	v_add_co_u32_e64 v3, s[0:1], s16, v0
	v_addc_co_u32_e64 v5, s[0:1], 0, v2, s[0:1]
	v_mad_u64_u32 v[2:3], s[0:1], v3, s12, 0
	v_mov_b32_e32 v4, v3
	v_mad_u64_u32 v[4:5], s[0:1], v5, s12, v[4:5]
	v_mov_b32_e32 v3, v4
	v_lshlrev_b64 v[2:3], 2, v[2:3]
	v_mov_b32_e32 v4, s11
	v_add_co_u32_e64 v2, s[0:1], s10, v2
	v_addc_co_u32_e64 v3, s[0:1], v4, v3, s[0:1]
	global_load_dword v2, v[2:3], off
.LBB112_5:
	s_or_b64 exec, exec, s[2:3]
	v_or_b32_e32 v0, 0x400, v0
	v_cmp_gt_u32_e64 s[0:1], s8, v0
	s_and_saveexec_b64 s[8:9], s[0:1]
	s_cbranch_execz .LBB112_7
; %bb.6:
	s_waitcnt vmcnt(1)
	v_mov_b32_e32 v3, s17
	v_add_co_u32_e64 v0, s[2:3], s16, v0
	v_addc_co_u32_e64 v3, s[2:3], 0, v3, s[2:3]
	v_mad_u64_u32 v[4:5], s[2:3], v0, s12, 0
	v_mov_b32_e32 v0, v5
	v_mad_u64_u32 v[6:7], s[2:3], v3, s12, v[0:1]
	v_mov_b32_e32 v5, v6
	v_lshlrev_b64 v[4:5], 2, v[4:5]
	v_mov_b32_e32 v0, s11
	v_add_co_u32_e64 v4, s[2:3], s10, v4
	v_addc_co_u32_e64 v5, s[2:3], v0, v5, s[2:3]
	global_load_dword v3, v[4:5], off
.LBB112_7:
	s_or_b64 exec, exec, s[8:9]
	s_lshl_b64 s[2:3], s[4:5], 2
	s_add_u32 s2, s14, s2
	s_addc_u32 s3, s15, s3
	v_mov_b32_e32 v0, s3
	v_add_co_u32_e64 v4, s[2:3], s2, v1
	v_addc_co_u32_e64 v5, s[2:3], 0, v0, s[2:3]
	s_and_saveexec_b64 s[2:3], vcc
	s_cbranch_execz .LBB112_9
; %bb.8:
	s_waitcnt vmcnt(0)
	global_store_dword v[4:5], v2, off
.LBB112_9:
	s_or_b64 exec, exec, s[2:3]
	s_and_saveexec_b64 s[2:3], s[0:1]
; %bb.10:
	s_or_b64 s[6:7], s[6:7], exec
; %bb.11:
	s_or_b64 exec, exec, s[2:3]
.LBB112_12:
	s_and_saveexec_b64 s[0:1], s[6:7]
	s_cbranch_execnz .LBB112_14
; %bb.13:
	s_endpgm
.LBB112_14:
	v_add_co_u32_e32 v0, vcc, 0x1000, v4
	v_addc_co_u32_e32 v1, vcc, 0, v5, vcc
	s_waitcnt vmcnt(0)
	global_store_dword v[0:1], v3, off
	s_endpgm
	.section	.rodata,"a",@progbits
	.p2align	6, 0x0
	.amdhsa_kernel _ZN7rocprim17ROCPRIM_400000_NS6detail17trampoline_kernelINS0_14default_configENS1_25transform_config_selectorIiLb0EEEZNS1_14transform_implILb0ES3_S5_NS0_18transform_iteratorINS0_17counting_iteratorImlEEZNS1_24adjacent_difference_implIS3_Lb1ELb0EPiSB_N6thrust23THRUST_200600_302600_NS5minusIiEEEE10hipError_tPvRmT2_T3_mT4_P12ihipStream_tbEUlmE_iEESB_NS0_8identityIvEEEESG_SJ_SK_mSL_SN_bEUlT_E_NS1_11comp_targetILNS1_3genE4ELNS1_11target_archE910ELNS1_3gpuE8ELNS1_3repE0EEENS1_30default_config_static_selectorELNS0_4arch9wavefront6targetE1EEEvT1_
		.amdhsa_group_segment_fixed_size 0
		.amdhsa_private_segment_fixed_size 0
		.amdhsa_kernarg_size 312
		.amdhsa_user_sgpr_count 6
		.amdhsa_user_sgpr_private_segment_buffer 1
		.amdhsa_user_sgpr_dispatch_ptr 0
		.amdhsa_user_sgpr_queue_ptr 0
		.amdhsa_user_sgpr_kernarg_segment_ptr 1
		.amdhsa_user_sgpr_dispatch_id 0
		.amdhsa_user_sgpr_flat_scratch_init 0
		.amdhsa_user_sgpr_kernarg_preload_length 0
		.amdhsa_user_sgpr_kernarg_preload_offset 0
		.amdhsa_user_sgpr_private_segment_size 0
		.amdhsa_uses_dynamic_stack 0
		.amdhsa_system_sgpr_private_segment_wavefront_offset 0
		.amdhsa_system_sgpr_workgroup_id_x 1
		.amdhsa_system_sgpr_workgroup_id_y 0
		.amdhsa_system_sgpr_workgroup_id_z 0
		.amdhsa_system_sgpr_workgroup_info 0
		.amdhsa_system_vgpr_workitem_id 0
		.amdhsa_next_free_vgpr 8
		.amdhsa_next_free_sgpr 18
		.amdhsa_accum_offset 8
		.amdhsa_reserve_vcc 1
		.amdhsa_reserve_flat_scratch 0
		.amdhsa_float_round_mode_32 0
		.amdhsa_float_round_mode_16_64 0
		.amdhsa_float_denorm_mode_32 3
		.amdhsa_float_denorm_mode_16_64 3
		.amdhsa_dx10_clamp 1
		.amdhsa_ieee_mode 1
		.amdhsa_fp16_overflow 0
		.amdhsa_tg_split 0
		.amdhsa_exception_fp_ieee_invalid_op 0
		.amdhsa_exception_fp_denorm_src 0
		.amdhsa_exception_fp_ieee_div_zero 0
		.amdhsa_exception_fp_ieee_overflow 0
		.amdhsa_exception_fp_ieee_underflow 0
		.amdhsa_exception_fp_ieee_inexact 0
		.amdhsa_exception_int_div_zero 0
	.end_amdhsa_kernel
	.section	.text._ZN7rocprim17ROCPRIM_400000_NS6detail17trampoline_kernelINS0_14default_configENS1_25transform_config_selectorIiLb0EEEZNS1_14transform_implILb0ES3_S5_NS0_18transform_iteratorINS0_17counting_iteratorImlEEZNS1_24adjacent_difference_implIS3_Lb1ELb0EPiSB_N6thrust23THRUST_200600_302600_NS5minusIiEEEE10hipError_tPvRmT2_T3_mT4_P12ihipStream_tbEUlmE_iEESB_NS0_8identityIvEEEESG_SJ_SK_mSL_SN_bEUlT_E_NS1_11comp_targetILNS1_3genE4ELNS1_11target_archE910ELNS1_3gpuE8ELNS1_3repE0EEENS1_30default_config_static_selectorELNS0_4arch9wavefront6targetE1EEEvT1_,"axG",@progbits,_ZN7rocprim17ROCPRIM_400000_NS6detail17trampoline_kernelINS0_14default_configENS1_25transform_config_selectorIiLb0EEEZNS1_14transform_implILb0ES3_S5_NS0_18transform_iteratorINS0_17counting_iteratorImlEEZNS1_24adjacent_difference_implIS3_Lb1ELb0EPiSB_N6thrust23THRUST_200600_302600_NS5minusIiEEEE10hipError_tPvRmT2_T3_mT4_P12ihipStream_tbEUlmE_iEESB_NS0_8identityIvEEEESG_SJ_SK_mSL_SN_bEUlT_E_NS1_11comp_targetILNS1_3genE4ELNS1_11target_archE910ELNS1_3gpuE8ELNS1_3repE0EEENS1_30default_config_static_selectorELNS0_4arch9wavefront6targetE1EEEvT1_,comdat
.Lfunc_end112:
	.size	_ZN7rocprim17ROCPRIM_400000_NS6detail17trampoline_kernelINS0_14default_configENS1_25transform_config_selectorIiLb0EEEZNS1_14transform_implILb0ES3_S5_NS0_18transform_iteratorINS0_17counting_iteratorImlEEZNS1_24adjacent_difference_implIS3_Lb1ELb0EPiSB_N6thrust23THRUST_200600_302600_NS5minusIiEEEE10hipError_tPvRmT2_T3_mT4_P12ihipStream_tbEUlmE_iEESB_NS0_8identityIvEEEESG_SJ_SK_mSL_SN_bEUlT_E_NS1_11comp_targetILNS1_3genE4ELNS1_11target_archE910ELNS1_3gpuE8ELNS1_3repE0EEENS1_30default_config_static_selectorELNS0_4arch9wavefront6targetE1EEEvT1_, .Lfunc_end112-_ZN7rocprim17ROCPRIM_400000_NS6detail17trampoline_kernelINS0_14default_configENS1_25transform_config_selectorIiLb0EEEZNS1_14transform_implILb0ES3_S5_NS0_18transform_iteratorINS0_17counting_iteratorImlEEZNS1_24adjacent_difference_implIS3_Lb1ELb0EPiSB_N6thrust23THRUST_200600_302600_NS5minusIiEEEE10hipError_tPvRmT2_T3_mT4_P12ihipStream_tbEUlmE_iEESB_NS0_8identityIvEEEESG_SJ_SK_mSL_SN_bEUlT_E_NS1_11comp_targetILNS1_3genE4ELNS1_11target_archE910ELNS1_3gpuE8ELNS1_3repE0EEENS1_30default_config_static_selectorELNS0_4arch9wavefront6targetE1EEEvT1_
                                        ; -- End function
	.section	.AMDGPU.csdata,"",@progbits
; Kernel info:
; codeLenInByte = 568
; NumSgprs: 22
; NumVgprs: 8
; NumAgprs: 0
; TotalNumVgprs: 8
; ScratchSize: 0
; MemoryBound: 0
; FloatMode: 240
; IeeeMode: 1
; LDSByteSize: 0 bytes/workgroup (compile time only)
; SGPRBlocks: 2
; VGPRBlocks: 0
; NumSGPRsForWavesPerEU: 22
; NumVGPRsForWavesPerEU: 8
; AccumOffset: 8
; Occupancy: 8
; WaveLimiterHint : 0
; COMPUTE_PGM_RSRC2:SCRATCH_EN: 0
; COMPUTE_PGM_RSRC2:USER_SGPR: 6
; COMPUTE_PGM_RSRC2:TRAP_HANDLER: 0
; COMPUTE_PGM_RSRC2:TGID_X_EN: 1
; COMPUTE_PGM_RSRC2:TGID_Y_EN: 0
; COMPUTE_PGM_RSRC2:TGID_Z_EN: 0
; COMPUTE_PGM_RSRC2:TIDIG_COMP_CNT: 0
; COMPUTE_PGM_RSRC3_GFX90A:ACCUM_OFFSET: 1
; COMPUTE_PGM_RSRC3_GFX90A:TG_SPLIT: 0
	.section	.text._ZN7rocprim17ROCPRIM_400000_NS6detail17trampoline_kernelINS0_14default_configENS1_25transform_config_selectorIiLb0EEEZNS1_14transform_implILb0ES3_S5_NS0_18transform_iteratorINS0_17counting_iteratorImlEEZNS1_24adjacent_difference_implIS3_Lb1ELb0EPiSB_N6thrust23THRUST_200600_302600_NS5minusIiEEEE10hipError_tPvRmT2_T3_mT4_P12ihipStream_tbEUlmE_iEESB_NS0_8identityIvEEEESG_SJ_SK_mSL_SN_bEUlT_E_NS1_11comp_targetILNS1_3genE3ELNS1_11target_archE908ELNS1_3gpuE7ELNS1_3repE0EEENS1_30default_config_static_selectorELNS0_4arch9wavefront6targetE1EEEvT1_,"axG",@progbits,_ZN7rocprim17ROCPRIM_400000_NS6detail17trampoline_kernelINS0_14default_configENS1_25transform_config_selectorIiLb0EEEZNS1_14transform_implILb0ES3_S5_NS0_18transform_iteratorINS0_17counting_iteratorImlEEZNS1_24adjacent_difference_implIS3_Lb1ELb0EPiSB_N6thrust23THRUST_200600_302600_NS5minusIiEEEE10hipError_tPvRmT2_T3_mT4_P12ihipStream_tbEUlmE_iEESB_NS0_8identityIvEEEESG_SJ_SK_mSL_SN_bEUlT_E_NS1_11comp_targetILNS1_3genE3ELNS1_11target_archE908ELNS1_3gpuE7ELNS1_3repE0EEENS1_30default_config_static_selectorELNS0_4arch9wavefront6targetE1EEEvT1_,comdat
	.protected	_ZN7rocprim17ROCPRIM_400000_NS6detail17trampoline_kernelINS0_14default_configENS1_25transform_config_selectorIiLb0EEEZNS1_14transform_implILb0ES3_S5_NS0_18transform_iteratorINS0_17counting_iteratorImlEEZNS1_24adjacent_difference_implIS3_Lb1ELb0EPiSB_N6thrust23THRUST_200600_302600_NS5minusIiEEEE10hipError_tPvRmT2_T3_mT4_P12ihipStream_tbEUlmE_iEESB_NS0_8identityIvEEEESG_SJ_SK_mSL_SN_bEUlT_E_NS1_11comp_targetILNS1_3genE3ELNS1_11target_archE908ELNS1_3gpuE7ELNS1_3repE0EEENS1_30default_config_static_selectorELNS0_4arch9wavefront6targetE1EEEvT1_ ; -- Begin function _ZN7rocprim17ROCPRIM_400000_NS6detail17trampoline_kernelINS0_14default_configENS1_25transform_config_selectorIiLb0EEEZNS1_14transform_implILb0ES3_S5_NS0_18transform_iteratorINS0_17counting_iteratorImlEEZNS1_24adjacent_difference_implIS3_Lb1ELb0EPiSB_N6thrust23THRUST_200600_302600_NS5minusIiEEEE10hipError_tPvRmT2_T3_mT4_P12ihipStream_tbEUlmE_iEESB_NS0_8identityIvEEEESG_SJ_SK_mSL_SN_bEUlT_E_NS1_11comp_targetILNS1_3genE3ELNS1_11target_archE908ELNS1_3gpuE7ELNS1_3repE0EEENS1_30default_config_static_selectorELNS0_4arch9wavefront6targetE1EEEvT1_
	.globl	_ZN7rocprim17ROCPRIM_400000_NS6detail17trampoline_kernelINS0_14default_configENS1_25transform_config_selectorIiLb0EEEZNS1_14transform_implILb0ES3_S5_NS0_18transform_iteratorINS0_17counting_iteratorImlEEZNS1_24adjacent_difference_implIS3_Lb1ELb0EPiSB_N6thrust23THRUST_200600_302600_NS5minusIiEEEE10hipError_tPvRmT2_T3_mT4_P12ihipStream_tbEUlmE_iEESB_NS0_8identityIvEEEESG_SJ_SK_mSL_SN_bEUlT_E_NS1_11comp_targetILNS1_3genE3ELNS1_11target_archE908ELNS1_3gpuE7ELNS1_3repE0EEENS1_30default_config_static_selectorELNS0_4arch9wavefront6targetE1EEEvT1_
	.p2align	8
	.type	_ZN7rocprim17ROCPRIM_400000_NS6detail17trampoline_kernelINS0_14default_configENS1_25transform_config_selectorIiLb0EEEZNS1_14transform_implILb0ES3_S5_NS0_18transform_iteratorINS0_17counting_iteratorImlEEZNS1_24adjacent_difference_implIS3_Lb1ELb0EPiSB_N6thrust23THRUST_200600_302600_NS5minusIiEEEE10hipError_tPvRmT2_T3_mT4_P12ihipStream_tbEUlmE_iEESB_NS0_8identityIvEEEESG_SJ_SK_mSL_SN_bEUlT_E_NS1_11comp_targetILNS1_3genE3ELNS1_11target_archE908ELNS1_3gpuE7ELNS1_3repE0EEENS1_30default_config_static_selectorELNS0_4arch9wavefront6targetE1EEEvT1_,@function
_ZN7rocprim17ROCPRIM_400000_NS6detail17trampoline_kernelINS0_14default_configENS1_25transform_config_selectorIiLb0EEEZNS1_14transform_implILb0ES3_S5_NS0_18transform_iteratorINS0_17counting_iteratorImlEEZNS1_24adjacent_difference_implIS3_Lb1ELb0EPiSB_N6thrust23THRUST_200600_302600_NS5minusIiEEEE10hipError_tPvRmT2_T3_mT4_P12ihipStream_tbEUlmE_iEESB_NS0_8identityIvEEEESG_SJ_SK_mSL_SN_bEUlT_E_NS1_11comp_targetILNS1_3genE3ELNS1_11target_archE908ELNS1_3gpuE7ELNS1_3repE0EEENS1_30default_config_static_selectorELNS0_4arch9wavefront6targetE1EEEvT1_: ; @_ZN7rocprim17ROCPRIM_400000_NS6detail17trampoline_kernelINS0_14default_configENS1_25transform_config_selectorIiLb0EEEZNS1_14transform_implILb0ES3_S5_NS0_18transform_iteratorINS0_17counting_iteratorImlEEZNS1_24adjacent_difference_implIS3_Lb1ELb0EPiSB_N6thrust23THRUST_200600_302600_NS5minusIiEEEE10hipError_tPvRmT2_T3_mT4_P12ihipStream_tbEUlmE_iEESB_NS0_8identityIvEEEESG_SJ_SK_mSL_SN_bEUlT_E_NS1_11comp_targetILNS1_3genE3ELNS1_11target_archE908ELNS1_3gpuE7ELNS1_3repE0EEENS1_30default_config_static_selectorELNS0_4arch9wavefront6targetE1EEEvT1_
; %bb.0:
	.section	.rodata,"a",@progbits
	.p2align	6, 0x0
	.amdhsa_kernel _ZN7rocprim17ROCPRIM_400000_NS6detail17trampoline_kernelINS0_14default_configENS1_25transform_config_selectorIiLb0EEEZNS1_14transform_implILb0ES3_S5_NS0_18transform_iteratorINS0_17counting_iteratorImlEEZNS1_24adjacent_difference_implIS3_Lb1ELb0EPiSB_N6thrust23THRUST_200600_302600_NS5minusIiEEEE10hipError_tPvRmT2_T3_mT4_P12ihipStream_tbEUlmE_iEESB_NS0_8identityIvEEEESG_SJ_SK_mSL_SN_bEUlT_E_NS1_11comp_targetILNS1_3genE3ELNS1_11target_archE908ELNS1_3gpuE7ELNS1_3repE0EEENS1_30default_config_static_selectorELNS0_4arch9wavefront6targetE1EEEvT1_
		.amdhsa_group_segment_fixed_size 0
		.amdhsa_private_segment_fixed_size 0
		.amdhsa_kernarg_size 56
		.amdhsa_user_sgpr_count 6
		.amdhsa_user_sgpr_private_segment_buffer 1
		.amdhsa_user_sgpr_dispatch_ptr 0
		.amdhsa_user_sgpr_queue_ptr 0
		.amdhsa_user_sgpr_kernarg_segment_ptr 1
		.amdhsa_user_sgpr_dispatch_id 0
		.amdhsa_user_sgpr_flat_scratch_init 0
		.amdhsa_user_sgpr_kernarg_preload_length 0
		.amdhsa_user_sgpr_kernarg_preload_offset 0
		.amdhsa_user_sgpr_private_segment_size 0
		.amdhsa_uses_dynamic_stack 0
		.amdhsa_system_sgpr_private_segment_wavefront_offset 0
		.amdhsa_system_sgpr_workgroup_id_x 1
		.amdhsa_system_sgpr_workgroup_id_y 0
		.amdhsa_system_sgpr_workgroup_id_z 0
		.amdhsa_system_sgpr_workgroup_info 0
		.amdhsa_system_vgpr_workitem_id 0
		.amdhsa_next_free_vgpr 1
		.amdhsa_next_free_sgpr 0
		.amdhsa_accum_offset 4
		.amdhsa_reserve_vcc 0
		.amdhsa_reserve_flat_scratch 0
		.amdhsa_float_round_mode_32 0
		.amdhsa_float_round_mode_16_64 0
		.amdhsa_float_denorm_mode_32 3
		.amdhsa_float_denorm_mode_16_64 3
		.amdhsa_dx10_clamp 1
		.amdhsa_ieee_mode 1
		.amdhsa_fp16_overflow 0
		.amdhsa_tg_split 0
		.amdhsa_exception_fp_ieee_invalid_op 0
		.amdhsa_exception_fp_denorm_src 0
		.amdhsa_exception_fp_ieee_div_zero 0
		.amdhsa_exception_fp_ieee_overflow 0
		.amdhsa_exception_fp_ieee_underflow 0
		.amdhsa_exception_fp_ieee_inexact 0
		.amdhsa_exception_int_div_zero 0
	.end_amdhsa_kernel
	.section	.text._ZN7rocprim17ROCPRIM_400000_NS6detail17trampoline_kernelINS0_14default_configENS1_25transform_config_selectorIiLb0EEEZNS1_14transform_implILb0ES3_S5_NS0_18transform_iteratorINS0_17counting_iteratorImlEEZNS1_24adjacent_difference_implIS3_Lb1ELb0EPiSB_N6thrust23THRUST_200600_302600_NS5minusIiEEEE10hipError_tPvRmT2_T3_mT4_P12ihipStream_tbEUlmE_iEESB_NS0_8identityIvEEEESG_SJ_SK_mSL_SN_bEUlT_E_NS1_11comp_targetILNS1_3genE3ELNS1_11target_archE908ELNS1_3gpuE7ELNS1_3repE0EEENS1_30default_config_static_selectorELNS0_4arch9wavefront6targetE1EEEvT1_,"axG",@progbits,_ZN7rocprim17ROCPRIM_400000_NS6detail17trampoline_kernelINS0_14default_configENS1_25transform_config_selectorIiLb0EEEZNS1_14transform_implILb0ES3_S5_NS0_18transform_iteratorINS0_17counting_iteratorImlEEZNS1_24adjacent_difference_implIS3_Lb1ELb0EPiSB_N6thrust23THRUST_200600_302600_NS5minusIiEEEE10hipError_tPvRmT2_T3_mT4_P12ihipStream_tbEUlmE_iEESB_NS0_8identityIvEEEESG_SJ_SK_mSL_SN_bEUlT_E_NS1_11comp_targetILNS1_3genE3ELNS1_11target_archE908ELNS1_3gpuE7ELNS1_3repE0EEENS1_30default_config_static_selectorELNS0_4arch9wavefront6targetE1EEEvT1_,comdat
.Lfunc_end113:
	.size	_ZN7rocprim17ROCPRIM_400000_NS6detail17trampoline_kernelINS0_14default_configENS1_25transform_config_selectorIiLb0EEEZNS1_14transform_implILb0ES3_S5_NS0_18transform_iteratorINS0_17counting_iteratorImlEEZNS1_24adjacent_difference_implIS3_Lb1ELb0EPiSB_N6thrust23THRUST_200600_302600_NS5minusIiEEEE10hipError_tPvRmT2_T3_mT4_P12ihipStream_tbEUlmE_iEESB_NS0_8identityIvEEEESG_SJ_SK_mSL_SN_bEUlT_E_NS1_11comp_targetILNS1_3genE3ELNS1_11target_archE908ELNS1_3gpuE7ELNS1_3repE0EEENS1_30default_config_static_selectorELNS0_4arch9wavefront6targetE1EEEvT1_, .Lfunc_end113-_ZN7rocprim17ROCPRIM_400000_NS6detail17trampoline_kernelINS0_14default_configENS1_25transform_config_selectorIiLb0EEEZNS1_14transform_implILb0ES3_S5_NS0_18transform_iteratorINS0_17counting_iteratorImlEEZNS1_24adjacent_difference_implIS3_Lb1ELb0EPiSB_N6thrust23THRUST_200600_302600_NS5minusIiEEEE10hipError_tPvRmT2_T3_mT4_P12ihipStream_tbEUlmE_iEESB_NS0_8identityIvEEEESG_SJ_SK_mSL_SN_bEUlT_E_NS1_11comp_targetILNS1_3genE3ELNS1_11target_archE908ELNS1_3gpuE7ELNS1_3repE0EEENS1_30default_config_static_selectorELNS0_4arch9wavefront6targetE1EEEvT1_
                                        ; -- End function
	.section	.AMDGPU.csdata,"",@progbits
; Kernel info:
; codeLenInByte = 0
; NumSgprs: 4
; NumVgprs: 0
; NumAgprs: 0
; TotalNumVgprs: 0
; ScratchSize: 0
; MemoryBound: 0
; FloatMode: 240
; IeeeMode: 1
; LDSByteSize: 0 bytes/workgroup (compile time only)
; SGPRBlocks: 0
; VGPRBlocks: 0
; NumSGPRsForWavesPerEU: 4
; NumVGPRsForWavesPerEU: 1
; AccumOffset: 4
; Occupancy: 8
; WaveLimiterHint : 0
; COMPUTE_PGM_RSRC2:SCRATCH_EN: 0
; COMPUTE_PGM_RSRC2:USER_SGPR: 6
; COMPUTE_PGM_RSRC2:TRAP_HANDLER: 0
; COMPUTE_PGM_RSRC2:TGID_X_EN: 1
; COMPUTE_PGM_RSRC2:TGID_Y_EN: 0
; COMPUTE_PGM_RSRC2:TGID_Z_EN: 0
; COMPUTE_PGM_RSRC2:TIDIG_COMP_CNT: 0
; COMPUTE_PGM_RSRC3_GFX90A:ACCUM_OFFSET: 0
; COMPUTE_PGM_RSRC3_GFX90A:TG_SPLIT: 0
	.section	.text._ZN7rocprim17ROCPRIM_400000_NS6detail17trampoline_kernelINS0_14default_configENS1_25transform_config_selectorIiLb0EEEZNS1_14transform_implILb0ES3_S5_NS0_18transform_iteratorINS0_17counting_iteratorImlEEZNS1_24adjacent_difference_implIS3_Lb1ELb0EPiSB_N6thrust23THRUST_200600_302600_NS5minusIiEEEE10hipError_tPvRmT2_T3_mT4_P12ihipStream_tbEUlmE_iEESB_NS0_8identityIvEEEESG_SJ_SK_mSL_SN_bEUlT_E_NS1_11comp_targetILNS1_3genE2ELNS1_11target_archE906ELNS1_3gpuE6ELNS1_3repE0EEENS1_30default_config_static_selectorELNS0_4arch9wavefront6targetE1EEEvT1_,"axG",@progbits,_ZN7rocprim17ROCPRIM_400000_NS6detail17trampoline_kernelINS0_14default_configENS1_25transform_config_selectorIiLb0EEEZNS1_14transform_implILb0ES3_S5_NS0_18transform_iteratorINS0_17counting_iteratorImlEEZNS1_24adjacent_difference_implIS3_Lb1ELb0EPiSB_N6thrust23THRUST_200600_302600_NS5minusIiEEEE10hipError_tPvRmT2_T3_mT4_P12ihipStream_tbEUlmE_iEESB_NS0_8identityIvEEEESG_SJ_SK_mSL_SN_bEUlT_E_NS1_11comp_targetILNS1_3genE2ELNS1_11target_archE906ELNS1_3gpuE6ELNS1_3repE0EEENS1_30default_config_static_selectorELNS0_4arch9wavefront6targetE1EEEvT1_,comdat
	.protected	_ZN7rocprim17ROCPRIM_400000_NS6detail17trampoline_kernelINS0_14default_configENS1_25transform_config_selectorIiLb0EEEZNS1_14transform_implILb0ES3_S5_NS0_18transform_iteratorINS0_17counting_iteratorImlEEZNS1_24adjacent_difference_implIS3_Lb1ELb0EPiSB_N6thrust23THRUST_200600_302600_NS5minusIiEEEE10hipError_tPvRmT2_T3_mT4_P12ihipStream_tbEUlmE_iEESB_NS0_8identityIvEEEESG_SJ_SK_mSL_SN_bEUlT_E_NS1_11comp_targetILNS1_3genE2ELNS1_11target_archE906ELNS1_3gpuE6ELNS1_3repE0EEENS1_30default_config_static_selectorELNS0_4arch9wavefront6targetE1EEEvT1_ ; -- Begin function _ZN7rocprim17ROCPRIM_400000_NS6detail17trampoline_kernelINS0_14default_configENS1_25transform_config_selectorIiLb0EEEZNS1_14transform_implILb0ES3_S5_NS0_18transform_iteratorINS0_17counting_iteratorImlEEZNS1_24adjacent_difference_implIS3_Lb1ELb0EPiSB_N6thrust23THRUST_200600_302600_NS5minusIiEEEE10hipError_tPvRmT2_T3_mT4_P12ihipStream_tbEUlmE_iEESB_NS0_8identityIvEEEESG_SJ_SK_mSL_SN_bEUlT_E_NS1_11comp_targetILNS1_3genE2ELNS1_11target_archE906ELNS1_3gpuE6ELNS1_3repE0EEENS1_30default_config_static_selectorELNS0_4arch9wavefront6targetE1EEEvT1_
	.globl	_ZN7rocprim17ROCPRIM_400000_NS6detail17trampoline_kernelINS0_14default_configENS1_25transform_config_selectorIiLb0EEEZNS1_14transform_implILb0ES3_S5_NS0_18transform_iteratorINS0_17counting_iteratorImlEEZNS1_24adjacent_difference_implIS3_Lb1ELb0EPiSB_N6thrust23THRUST_200600_302600_NS5minusIiEEEE10hipError_tPvRmT2_T3_mT4_P12ihipStream_tbEUlmE_iEESB_NS0_8identityIvEEEESG_SJ_SK_mSL_SN_bEUlT_E_NS1_11comp_targetILNS1_3genE2ELNS1_11target_archE906ELNS1_3gpuE6ELNS1_3repE0EEENS1_30default_config_static_selectorELNS0_4arch9wavefront6targetE1EEEvT1_
	.p2align	8
	.type	_ZN7rocprim17ROCPRIM_400000_NS6detail17trampoline_kernelINS0_14default_configENS1_25transform_config_selectorIiLb0EEEZNS1_14transform_implILb0ES3_S5_NS0_18transform_iteratorINS0_17counting_iteratorImlEEZNS1_24adjacent_difference_implIS3_Lb1ELb0EPiSB_N6thrust23THRUST_200600_302600_NS5minusIiEEEE10hipError_tPvRmT2_T3_mT4_P12ihipStream_tbEUlmE_iEESB_NS0_8identityIvEEEESG_SJ_SK_mSL_SN_bEUlT_E_NS1_11comp_targetILNS1_3genE2ELNS1_11target_archE906ELNS1_3gpuE6ELNS1_3repE0EEENS1_30default_config_static_selectorELNS0_4arch9wavefront6targetE1EEEvT1_,@function
_ZN7rocprim17ROCPRIM_400000_NS6detail17trampoline_kernelINS0_14default_configENS1_25transform_config_selectorIiLb0EEEZNS1_14transform_implILb0ES3_S5_NS0_18transform_iteratorINS0_17counting_iteratorImlEEZNS1_24adjacent_difference_implIS3_Lb1ELb0EPiSB_N6thrust23THRUST_200600_302600_NS5minusIiEEEE10hipError_tPvRmT2_T3_mT4_P12ihipStream_tbEUlmE_iEESB_NS0_8identityIvEEEESG_SJ_SK_mSL_SN_bEUlT_E_NS1_11comp_targetILNS1_3genE2ELNS1_11target_archE906ELNS1_3gpuE6ELNS1_3repE0EEENS1_30default_config_static_selectorELNS0_4arch9wavefront6targetE1EEEvT1_: ; @_ZN7rocprim17ROCPRIM_400000_NS6detail17trampoline_kernelINS0_14default_configENS1_25transform_config_selectorIiLb0EEEZNS1_14transform_implILb0ES3_S5_NS0_18transform_iteratorINS0_17counting_iteratorImlEEZNS1_24adjacent_difference_implIS3_Lb1ELb0EPiSB_N6thrust23THRUST_200600_302600_NS5minusIiEEEE10hipError_tPvRmT2_T3_mT4_P12ihipStream_tbEUlmE_iEESB_NS0_8identityIvEEEESG_SJ_SK_mSL_SN_bEUlT_E_NS1_11comp_targetILNS1_3genE2ELNS1_11target_archE906ELNS1_3gpuE6ELNS1_3repE0EEENS1_30default_config_static_selectorELNS0_4arch9wavefront6targetE1EEEvT1_
; %bb.0:
	.section	.rodata,"a",@progbits
	.p2align	6, 0x0
	.amdhsa_kernel _ZN7rocprim17ROCPRIM_400000_NS6detail17trampoline_kernelINS0_14default_configENS1_25transform_config_selectorIiLb0EEEZNS1_14transform_implILb0ES3_S5_NS0_18transform_iteratorINS0_17counting_iteratorImlEEZNS1_24adjacent_difference_implIS3_Lb1ELb0EPiSB_N6thrust23THRUST_200600_302600_NS5minusIiEEEE10hipError_tPvRmT2_T3_mT4_P12ihipStream_tbEUlmE_iEESB_NS0_8identityIvEEEESG_SJ_SK_mSL_SN_bEUlT_E_NS1_11comp_targetILNS1_3genE2ELNS1_11target_archE906ELNS1_3gpuE6ELNS1_3repE0EEENS1_30default_config_static_selectorELNS0_4arch9wavefront6targetE1EEEvT1_
		.amdhsa_group_segment_fixed_size 0
		.amdhsa_private_segment_fixed_size 0
		.amdhsa_kernarg_size 56
		.amdhsa_user_sgpr_count 6
		.amdhsa_user_sgpr_private_segment_buffer 1
		.amdhsa_user_sgpr_dispatch_ptr 0
		.amdhsa_user_sgpr_queue_ptr 0
		.amdhsa_user_sgpr_kernarg_segment_ptr 1
		.amdhsa_user_sgpr_dispatch_id 0
		.amdhsa_user_sgpr_flat_scratch_init 0
		.amdhsa_user_sgpr_kernarg_preload_length 0
		.amdhsa_user_sgpr_kernarg_preload_offset 0
		.amdhsa_user_sgpr_private_segment_size 0
		.amdhsa_uses_dynamic_stack 0
		.amdhsa_system_sgpr_private_segment_wavefront_offset 0
		.amdhsa_system_sgpr_workgroup_id_x 1
		.amdhsa_system_sgpr_workgroup_id_y 0
		.amdhsa_system_sgpr_workgroup_id_z 0
		.amdhsa_system_sgpr_workgroup_info 0
		.amdhsa_system_vgpr_workitem_id 0
		.amdhsa_next_free_vgpr 1
		.amdhsa_next_free_sgpr 0
		.amdhsa_accum_offset 4
		.amdhsa_reserve_vcc 0
		.amdhsa_reserve_flat_scratch 0
		.amdhsa_float_round_mode_32 0
		.amdhsa_float_round_mode_16_64 0
		.amdhsa_float_denorm_mode_32 3
		.amdhsa_float_denorm_mode_16_64 3
		.amdhsa_dx10_clamp 1
		.amdhsa_ieee_mode 1
		.amdhsa_fp16_overflow 0
		.amdhsa_tg_split 0
		.amdhsa_exception_fp_ieee_invalid_op 0
		.amdhsa_exception_fp_denorm_src 0
		.amdhsa_exception_fp_ieee_div_zero 0
		.amdhsa_exception_fp_ieee_overflow 0
		.amdhsa_exception_fp_ieee_underflow 0
		.amdhsa_exception_fp_ieee_inexact 0
		.amdhsa_exception_int_div_zero 0
	.end_amdhsa_kernel
	.section	.text._ZN7rocprim17ROCPRIM_400000_NS6detail17trampoline_kernelINS0_14default_configENS1_25transform_config_selectorIiLb0EEEZNS1_14transform_implILb0ES3_S5_NS0_18transform_iteratorINS0_17counting_iteratorImlEEZNS1_24adjacent_difference_implIS3_Lb1ELb0EPiSB_N6thrust23THRUST_200600_302600_NS5minusIiEEEE10hipError_tPvRmT2_T3_mT4_P12ihipStream_tbEUlmE_iEESB_NS0_8identityIvEEEESG_SJ_SK_mSL_SN_bEUlT_E_NS1_11comp_targetILNS1_3genE2ELNS1_11target_archE906ELNS1_3gpuE6ELNS1_3repE0EEENS1_30default_config_static_selectorELNS0_4arch9wavefront6targetE1EEEvT1_,"axG",@progbits,_ZN7rocprim17ROCPRIM_400000_NS6detail17trampoline_kernelINS0_14default_configENS1_25transform_config_selectorIiLb0EEEZNS1_14transform_implILb0ES3_S5_NS0_18transform_iteratorINS0_17counting_iteratorImlEEZNS1_24adjacent_difference_implIS3_Lb1ELb0EPiSB_N6thrust23THRUST_200600_302600_NS5minusIiEEEE10hipError_tPvRmT2_T3_mT4_P12ihipStream_tbEUlmE_iEESB_NS0_8identityIvEEEESG_SJ_SK_mSL_SN_bEUlT_E_NS1_11comp_targetILNS1_3genE2ELNS1_11target_archE906ELNS1_3gpuE6ELNS1_3repE0EEENS1_30default_config_static_selectorELNS0_4arch9wavefront6targetE1EEEvT1_,comdat
.Lfunc_end114:
	.size	_ZN7rocprim17ROCPRIM_400000_NS6detail17trampoline_kernelINS0_14default_configENS1_25transform_config_selectorIiLb0EEEZNS1_14transform_implILb0ES3_S5_NS0_18transform_iteratorINS0_17counting_iteratorImlEEZNS1_24adjacent_difference_implIS3_Lb1ELb0EPiSB_N6thrust23THRUST_200600_302600_NS5minusIiEEEE10hipError_tPvRmT2_T3_mT4_P12ihipStream_tbEUlmE_iEESB_NS0_8identityIvEEEESG_SJ_SK_mSL_SN_bEUlT_E_NS1_11comp_targetILNS1_3genE2ELNS1_11target_archE906ELNS1_3gpuE6ELNS1_3repE0EEENS1_30default_config_static_selectorELNS0_4arch9wavefront6targetE1EEEvT1_, .Lfunc_end114-_ZN7rocprim17ROCPRIM_400000_NS6detail17trampoline_kernelINS0_14default_configENS1_25transform_config_selectorIiLb0EEEZNS1_14transform_implILb0ES3_S5_NS0_18transform_iteratorINS0_17counting_iteratorImlEEZNS1_24adjacent_difference_implIS3_Lb1ELb0EPiSB_N6thrust23THRUST_200600_302600_NS5minusIiEEEE10hipError_tPvRmT2_T3_mT4_P12ihipStream_tbEUlmE_iEESB_NS0_8identityIvEEEESG_SJ_SK_mSL_SN_bEUlT_E_NS1_11comp_targetILNS1_3genE2ELNS1_11target_archE906ELNS1_3gpuE6ELNS1_3repE0EEENS1_30default_config_static_selectorELNS0_4arch9wavefront6targetE1EEEvT1_
                                        ; -- End function
	.section	.AMDGPU.csdata,"",@progbits
; Kernel info:
; codeLenInByte = 0
; NumSgprs: 4
; NumVgprs: 0
; NumAgprs: 0
; TotalNumVgprs: 0
; ScratchSize: 0
; MemoryBound: 0
; FloatMode: 240
; IeeeMode: 1
; LDSByteSize: 0 bytes/workgroup (compile time only)
; SGPRBlocks: 0
; VGPRBlocks: 0
; NumSGPRsForWavesPerEU: 4
; NumVGPRsForWavesPerEU: 1
; AccumOffset: 4
; Occupancy: 8
; WaveLimiterHint : 0
; COMPUTE_PGM_RSRC2:SCRATCH_EN: 0
; COMPUTE_PGM_RSRC2:USER_SGPR: 6
; COMPUTE_PGM_RSRC2:TRAP_HANDLER: 0
; COMPUTE_PGM_RSRC2:TGID_X_EN: 1
; COMPUTE_PGM_RSRC2:TGID_Y_EN: 0
; COMPUTE_PGM_RSRC2:TGID_Z_EN: 0
; COMPUTE_PGM_RSRC2:TIDIG_COMP_CNT: 0
; COMPUTE_PGM_RSRC3_GFX90A:ACCUM_OFFSET: 0
; COMPUTE_PGM_RSRC3_GFX90A:TG_SPLIT: 0
	.section	.text._ZN7rocprim17ROCPRIM_400000_NS6detail17trampoline_kernelINS0_14default_configENS1_25transform_config_selectorIiLb0EEEZNS1_14transform_implILb0ES3_S5_NS0_18transform_iteratorINS0_17counting_iteratorImlEEZNS1_24adjacent_difference_implIS3_Lb1ELb0EPiSB_N6thrust23THRUST_200600_302600_NS5minusIiEEEE10hipError_tPvRmT2_T3_mT4_P12ihipStream_tbEUlmE_iEESB_NS0_8identityIvEEEESG_SJ_SK_mSL_SN_bEUlT_E_NS1_11comp_targetILNS1_3genE10ELNS1_11target_archE1201ELNS1_3gpuE5ELNS1_3repE0EEENS1_30default_config_static_selectorELNS0_4arch9wavefront6targetE1EEEvT1_,"axG",@progbits,_ZN7rocprim17ROCPRIM_400000_NS6detail17trampoline_kernelINS0_14default_configENS1_25transform_config_selectorIiLb0EEEZNS1_14transform_implILb0ES3_S5_NS0_18transform_iteratorINS0_17counting_iteratorImlEEZNS1_24adjacent_difference_implIS3_Lb1ELb0EPiSB_N6thrust23THRUST_200600_302600_NS5minusIiEEEE10hipError_tPvRmT2_T3_mT4_P12ihipStream_tbEUlmE_iEESB_NS0_8identityIvEEEESG_SJ_SK_mSL_SN_bEUlT_E_NS1_11comp_targetILNS1_3genE10ELNS1_11target_archE1201ELNS1_3gpuE5ELNS1_3repE0EEENS1_30default_config_static_selectorELNS0_4arch9wavefront6targetE1EEEvT1_,comdat
	.protected	_ZN7rocprim17ROCPRIM_400000_NS6detail17trampoline_kernelINS0_14default_configENS1_25transform_config_selectorIiLb0EEEZNS1_14transform_implILb0ES3_S5_NS0_18transform_iteratorINS0_17counting_iteratorImlEEZNS1_24adjacent_difference_implIS3_Lb1ELb0EPiSB_N6thrust23THRUST_200600_302600_NS5minusIiEEEE10hipError_tPvRmT2_T3_mT4_P12ihipStream_tbEUlmE_iEESB_NS0_8identityIvEEEESG_SJ_SK_mSL_SN_bEUlT_E_NS1_11comp_targetILNS1_3genE10ELNS1_11target_archE1201ELNS1_3gpuE5ELNS1_3repE0EEENS1_30default_config_static_selectorELNS0_4arch9wavefront6targetE1EEEvT1_ ; -- Begin function _ZN7rocprim17ROCPRIM_400000_NS6detail17trampoline_kernelINS0_14default_configENS1_25transform_config_selectorIiLb0EEEZNS1_14transform_implILb0ES3_S5_NS0_18transform_iteratorINS0_17counting_iteratorImlEEZNS1_24adjacent_difference_implIS3_Lb1ELb0EPiSB_N6thrust23THRUST_200600_302600_NS5minusIiEEEE10hipError_tPvRmT2_T3_mT4_P12ihipStream_tbEUlmE_iEESB_NS0_8identityIvEEEESG_SJ_SK_mSL_SN_bEUlT_E_NS1_11comp_targetILNS1_3genE10ELNS1_11target_archE1201ELNS1_3gpuE5ELNS1_3repE0EEENS1_30default_config_static_selectorELNS0_4arch9wavefront6targetE1EEEvT1_
	.globl	_ZN7rocprim17ROCPRIM_400000_NS6detail17trampoline_kernelINS0_14default_configENS1_25transform_config_selectorIiLb0EEEZNS1_14transform_implILb0ES3_S5_NS0_18transform_iteratorINS0_17counting_iteratorImlEEZNS1_24adjacent_difference_implIS3_Lb1ELb0EPiSB_N6thrust23THRUST_200600_302600_NS5minusIiEEEE10hipError_tPvRmT2_T3_mT4_P12ihipStream_tbEUlmE_iEESB_NS0_8identityIvEEEESG_SJ_SK_mSL_SN_bEUlT_E_NS1_11comp_targetILNS1_3genE10ELNS1_11target_archE1201ELNS1_3gpuE5ELNS1_3repE0EEENS1_30default_config_static_selectorELNS0_4arch9wavefront6targetE1EEEvT1_
	.p2align	8
	.type	_ZN7rocprim17ROCPRIM_400000_NS6detail17trampoline_kernelINS0_14default_configENS1_25transform_config_selectorIiLb0EEEZNS1_14transform_implILb0ES3_S5_NS0_18transform_iteratorINS0_17counting_iteratorImlEEZNS1_24adjacent_difference_implIS3_Lb1ELb0EPiSB_N6thrust23THRUST_200600_302600_NS5minusIiEEEE10hipError_tPvRmT2_T3_mT4_P12ihipStream_tbEUlmE_iEESB_NS0_8identityIvEEEESG_SJ_SK_mSL_SN_bEUlT_E_NS1_11comp_targetILNS1_3genE10ELNS1_11target_archE1201ELNS1_3gpuE5ELNS1_3repE0EEENS1_30default_config_static_selectorELNS0_4arch9wavefront6targetE1EEEvT1_,@function
_ZN7rocprim17ROCPRIM_400000_NS6detail17trampoline_kernelINS0_14default_configENS1_25transform_config_selectorIiLb0EEEZNS1_14transform_implILb0ES3_S5_NS0_18transform_iteratorINS0_17counting_iteratorImlEEZNS1_24adjacent_difference_implIS3_Lb1ELb0EPiSB_N6thrust23THRUST_200600_302600_NS5minusIiEEEE10hipError_tPvRmT2_T3_mT4_P12ihipStream_tbEUlmE_iEESB_NS0_8identityIvEEEESG_SJ_SK_mSL_SN_bEUlT_E_NS1_11comp_targetILNS1_3genE10ELNS1_11target_archE1201ELNS1_3gpuE5ELNS1_3repE0EEENS1_30default_config_static_selectorELNS0_4arch9wavefront6targetE1EEEvT1_: ; @_ZN7rocprim17ROCPRIM_400000_NS6detail17trampoline_kernelINS0_14default_configENS1_25transform_config_selectorIiLb0EEEZNS1_14transform_implILb0ES3_S5_NS0_18transform_iteratorINS0_17counting_iteratorImlEEZNS1_24adjacent_difference_implIS3_Lb1ELb0EPiSB_N6thrust23THRUST_200600_302600_NS5minusIiEEEE10hipError_tPvRmT2_T3_mT4_P12ihipStream_tbEUlmE_iEESB_NS0_8identityIvEEEESG_SJ_SK_mSL_SN_bEUlT_E_NS1_11comp_targetILNS1_3genE10ELNS1_11target_archE1201ELNS1_3gpuE5ELNS1_3repE0EEENS1_30default_config_static_selectorELNS0_4arch9wavefront6targetE1EEEvT1_
; %bb.0:
	.section	.rodata,"a",@progbits
	.p2align	6, 0x0
	.amdhsa_kernel _ZN7rocprim17ROCPRIM_400000_NS6detail17trampoline_kernelINS0_14default_configENS1_25transform_config_selectorIiLb0EEEZNS1_14transform_implILb0ES3_S5_NS0_18transform_iteratorINS0_17counting_iteratorImlEEZNS1_24adjacent_difference_implIS3_Lb1ELb0EPiSB_N6thrust23THRUST_200600_302600_NS5minusIiEEEE10hipError_tPvRmT2_T3_mT4_P12ihipStream_tbEUlmE_iEESB_NS0_8identityIvEEEESG_SJ_SK_mSL_SN_bEUlT_E_NS1_11comp_targetILNS1_3genE10ELNS1_11target_archE1201ELNS1_3gpuE5ELNS1_3repE0EEENS1_30default_config_static_selectorELNS0_4arch9wavefront6targetE1EEEvT1_
		.amdhsa_group_segment_fixed_size 0
		.amdhsa_private_segment_fixed_size 0
		.amdhsa_kernarg_size 56
		.amdhsa_user_sgpr_count 6
		.amdhsa_user_sgpr_private_segment_buffer 1
		.amdhsa_user_sgpr_dispatch_ptr 0
		.amdhsa_user_sgpr_queue_ptr 0
		.amdhsa_user_sgpr_kernarg_segment_ptr 1
		.amdhsa_user_sgpr_dispatch_id 0
		.amdhsa_user_sgpr_flat_scratch_init 0
		.amdhsa_user_sgpr_kernarg_preload_length 0
		.amdhsa_user_sgpr_kernarg_preload_offset 0
		.amdhsa_user_sgpr_private_segment_size 0
		.amdhsa_uses_dynamic_stack 0
		.amdhsa_system_sgpr_private_segment_wavefront_offset 0
		.amdhsa_system_sgpr_workgroup_id_x 1
		.amdhsa_system_sgpr_workgroup_id_y 0
		.amdhsa_system_sgpr_workgroup_id_z 0
		.amdhsa_system_sgpr_workgroup_info 0
		.amdhsa_system_vgpr_workitem_id 0
		.amdhsa_next_free_vgpr 1
		.amdhsa_next_free_sgpr 0
		.amdhsa_accum_offset 4
		.amdhsa_reserve_vcc 0
		.amdhsa_reserve_flat_scratch 0
		.amdhsa_float_round_mode_32 0
		.amdhsa_float_round_mode_16_64 0
		.amdhsa_float_denorm_mode_32 3
		.amdhsa_float_denorm_mode_16_64 3
		.amdhsa_dx10_clamp 1
		.amdhsa_ieee_mode 1
		.amdhsa_fp16_overflow 0
		.amdhsa_tg_split 0
		.amdhsa_exception_fp_ieee_invalid_op 0
		.amdhsa_exception_fp_denorm_src 0
		.amdhsa_exception_fp_ieee_div_zero 0
		.amdhsa_exception_fp_ieee_overflow 0
		.amdhsa_exception_fp_ieee_underflow 0
		.amdhsa_exception_fp_ieee_inexact 0
		.amdhsa_exception_int_div_zero 0
	.end_amdhsa_kernel
	.section	.text._ZN7rocprim17ROCPRIM_400000_NS6detail17trampoline_kernelINS0_14default_configENS1_25transform_config_selectorIiLb0EEEZNS1_14transform_implILb0ES3_S5_NS0_18transform_iteratorINS0_17counting_iteratorImlEEZNS1_24adjacent_difference_implIS3_Lb1ELb0EPiSB_N6thrust23THRUST_200600_302600_NS5minusIiEEEE10hipError_tPvRmT2_T3_mT4_P12ihipStream_tbEUlmE_iEESB_NS0_8identityIvEEEESG_SJ_SK_mSL_SN_bEUlT_E_NS1_11comp_targetILNS1_3genE10ELNS1_11target_archE1201ELNS1_3gpuE5ELNS1_3repE0EEENS1_30default_config_static_selectorELNS0_4arch9wavefront6targetE1EEEvT1_,"axG",@progbits,_ZN7rocprim17ROCPRIM_400000_NS6detail17trampoline_kernelINS0_14default_configENS1_25transform_config_selectorIiLb0EEEZNS1_14transform_implILb0ES3_S5_NS0_18transform_iteratorINS0_17counting_iteratorImlEEZNS1_24adjacent_difference_implIS3_Lb1ELb0EPiSB_N6thrust23THRUST_200600_302600_NS5minusIiEEEE10hipError_tPvRmT2_T3_mT4_P12ihipStream_tbEUlmE_iEESB_NS0_8identityIvEEEESG_SJ_SK_mSL_SN_bEUlT_E_NS1_11comp_targetILNS1_3genE10ELNS1_11target_archE1201ELNS1_3gpuE5ELNS1_3repE0EEENS1_30default_config_static_selectorELNS0_4arch9wavefront6targetE1EEEvT1_,comdat
.Lfunc_end115:
	.size	_ZN7rocprim17ROCPRIM_400000_NS6detail17trampoline_kernelINS0_14default_configENS1_25transform_config_selectorIiLb0EEEZNS1_14transform_implILb0ES3_S5_NS0_18transform_iteratorINS0_17counting_iteratorImlEEZNS1_24adjacent_difference_implIS3_Lb1ELb0EPiSB_N6thrust23THRUST_200600_302600_NS5minusIiEEEE10hipError_tPvRmT2_T3_mT4_P12ihipStream_tbEUlmE_iEESB_NS0_8identityIvEEEESG_SJ_SK_mSL_SN_bEUlT_E_NS1_11comp_targetILNS1_3genE10ELNS1_11target_archE1201ELNS1_3gpuE5ELNS1_3repE0EEENS1_30default_config_static_selectorELNS0_4arch9wavefront6targetE1EEEvT1_, .Lfunc_end115-_ZN7rocprim17ROCPRIM_400000_NS6detail17trampoline_kernelINS0_14default_configENS1_25transform_config_selectorIiLb0EEEZNS1_14transform_implILb0ES3_S5_NS0_18transform_iteratorINS0_17counting_iteratorImlEEZNS1_24adjacent_difference_implIS3_Lb1ELb0EPiSB_N6thrust23THRUST_200600_302600_NS5minusIiEEEE10hipError_tPvRmT2_T3_mT4_P12ihipStream_tbEUlmE_iEESB_NS0_8identityIvEEEESG_SJ_SK_mSL_SN_bEUlT_E_NS1_11comp_targetILNS1_3genE10ELNS1_11target_archE1201ELNS1_3gpuE5ELNS1_3repE0EEENS1_30default_config_static_selectorELNS0_4arch9wavefront6targetE1EEEvT1_
                                        ; -- End function
	.section	.AMDGPU.csdata,"",@progbits
; Kernel info:
; codeLenInByte = 0
; NumSgprs: 4
; NumVgprs: 0
; NumAgprs: 0
; TotalNumVgprs: 0
; ScratchSize: 0
; MemoryBound: 0
; FloatMode: 240
; IeeeMode: 1
; LDSByteSize: 0 bytes/workgroup (compile time only)
; SGPRBlocks: 0
; VGPRBlocks: 0
; NumSGPRsForWavesPerEU: 4
; NumVGPRsForWavesPerEU: 1
; AccumOffset: 4
; Occupancy: 8
; WaveLimiterHint : 0
; COMPUTE_PGM_RSRC2:SCRATCH_EN: 0
; COMPUTE_PGM_RSRC2:USER_SGPR: 6
; COMPUTE_PGM_RSRC2:TRAP_HANDLER: 0
; COMPUTE_PGM_RSRC2:TGID_X_EN: 1
; COMPUTE_PGM_RSRC2:TGID_Y_EN: 0
; COMPUTE_PGM_RSRC2:TGID_Z_EN: 0
; COMPUTE_PGM_RSRC2:TIDIG_COMP_CNT: 0
; COMPUTE_PGM_RSRC3_GFX90A:ACCUM_OFFSET: 0
; COMPUTE_PGM_RSRC3_GFX90A:TG_SPLIT: 0
	.section	.text._ZN7rocprim17ROCPRIM_400000_NS6detail17trampoline_kernelINS0_14default_configENS1_25transform_config_selectorIiLb0EEEZNS1_14transform_implILb0ES3_S5_NS0_18transform_iteratorINS0_17counting_iteratorImlEEZNS1_24adjacent_difference_implIS3_Lb1ELb0EPiSB_N6thrust23THRUST_200600_302600_NS5minusIiEEEE10hipError_tPvRmT2_T3_mT4_P12ihipStream_tbEUlmE_iEESB_NS0_8identityIvEEEESG_SJ_SK_mSL_SN_bEUlT_E_NS1_11comp_targetILNS1_3genE10ELNS1_11target_archE1200ELNS1_3gpuE4ELNS1_3repE0EEENS1_30default_config_static_selectorELNS0_4arch9wavefront6targetE1EEEvT1_,"axG",@progbits,_ZN7rocprim17ROCPRIM_400000_NS6detail17trampoline_kernelINS0_14default_configENS1_25transform_config_selectorIiLb0EEEZNS1_14transform_implILb0ES3_S5_NS0_18transform_iteratorINS0_17counting_iteratorImlEEZNS1_24adjacent_difference_implIS3_Lb1ELb0EPiSB_N6thrust23THRUST_200600_302600_NS5minusIiEEEE10hipError_tPvRmT2_T3_mT4_P12ihipStream_tbEUlmE_iEESB_NS0_8identityIvEEEESG_SJ_SK_mSL_SN_bEUlT_E_NS1_11comp_targetILNS1_3genE10ELNS1_11target_archE1200ELNS1_3gpuE4ELNS1_3repE0EEENS1_30default_config_static_selectorELNS0_4arch9wavefront6targetE1EEEvT1_,comdat
	.protected	_ZN7rocprim17ROCPRIM_400000_NS6detail17trampoline_kernelINS0_14default_configENS1_25transform_config_selectorIiLb0EEEZNS1_14transform_implILb0ES3_S5_NS0_18transform_iteratorINS0_17counting_iteratorImlEEZNS1_24adjacent_difference_implIS3_Lb1ELb0EPiSB_N6thrust23THRUST_200600_302600_NS5minusIiEEEE10hipError_tPvRmT2_T3_mT4_P12ihipStream_tbEUlmE_iEESB_NS0_8identityIvEEEESG_SJ_SK_mSL_SN_bEUlT_E_NS1_11comp_targetILNS1_3genE10ELNS1_11target_archE1200ELNS1_3gpuE4ELNS1_3repE0EEENS1_30default_config_static_selectorELNS0_4arch9wavefront6targetE1EEEvT1_ ; -- Begin function _ZN7rocprim17ROCPRIM_400000_NS6detail17trampoline_kernelINS0_14default_configENS1_25transform_config_selectorIiLb0EEEZNS1_14transform_implILb0ES3_S5_NS0_18transform_iteratorINS0_17counting_iteratorImlEEZNS1_24adjacent_difference_implIS3_Lb1ELb0EPiSB_N6thrust23THRUST_200600_302600_NS5minusIiEEEE10hipError_tPvRmT2_T3_mT4_P12ihipStream_tbEUlmE_iEESB_NS0_8identityIvEEEESG_SJ_SK_mSL_SN_bEUlT_E_NS1_11comp_targetILNS1_3genE10ELNS1_11target_archE1200ELNS1_3gpuE4ELNS1_3repE0EEENS1_30default_config_static_selectorELNS0_4arch9wavefront6targetE1EEEvT1_
	.globl	_ZN7rocprim17ROCPRIM_400000_NS6detail17trampoline_kernelINS0_14default_configENS1_25transform_config_selectorIiLb0EEEZNS1_14transform_implILb0ES3_S5_NS0_18transform_iteratorINS0_17counting_iteratorImlEEZNS1_24adjacent_difference_implIS3_Lb1ELb0EPiSB_N6thrust23THRUST_200600_302600_NS5minusIiEEEE10hipError_tPvRmT2_T3_mT4_P12ihipStream_tbEUlmE_iEESB_NS0_8identityIvEEEESG_SJ_SK_mSL_SN_bEUlT_E_NS1_11comp_targetILNS1_3genE10ELNS1_11target_archE1200ELNS1_3gpuE4ELNS1_3repE0EEENS1_30default_config_static_selectorELNS0_4arch9wavefront6targetE1EEEvT1_
	.p2align	8
	.type	_ZN7rocprim17ROCPRIM_400000_NS6detail17trampoline_kernelINS0_14default_configENS1_25transform_config_selectorIiLb0EEEZNS1_14transform_implILb0ES3_S5_NS0_18transform_iteratorINS0_17counting_iteratorImlEEZNS1_24adjacent_difference_implIS3_Lb1ELb0EPiSB_N6thrust23THRUST_200600_302600_NS5minusIiEEEE10hipError_tPvRmT2_T3_mT4_P12ihipStream_tbEUlmE_iEESB_NS0_8identityIvEEEESG_SJ_SK_mSL_SN_bEUlT_E_NS1_11comp_targetILNS1_3genE10ELNS1_11target_archE1200ELNS1_3gpuE4ELNS1_3repE0EEENS1_30default_config_static_selectorELNS0_4arch9wavefront6targetE1EEEvT1_,@function
_ZN7rocprim17ROCPRIM_400000_NS6detail17trampoline_kernelINS0_14default_configENS1_25transform_config_selectorIiLb0EEEZNS1_14transform_implILb0ES3_S5_NS0_18transform_iteratorINS0_17counting_iteratorImlEEZNS1_24adjacent_difference_implIS3_Lb1ELb0EPiSB_N6thrust23THRUST_200600_302600_NS5minusIiEEEE10hipError_tPvRmT2_T3_mT4_P12ihipStream_tbEUlmE_iEESB_NS0_8identityIvEEEESG_SJ_SK_mSL_SN_bEUlT_E_NS1_11comp_targetILNS1_3genE10ELNS1_11target_archE1200ELNS1_3gpuE4ELNS1_3repE0EEENS1_30default_config_static_selectorELNS0_4arch9wavefront6targetE1EEEvT1_: ; @_ZN7rocprim17ROCPRIM_400000_NS6detail17trampoline_kernelINS0_14default_configENS1_25transform_config_selectorIiLb0EEEZNS1_14transform_implILb0ES3_S5_NS0_18transform_iteratorINS0_17counting_iteratorImlEEZNS1_24adjacent_difference_implIS3_Lb1ELb0EPiSB_N6thrust23THRUST_200600_302600_NS5minusIiEEEE10hipError_tPvRmT2_T3_mT4_P12ihipStream_tbEUlmE_iEESB_NS0_8identityIvEEEESG_SJ_SK_mSL_SN_bEUlT_E_NS1_11comp_targetILNS1_3genE10ELNS1_11target_archE1200ELNS1_3gpuE4ELNS1_3repE0EEENS1_30default_config_static_selectorELNS0_4arch9wavefront6targetE1EEEvT1_
; %bb.0:
	.section	.rodata,"a",@progbits
	.p2align	6, 0x0
	.amdhsa_kernel _ZN7rocprim17ROCPRIM_400000_NS6detail17trampoline_kernelINS0_14default_configENS1_25transform_config_selectorIiLb0EEEZNS1_14transform_implILb0ES3_S5_NS0_18transform_iteratorINS0_17counting_iteratorImlEEZNS1_24adjacent_difference_implIS3_Lb1ELb0EPiSB_N6thrust23THRUST_200600_302600_NS5minusIiEEEE10hipError_tPvRmT2_T3_mT4_P12ihipStream_tbEUlmE_iEESB_NS0_8identityIvEEEESG_SJ_SK_mSL_SN_bEUlT_E_NS1_11comp_targetILNS1_3genE10ELNS1_11target_archE1200ELNS1_3gpuE4ELNS1_3repE0EEENS1_30default_config_static_selectorELNS0_4arch9wavefront6targetE1EEEvT1_
		.amdhsa_group_segment_fixed_size 0
		.amdhsa_private_segment_fixed_size 0
		.amdhsa_kernarg_size 56
		.amdhsa_user_sgpr_count 6
		.amdhsa_user_sgpr_private_segment_buffer 1
		.amdhsa_user_sgpr_dispatch_ptr 0
		.amdhsa_user_sgpr_queue_ptr 0
		.amdhsa_user_sgpr_kernarg_segment_ptr 1
		.amdhsa_user_sgpr_dispatch_id 0
		.amdhsa_user_sgpr_flat_scratch_init 0
		.amdhsa_user_sgpr_kernarg_preload_length 0
		.amdhsa_user_sgpr_kernarg_preload_offset 0
		.amdhsa_user_sgpr_private_segment_size 0
		.amdhsa_uses_dynamic_stack 0
		.amdhsa_system_sgpr_private_segment_wavefront_offset 0
		.amdhsa_system_sgpr_workgroup_id_x 1
		.amdhsa_system_sgpr_workgroup_id_y 0
		.amdhsa_system_sgpr_workgroup_id_z 0
		.amdhsa_system_sgpr_workgroup_info 0
		.amdhsa_system_vgpr_workitem_id 0
		.amdhsa_next_free_vgpr 1
		.amdhsa_next_free_sgpr 0
		.amdhsa_accum_offset 4
		.amdhsa_reserve_vcc 0
		.amdhsa_reserve_flat_scratch 0
		.amdhsa_float_round_mode_32 0
		.amdhsa_float_round_mode_16_64 0
		.amdhsa_float_denorm_mode_32 3
		.amdhsa_float_denorm_mode_16_64 3
		.amdhsa_dx10_clamp 1
		.amdhsa_ieee_mode 1
		.amdhsa_fp16_overflow 0
		.amdhsa_tg_split 0
		.amdhsa_exception_fp_ieee_invalid_op 0
		.amdhsa_exception_fp_denorm_src 0
		.amdhsa_exception_fp_ieee_div_zero 0
		.amdhsa_exception_fp_ieee_overflow 0
		.amdhsa_exception_fp_ieee_underflow 0
		.amdhsa_exception_fp_ieee_inexact 0
		.amdhsa_exception_int_div_zero 0
	.end_amdhsa_kernel
	.section	.text._ZN7rocprim17ROCPRIM_400000_NS6detail17trampoline_kernelINS0_14default_configENS1_25transform_config_selectorIiLb0EEEZNS1_14transform_implILb0ES3_S5_NS0_18transform_iteratorINS0_17counting_iteratorImlEEZNS1_24adjacent_difference_implIS3_Lb1ELb0EPiSB_N6thrust23THRUST_200600_302600_NS5minusIiEEEE10hipError_tPvRmT2_T3_mT4_P12ihipStream_tbEUlmE_iEESB_NS0_8identityIvEEEESG_SJ_SK_mSL_SN_bEUlT_E_NS1_11comp_targetILNS1_3genE10ELNS1_11target_archE1200ELNS1_3gpuE4ELNS1_3repE0EEENS1_30default_config_static_selectorELNS0_4arch9wavefront6targetE1EEEvT1_,"axG",@progbits,_ZN7rocprim17ROCPRIM_400000_NS6detail17trampoline_kernelINS0_14default_configENS1_25transform_config_selectorIiLb0EEEZNS1_14transform_implILb0ES3_S5_NS0_18transform_iteratorINS0_17counting_iteratorImlEEZNS1_24adjacent_difference_implIS3_Lb1ELb0EPiSB_N6thrust23THRUST_200600_302600_NS5minusIiEEEE10hipError_tPvRmT2_T3_mT4_P12ihipStream_tbEUlmE_iEESB_NS0_8identityIvEEEESG_SJ_SK_mSL_SN_bEUlT_E_NS1_11comp_targetILNS1_3genE10ELNS1_11target_archE1200ELNS1_3gpuE4ELNS1_3repE0EEENS1_30default_config_static_selectorELNS0_4arch9wavefront6targetE1EEEvT1_,comdat
.Lfunc_end116:
	.size	_ZN7rocprim17ROCPRIM_400000_NS6detail17trampoline_kernelINS0_14default_configENS1_25transform_config_selectorIiLb0EEEZNS1_14transform_implILb0ES3_S5_NS0_18transform_iteratorINS0_17counting_iteratorImlEEZNS1_24adjacent_difference_implIS3_Lb1ELb0EPiSB_N6thrust23THRUST_200600_302600_NS5minusIiEEEE10hipError_tPvRmT2_T3_mT4_P12ihipStream_tbEUlmE_iEESB_NS0_8identityIvEEEESG_SJ_SK_mSL_SN_bEUlT_E_NS1_11comp_targetILNS1_3genE10ELNS1_11target_archE1200ELNS1_3gpuE4ELNS1_3repE0EEENS1_30default_config_static_selectorELNS0_4arch9wavefront6targetE1EEEvT1_, .Lfunc_end116-_ZN7rocprim17ROCPRIM_400000_NS6detail17trampoline_kernelINS0_14default_configENS1_25transform_config_selectorIiLb0EEEZNS1_14transform_implILb0ES3_S5_NS0_18transform_iteratorINS0_17counting_iteratorImlEEZNS1_24adjacent_difference_implIS3_Lb1ELb0EPiSB_N6thrust23THRUST_200600_302600_NS5minusIiEEEE10hipError_tPvRmT2_T3_mT4_P12ihipStream_tbEUlmE_iEESB_NS0_8identityIvEEEESG_SJ_SK_mSL_SN_bEUlT_E_NS1_11comp_targetILNS1_3genE10ELNS1_11target_archE1200ELNS1_3gpuE4ELNS1_3repE0EEENS1_30default_config_static_selectorELNS0_4arch9wavefront6targetE1EEEvT1_
                                        ; -- End function
	.section	.AMDGPU.csdata,"",@progbits
; Kernel info:
; codeLenInByte = 0
; NumSgprs: 4
; NumVgprs: 0
; NumAgprs: 0
; TotalNumVgprs: 0
; ScratchSize: 0
; MemoryBound: 0
; FloatMode: 240
; IeeeMode: 1
; LDSByteSize: 0 bytes/workgroup (compile time only)
; SGPRBlocks: 0
; VGPRBlocks: 0
; NumSGPRsForWavesPerEU: 4
; NumVGPRsForWavesPerEU: 1
; AccumOffset: 4
; Occupancy: 8
; WaveLimiterHint : 0
; COMPUTE_PGM_RSRC2:SCRATCH_EN: 0
; COMPUTE_PGM_RSRC2:USER_SGPR: 6
; COMPUTE_PGM_RSRC2:TRAP_HANDLER: 0
; COMPUTE_PGM_RSRC2:TGID_X_EN: 1
; COMPUTE_PGM_RSRC2:TGID_Y_EN: 0
; COMPUTE_PGM_RSRC2:TGID_Z_EN: 0
; COMPUTE_PGM_RSRC2:TIDIG_COMP_CNT: 0
; COMPUTE_PGM_RSRC3_GFX90A:ACCUM_OFFSET: 0
; COMPUTE_PGM_RSRC3_GFX90A:TG_SPLIT: 0
	.section	.text._ZN7rocprim17ROCPRIM_400000_NS6detail17trampoline_kernelINS0_14default_configENS1_25transform_config_selectorIiLb0EEEZNS1_14transform_implILb0ES3_S5_NS0_18transform_iteratorINS0_17counting_iteratorImlEEZNS1_24adjacent_difference_implIS3_Lb1ELb0EPiSB_N6thrust23THRUST_200600_302600_NS5minusIiEEEE10hipError_tPvRmT2_T3_mT4_P12ihipStream_tbEUlmE_iEESB_NS0_8identityIvEEEESG_SJ_SK_mSL_SN_bEUlT_E_NS1_11comp_targetILNS1_3genE9ELNS1_11target_archE1100ELNS1_3gpuE3ELNS1_3repE0EEENS1_30default_config_static_selectorELNS0_4arch9wavefront6targetE1EEEvT1_,"axG",@progbits,_ZN7rocprim17ROCPRIM_400000_NS6detail17trampoline_kernelINS0_14default_configENS1_25transform_config_selectorIiLb0EEEZNS1_14transform_implILb0ES3_S5_NS0_18transform_iteratorINS0_17counting_iteratorImlEEZNS1_24adjacent_difference_implIS3_Lb1ELb0EPiSB_N6thrust23THRUST_200600_302600_NS5minusIiEEEE10hipError_tPvRmT2_T3_mT4_P12ihipStream_tbEUlmE_iEESB_NS0_8identityIvEEEESG_SJ_SK_mSL_SN_bEUlT_E_NS1_11comp_targetILNS1_3genE9ELNS1_11target_archE1100ELNS1_3gpuE3ELNS1_3repE0EEENS1_30default_config_static_selectorELNS0_4arch9wavefront6targetE1EEEvT1_,comdat
	.protected	_ZN7rocprim17ROCPRIM_400000_NS6detail17trampoline_kernelINS0_14default_configENS1_25transform_config_selectorIiLb0EEEZNS1_14transform_implILb0ES3_S5_NS0_18transform_iteratorINS0_17counting_iteratorImlEEZNS1_24adjacent_difference_implIS3_Lb1ELb0EPiSB_N6thrust23THRUST_200600_302600_NS5minusIiEEEE10hipError_tPvRmT2_T3_mT4_P12ihipStream_tbEUlmE_iEESB_NS0_8identityIvEEEESG_SJ_SK_mSL_SN_bEUlT_E_NS1_11comp_targetILNS1_3genE9ELNS1_11target_archE1100ELNS1_3gpuE3ELNS1_3repE0EEENS1_30default_config_static_selectorELNS0_4arch9wavefront6targetE1EEEvT1_ ; -- Begin function _ZN7rocprim17ROCPRIM_400000_NS6detail17trampoline_kernelINS0_14default_configENS1_25transform_config_selectorIiLb0EEEZNS1_14transform_implILb0ES3_S5_NS0_18transform_iteratorINS0_17counting_iteratorImlEEZNS1_24adjacent_difference_implIS3_Lb1ELb0EPiSB_N6thrust23THRUST_200600_302600_NS5minusIiEEEE10hipError_tPvRmT2_T3_mT4_P12ihipStream_tbEUlmE_iEESB_NS0_8identityIvEEEESG_SJ_SK_mSL_SN_bEUlT_E_NS1_11comp_targetILNS1_3genE9ELNS1_11target_archE1100ELNS1_3gpuE3ELNS1_3repE0EEENS1_30default_config_static_selectorELNS0_4arch9wavefront6targetE1EEEvT1_
	.globl	_ZN7rocprim17ROCPRIM_400000_NS6detail17trampoline_kernelINS0_14default_configENS1_25transform_config_selectorIiLb0EEEZNS1_14transform_implILb0ES3_S5_NS0_18transform_iteratorINS0_17counting_iteratorImlEEZNS1_24adjacent_difference_implIS3_Lb1ELb0EPiSB_N6thrust23THRUST_200600_302600_NS5minusIiEEEE10hipError_tPvRmT2_T3_mT4_P12ihipStream_tbEUlmE_iEESB_NS0_8identityIvEEEESG_SJ_SK_mSL_SN_bEUlT_E_NS1_11comp_targetILNS1_3genE9ELNS1_11target_archE1100ELNS1_3gpuE3ELNS1_3repE0EEENS1_30default_config_static_selectorELNS0_4arch9wavefront6targetE1EEEvT1_
	.p2align	8
	.type	_ZN7rocprim17ROCPRIM_400000_NS6detail17trampoline_kernelINS0_14default_configENS1_25transform_config_selectorIiLb0EEEZNS1_14transform_implILb0ES3_S5_NS0_18transform_iteratorINS0_17counting_iteratorImlEEZNS1_24adjacent_difference_implIS3_Lb1ELb0EPiSB_N6thrust23THRUST_200600_302600_NS5minusIiEEEE10hipError_tPvRmT2_T3_mT4_P12ihipStream_tbEUlmE_iEESB_NS0_8identityIvEEEESG_SJ_SK_mSL_SN_bEUlT_E_NS1_11comp_targetILNS1_3genE9ELNS1_11target_archE1100ELNS1_3gpuE3ELNS1_3repE0EEENS1_30default_config_static_selectorELNS0_4arch9wavefront6targetE1EEEvT1_,@function
_ZN7rocprim17ROCPRIM_400000_NS6detail17trampoline_kernelINS0_14default_configENS1_25transform_config_selectorIiLb0EEEZNS1_14transform_implILb0ES3_S5_NS0_18transform_iteratorINS0_17counting_iteratorImlEEZNS1_24adjacent_difference_implIS3_Lb1ELb0EPiSB_N6thrust23THRUST_200600_302600_NS5minusIiEEEE10hipError_tPvRmT2_T3_mT4_P12ihipStream_tbEUlmE_iEESB_NS0_8identityIvEEEESG_SJ_SK_mSL_SN_bEUlT_E_NS1_11comp_targetILNS1_3genE9ELNS1_11target_archE1100ELNS1_3gpuE3ELNS1_3repE0EEENS1_30default_config_static_selectorELNS0_4arch9wavefront6targetE1EEEvT1_: ; @_ZN7rocprim17ROCPRIM_400000_NS6detail17trampoline_kernelINS0_14default_configENS1_25transform_config_selectorIiLb0EEEZNS1_14transform_implILb0ES3_S5_NS0_18transform_iteratorINS0_17counting_iteratorImlEEZNS1_24adjacent_difference_implIS3_Lb1ELb0EPiSB_N6thrust23THRUST_200600_302600_NS5minusIiEEEE10hipError_tPvRmT2_T3_mT4_P12ihipStream_tbEUlmE_iEESB_NS0_8identityIvEEEESG_SJ_SK_mSL_SN_bEUlT_E_NS1_11comp_targetILNS1_3genE9ELNS1_11target_archE1100ELNS1_3gpuE3ELNS1_3repE0EEENS1_30default_config_static_selectorELNS0_4arch9wavefront6targetE1EEEvT1_
; %bb.0:
	.section	.rodata,"a",@progbits
	.p2align	6, 0x0
	.amdhsa_kernel _ZN7rocprim17ROCPRIM_400000_NS6detail17trampoline_kernelINS0_14default_configENS1_25transform_config_selectorIiLb0EEEZNS1_14transform_implILb0ES3_S5_NS0_18transform_iteratorINS0_17counting_iteratorImlEEZNS1_24adjacent_difference_implIS3_Lb1ELb0EPiSB_N6thrust23THRUST_200600_302600_NS5minusIiEEEE10hipError_tPvRmT2_T3_mT4_P12ihipStream_tbEUlmE_iEESB_NS0_8identityIvEEEESG_SJ_SK_mSL_SN_bEUlT_E_NS1_11comp_targetILNS1_3genE9ELNS1_11target_archE1100ELNS1_3gpuE3ELNS1_3repE0EEENS1_30default_config_static_selectorELNS0_4arch9wavefront6targetE1EEEvT1_
		.amdhsa_group_segment_fixed_size 0
		.amdhsa_private_segment_fixed_size 0
		.amdhsa_kernarg_size 56
		.amdhsa_user_sgpr_count 6
		.amdhsa_user_sgpr_private_segment_buffer 1
		.amdhsa_user_sgpr_dispatch_ptr 0
		.amdhsa_user_sgpr_queue_ptr 0
		.amdhsa_user_sgpr_kernarg_segment_ptr 1
		.amdhsa_user_sgpr_dispatch_id 0
		.amdhsa_user_sgpr_flat_scratch_init 0
		.amdhsa_user_sgpr_kernarg_preload_length 0
		.amdhsa_user_sgpr_kernarg_preload_offset 0
		.amdhsa_user_sgpr_private_segment_size 0
		.amdhsa_uses_dynamic_stack 0
		.amdhsa_system_sgpr_private_segment_wavefront_offset 0
		.amdhsa_system_sgpr_workgroup_id_x 1
		.amdhsa_system_sgpr_workgroup_id_y 0
		.amdhsa_system_sgpr_workgroup_id_z 0
		.amdhsa_system_sgpr_workgroup_info 0
		.amdhsa_system_vgpr_workitem_id 0
		.amdhsa_next_free_vgpr 1
		.amdhsa_next_free_sgpr 0
		.amdhsa_accum_offset 4
		.amdhsa_reserve_vcc 0
		.amdhsa_reserve_flat_scratch 0
		.amdhsa_float_round_mode_32 0
		.amdhsa_float_round_mode_16_64 0
		.amdhsa_float_denorm_mode_32 3
		.amdhsa_float_denorm_mode_16_64 3
		.amdhsa_dx10_clamp 1
		.amdhsa_ieee_mode 1
		.amdhsa_fp16_overflow 0
		.amdhsa_tg_split 0
		.amdhsa_exception_fp_ieee_invalid_op 0
		.amdhsa_exception_fp_denorm_src 0
		.amdhsa_exception_fp_ieee_div_zero 0
		.amdhsa_exception_fp_ieee_overflow 0
		.amdhsa_exception_fp_ieee_underflow 0
		.amdhsa_exception_fp_ieee_inexact 0
		.amdhsa_exception_int_div_zero 0
	.end_amdhsa_kernel
	.section	.text._ZN7rocprim17ROCPRIM_400000_NS6detail17trampoline_kernelINS0_14default_configENS1_25transform_config_selectorIiLb0EEEZNS1_14transform_implILb0ES3_S5_NS0_18transform_iteratorINS0_17counting_iteratorImlEEZNS1_24adjacent_difference_implIS3_Lb1ELb0EPiSB_N6thrust23THRUST_200600_302600_NS5minusIiEEEE10hipError_tPvRmT2_T3_mT4_P12ihipStream_tbEUlmE_iEESB_NS0_8identityIvEEEESG_SJ_SK_mSL_SN_bEUlT_E_NS1_11comp_targetILNS1_3genE9ELNS1_11target_archE1100ELNS1_3gpuE3ELNS1_3repE0EEENS1_30default_config_static_selectorELNS0_4arch9wavefront6targetE1EEEvT1_,"axG",@progbits,_ZN7rocprim17ROCPRIM_400000_NS6detail17trampoline_kernelINS0_14default_configENS1_25transform_config_selectorIiLb0EEEZNS1_14transform_implILb0ES3_S5_NS0_18transform_iteratorINS0_17counting_iteratorImlEEZNS1_24adjacent_difference_implIS3_Lb1ELb0EPiSB_N6thrust23THRUST_200600_302600_NS5minusIiEEEE10hipError_tPvRmT2_T3_mT4_P12ihipStream_tbEUlmE_iEESB_NS0_8identityIvEEEESG_SJ_SK_mSL_SN_bEUlT_E_NS1_11comp_targetILNS1_3genE9ELNS1_11target_archE1100ELNS1_3gpuE3ELNS1_3repE0EEENS1_30default_config_static_selectorELNS0_4arch9wavefront6targetE1EEEvT1_,comdat
.Lfunc_end117:
	.size	_ZN7rocprim17ROCPRIM_400000_NS6detail17trampoline_kernelINS0_14default_configENS1_25transform_config_selectorIiLb0EEEZNS1_14transform_implILb0ES3_S5_NS0_18transform_iteratorINS0_17counting_iteratorImlEEZNS1_24adjacent_difference_implIS3_Lb1ELb0EPiSB_N6thrust23THRUST_200600_302600_NS5minusIiEEEE10hipError_tPvRmT2_T3_mT4_P12ihipStream_tbEUlmE_iEESB_NS0_8identityIvEEEESG_SJ_SK_mSL_SN_bEUlT_E_NS1_11comp_targetILNS1_3genE9ELNS1_11target_archE1100ELNS1_3gpuE3ELNS1_3repE0EEENS1_30default_config_static_selectorELNS0_4arch9wavefront6targetE1EEEvT1_, .Lfunc_end117-_ZN7rocprim17ROCPRIM_400000_NS6detail17trampoline_kernelINS0_14default_configENS1_25transform_config_selectorIiLb0EEEZNS1_14transform_implILb0ES3_S5_NS0_18transform_iteratorINS0_17counting_iteratorImlEEZNS1_24adjacent_difference_implIS3_Lb1ELb0EPiSB_N6thrust23THRUST_200600_302600_NS5minusIiEEEE10hipError_tPvRmT2_T3_mT4_P12ihipStream_tbEUlmE_iEESB_NS0_8identityIvEEEESG_SJ_SK_mSL_SN_bEUlT_E_NS1_11comp_targetILNS1_3genE9ELNS1_11target_archE1100ELNS1_3gpuE3ELNS1_3repE0EEENS1_30default_config_static_selectorELNS0_4arch9wavefront6targetE1EEEvT1_
                                        ; -- End function
	.section	.AMDGPU.csdata,"",@progbits
; Kernel info:
; codeLenInByte = 0
; NumSgprs: 4
; NumVgprs: 0
; NumAgprs: 0
; TotalNumVgprs: 0
; ScratchSize: 0
; MemoryBound: 0
; FloatMode: 240
; IeeeMode: 1
; LDSByteSize: 0 bytes/workgroup (compile time only)
; SGPRBlocks: 0
; VGPRBlocks: 0
; NumSGPRsForWavesPerEU: 4
; NumVGPRsForWavesPerEU: 1
; AccumOffset: 4
; Occupancy: 8
; WaveLimiterHint : 0
; COMPUTE_PGM_RSRC2:SCRATCH_EN: 0
; COMPUTE_PGM_RSRC2:USER_SGPR: 6
; COMPUTE_PGM_RSRC2:TRAP_HANDLER: 0
; COMPUTE_PGM_RSRC2:TGID_X_EN: 1
; COMPUTE_PGM_RSRC2:TGID_Y_EN: 0
; COMPUTE_PGM_RSRC2:TGID_Z_EN: 0
; COMPUTE_PGM_RSRC2:TIDIG_COMP_CNT: 0
; COMPUTE_PGM_RSRC3_GFX90A:ACCUM_OFFSET: 0
; COMPUTE_PGM_RSRC3_GFX90A:TG_SPLIT: 0
	.section	.text._ZN7rocprim17ROCPRIM_400000_NS6detail17trampoline_kernelINS0_14default_configENS1_25transform_config_selectorIiLb0EEEZNS1_14transform_implILb0ES3_S5_NS0_18transform_iteratorINS0_17counting_iteratorImlEEZNS1_24adjacent_difference_implIS3_Lb1ELb0EPiSB_N6thrust23THRUST_200600_302600_NS5minusIiEEEE10hipError_tPvRmT2_T3_mT4_P12ihipStream_tbEUlmE_iEESB_NS0_8identityIvEEEESG_SJ_SK_mSL_SN_bEUlT_E_NS1_11comp_targetILNS1_3genE8ELNS1_11target_archE1030ELNS1_3gpuE2ELNS1_3repE0EEENS1_30default_config_static_selectorELNS0_4arch9wavefront6targetE1EEEvT1_,"axG",@progbits,_ZN7rocprim17ROCPRIM_400000_NS6detail17trampoline_kernelINS0_14default_configENS1_25transform_config_selectorIiLb0EEEZNS1_14transform_implILb0ES3_S5_NS0_18transform_iteratorINS0_17counting_iteratorImlEEZNS1_24adjacent_difference_implIS3_Lb1ELb0EPiSB_N6thrust23THRUST_200600_302600_NS5minusIiEEEE10hipError_tPvRmT2_T3_mT4_P12ihipStream_tbEUlmE_iEESB_NS0_8identityIvEEEESG_SJ_SK_mSL_SN_bEUlT_E_NS1_11comp_targetILNS1_3genE8ELNS1_11target_archE1030ELNS1_3gpuE2ELNS1_3repE0EEENS1_30default_config_static_selectorELNS0_4arch9wavefront6targetE1EEEvT1_,comdat
	.protected	_ZN7rocprim17ROCPRIM_400000_NS6detail17trampoline_kernelINS0_14default_configENS1_25transform_config_selectorIiLb0EEEZNS1_14transform_implILb0ES3_S5_NS0_18transform_iteratorINS0_17counting_iteratorImlEEZNS1_24adjacent_difference_implIS3_Lb1ELb0EPiSB_N6thrust23THRUST_200600_302600_NS5minusIiEEEE10hipError_tPvRmT2_T3_mT4_P12ihipStream_tbEUlmE_iEESB_NS0_8identityIvEEEESG_SJ_SK_mSL_SN_bEUlT_E_NS1_11comp_targetILNS1_3genE8ELNS1_11target_archE1030ELNS1_3gpuE2ELNS1_3repE0EEENS1_30default_config_static_selectorELNS0_4arch9wavefront6targetE1EEEvT1_ ; -- Begin function _ZN7rocprim17ROCPRIM_400000_NS6detail17trampoline_kernelINS0_14default_configENS1_25transform_config_selectorIiLb0EEEZNS1_14transform_implILb0ES3_S5_NS0_18transform_iteratorINS0_17counting_iteratorImlEEZNS1_24adjacent_difference_implIS3_Lb1ELb0EPiSB_N6thrust23THRUST_200600_302600_NS5minusIiEEEE10hipError_tPvRmT2_T3_mT4_P12ihipStream_tbEUlmE_iEESB_NS0_8identityIvEEEESG_SJ_SK_mSL_SN_bEUlT_E_NS1_11comp_targetILNS1_3genE8ELNS1_11target_archE1030ELNS1_3gpuE2ELNS1_3repE0EEENS1_30default_config_static_selectorELNS0_4arch9wavefront6targetE1EEEvT1_
	.globl	_ZN7rocprim17ROCPRIM_400000_NS6detail17trampoline_kernelINS0_14default_configENS1_25transform_config_selectorIiLb0EEEZNS1_14transform_implILb0ES3_S5_NS0_18transform_iteratorINS0_17counting_iteratorImlEEZNS1_24adjacent_difference_implIS3_Lb1ELb0EPiSB_N6thrust23THRUST_200600_302600_NS5minusIiEEEE10hipError_tPvRmT2_T3_mT4_P12ihipStream_tbEUlmE_iEESB_NS0_8identityIvEEEESG_SJ_SK_mSL_SN_bEUlT_E_NS1_11comp_targetILNS1_3genE8ELNS1_11target_archE1030ELNS1_3gpuE2ELNS1_3repE0EEENS1_30default_config_static_selectorELNS0_4arch9wavefront6targetE1EEEvT1_
	.p2align	8
	.type	_ZN7rocprim17ROCPRIM_400000_NS6detail17trampoline_kernelINS0_14default_configENS1_25transform_config_selectorIiLb0EEEZNS1_14transform_implILb0ES3_S5_NS0_18transform_iteratorINS0_17counting_iteratorImlEEZNS1_24adjacent_difference_implIS3_Lb1ELb0EPiSB_N6thrust23THRUST_200600_302600_NS5minusIiEEEE10hipError_tPvRmT2_T3_mT4_P12ihipStream_tbEUlmE_iEESB_NS0_8identityIvEEEESG_SJ_SK_mSL_SN_bEUlT_E_NS1_11comp_targetILNS1_3genE8ELNS1_11target_archE1030ELNS1_3gpuE2ELNS1_3repE0EEENS1_30default_config_static_selectorELNS0_4arch9wavefront6targetE1EEEvT1_,@function
_ZN7rocprim17ROCPRIM_400000_NS6detail17trampoline_kernelINS0_14default_configENS1_25transform_config_selectorIiLb0EEEZNS1_14transform_implILb0ES3_S5_NS0_18transform_iteratorINS0_17counting_iteratorImlEEZNS1_24adjacent_difference_implIS3_Lb1ELb0EPiSB_N6thrust23THRUST_200600_302600_NS5minusIiEEEE10hipError_tPvRmT2_T3_mT4_P12ihipStream_tbEUlmE_iEESB_NS0_8identityIvEEEESG_SJ_SK_mSL_SN_bEUlT_E_NS1_11comp_targetILNS1_3genE8ELNS1_11target_archE1030ELNS1_3gpuE2ELNS1_3repE0EEENS1_30default_config_static_selectorELNS0_4arch9wavefront6targetE1EEEvT1_: ; @_ZN7rocprim17ROCPRIM_400000_NS6detail17trampoline_kernelINS0_14default_configENS1_25transform_config_selectorIiLb0EEEZNS1_14transform_implILb0ES3_S5_NS0_18transform_iteratorINS0_17counting_iteratorImlEEZNS1_24adjacent_difference_implIS3_Lb1ELb0EPiSB_N6thrust23THRUST_200600_302600_NS5minusIiEEEE10hipError_tPvRmT2_T3_mT4_P12ihipStream_tbEUlmE_iEESB_NS0_8identityIvEEEESG_SJ_SK_mSL_SN_bEUlT_E_NS1_11comp_targetILNS1_3genE8ELNS1_11target_archE1030ELNS1_3gpuE2ELNS1_3repE0EEENS1_30default_config_static_selectorELNS0_4arch9wavefront6targetE1EEEvT1_
; %bb.0:
	.section	.rodata,"a",@progbits
	.p2align	6, 0x0
	.amdhsa_kernel _ZN7rocprim17ROCPRIM_400000_NS6detail17trampoline_kernelINS0_14default_configENS1_25transform_config_selectorIiLb0EEEZNS1_14transform_implILb0ES3_S5_NS0_18transform_iteratorINS0_17counting_iteratorImlEEZNS1_24adjacent_difference_implIS3_Lb1ELb0EPiSB_N6thrust23THRUST_200600_302600_NS5minusIiEEEE10hipError_tPvRmT2_T3_mT4_P12ihipStream_tbEUlmE_iEESB_NS0_8identityIvEEEESG_SJ_SK_mSL_SN_bEUlT_E_NS1_11comp_targetILNS1_3genE8ELNS1_11target_archE1030ELNS1_3gpuE2ELNS1_3repE0EEENS1_30default_config_static_selectorELNS0_4arch9wavefront6targetE1EEEvT1_
		.amdhsa_group_segment_fixed_size 0
		.amdhsa_private_segment_fixed_size 0
		.amdhsa_kernarg_size 56
		.amdhsa_user_sgpr_count 6
		.amdhsa_user_sgpr_private_segment_buffer 1
		.amdhsa_user_sgpr_dispatch_ptr 0
		.amdhsa_user_sgpr_queue_ptr 0
		.amdhsa_user_sgpr_kernarg_segment_ptr 1
		.amdhsa_user_sgpr_dispatch_id 0
		.amdhsa_user_sgpr_flat_scratch_init 0
		.amdhsa_user_sgpr_kernarg_preload_length 0
		.amdhsa_user_sgpr_kernarg_preload_offset 0
		.amdhsa_user_sgpr_private_segment_size 0
		.amdhsa_uses_dynamic_stack 0
		.amdhsa_system_sgpr_private_segment_wavefront_offset 0
		.amdhsa_system_sgpr_workgroup_id_x 1
		.amdhsa_system_sgpr_workgroup_id_y 0
		.amdhsa_system_sgpr_workgroup_id_z 0
		.amdhsa_system_sgpr_workgroup_info 0
		.amdhsa_system_vgpr_workitem_id 0
		.amdhsa_next_free_vgpr 1
		.amdhsa_next_free_sgpr 0
		.amdhsa_accum_offset 4
		.amdhsa_reserve_vcc 0
		.amdhsa_reserve_flat_scratch 0
		.amdhsa_float_round_mode_32 0
		.amdhsa_float_round_mode_16_64 0
		.amdhsa_float_denorm_mode_32 3
		.amdhsa_float_denorm_mode_16_64 3
		.amdhsa_dx10_clamp 1
		.amdhsa_ieee_mode 1
		.amdhsa_fp16_overflow 0
		.amdhsa_tg_split 0
		.amdhsa_exception_fp_ieee_invalid_op 0
		.amdhsa_exception_fp_denorm_src 0
		.amdhsa_exception_fp_ieee_div_zero 0
		.amdhsa_exception_fp_ieee_overflow 0
		.amdhsa_exception_fp_ieee_underflow 0
		.amdhsa_exception_fp_ieee_inexact 0
		.amdhsa_exception_int_div_zero 0
	.end_amdhsa_kernel
	.section	.text._ZN7rocprim17ROCPRIM_400000_NS6detail17trampoline_kernelINS0_14default_configENS1_25transform_config_selectorIiLb0EEEZNS1_14transform_implILb0ES3_S5_NS0_18transform_iteratorINS0_17counting_iteratorImlEEZNS1_24adjacent_difference_implIS3_Lb1ELb0EPiSB_N6thrust23THRUST_200600_302600_NS5minusIiEEEE10hipError_tPvRmT2_T3_mT4_P12ihipStream_tbEUlmE_iEESB_NS0_8identityIvEEEESG_SJ_SK_mSL_SN_bEUlT_E_NS1_11comp_targetILNS1_3genE8ELNS1_11target_archE1030ELNS1_3gpuE2ELNS1_3repE0EEENS1_30default_config_static_selectorELNS0_4arch9wavefront6targetE1EEEvT1_,"axG",@progbits,_ZN7rocprim17ROCPRIM_400000_NS6detail17trampoline_kernelINS0_14default_configENS1_25transform_config_selectorIiLb0EEEZNS1_14transform_implILb0ES3_S5_NS0_18transform_iteratorINS0_17counting_iteratorImlEEZNS1_24adjacent_difference_implIS3_Lb1ELb0EPiSB_N6thrust23THRUST_200600_302600_NS5minusIiEEEE10hipError_tPvRmT2_T3_mT4_P12ihipStream_tbEUlmE_iEESB_NS0_8identityIvEEEESG_SJ_SK_mSL_SN_bEUlT_E_NS1_11comp_targetILNS1_3genE8ELNS1_11target_archE1030ELNS1_3gpuE2ELNS1_3repE0EEENS1_30default_config_static_selectorELNS0_4arch9wavefront6targetE1EEEvT1_,comdat
.Lfunc_end118:
	.size	_ZN7rocprim17ROCPRIM_400000_NS6detail17trampoline_kernelINS0_14default_configENS1_25transform_config_selectorIiLb0EEEZNS1_14transform_implILb0ES3_S5_NS0_18transform_iteratorINS0_17counting_iteratorImlEEZNS1_24adjacent_difference_implIS3_Lb1ELb0EPiSB_N6thrust23THRUST_200600_302600_NS5minusIiEEEE10hipError_tPvRmT2_T3_mT4_P12ihipStream_tbEUlmE_iEESB_NS0_8identityIvEEEESG_SJ_SK_mSL_SN_bEUlT_E_NS1_11comp_targetILNS1_3genE8ELNS1_11target_archE1030ELNS1_3gpuE2ELNS1_3repE0EEENS1_30default_config_static_selectorELNS0_4arch9wavefront6targetE1EEEvT1_, .Lfunc_end118-_ZN7rocprim17ROCPRIM_400000_NS6detail17trampoline_kernelINS0_14default_configENS1_25transform_config_selectorIiLb0EEEZNS1_14transform_implILb0ES3_S5_NS0_18transform_iteratorINS0_17counting_iteratorImlEEZNS1_24adjacent_difference_implIS3_Lb1ELb0EPiSB_N6thrust23THRUST_200600_302600_NS5minusIiEEEE10hipError_tPvRmT2_T3_mT4_P12ihipStream_tbEUlmE_iEESB_NS0_8identityIvEEEESG_SJ_SK_mSL_SN_bEUlT_E_NS1_11comp_targetILNS1_3genE8ELNS1_11target_archE1030ELNS1_3gpuE2ELNS1_3repE0EEENS1_30default_config_static_selectorELNS0_4arch9wavefront6targetE1EEEvT1_
                                        ; -- End function
	.section	.AMDGPU.csdata,"",@progbits
; Kernel info:
; codeLenInByte = 0
; NumSgprs: 4
; NumVgprs: 0
; NumAgprs: 0
; TotalNumVgprs: 0
; ScratchSize: 0
; MemoryBound: 0
; FloatMode: 240
; IeeeMode: 1
; LDSByteSize: 0 bytes/workgroup (compile time only)
; SGPRBlocks: 0
; VGPRBlocks: 0
; NumSGPRsForWavesPerEU: 4
; NumVGPRsForWavesPerEU: 1
; AccumOffset: 4
; Occupancy: 8
; WaveLimiterHint : 0
; COMPUTE_PGM_RSRC2:SCRATCH_EN: 0
; COMPUTE_PGM_RSRC2:USER_SGPR: 6
; COMPUTE_PGM_RSRC2:TRAP_HANDLER: 0
; COMPUTE_PGM_RSRC2:TGID_X_EN: 1
; COMPUTE_PGM_RSRC2:TGID_Y_EN: 0
; COMPUTE_PGM_RSRC2:TGID_Z_EN: 0
; COMPUTE_PGM_RSRC2:TIDIG_COMP_CNT: 0
; COMPUTE_PGM_RSRC3_GFX90A:ACCUM_OFFSET: 0
; COMPUTE_PGM_RSRC3_GFX90A:TG_SPLIT: 0
	.section	.text._ZN7rocprim17ROCPRIM_400000_NS6detail17trampoline_kernelINS0_14default_configENS1_35adjacent_difference_config_selectorILb1EiEEZNS1_24adjacent_difference_implIS3_Lb1ELb0EPiS7_N6thrust23THRUST_200600_302600_NS5minusIiEEEE10hipError_tPvRmT2_T3_mT4_P12ihipStream_tbEUlT_E_NS1_11comp_targetILNS1_3genE0ELNS1_11target_archE4294967295ELNS1_3gpuE0ELNS1_3repE0EEENS1_30default_config_static_selectorELNS0_4arch9wavefront6targetE1EEEvT1_,"axG",@progbits,_ZN7rocprim17ROCPRIM_400000_NS6detail17trampoline_kernelINS0_14default_configENS1_35adjacent_difference_config_selectorILb1EiEEZNS1_24adjacent_difference_implIS3_Lb1ELb0EPiS7_N6thrust23THRUST_200600_302600_NS5minusIiEEEE10hipError_tPvRmT2_T3_mT4_P12ihipStream_tbEUlT_E_NS1_11comp_targetILNS1_3genE0ELNS1_11target_archE4294967295ELNS1_3gpuE0ELNS1_3repE0EEENS1_30default_config_static_selectorELNS0_4arch9wavefront6targetE1EEEvT1_,comdat
	.protected	_ZN7rocprim17ROCPRIM_400000_NS6detail17trampoline_kernelINS0_14default_configENS1_35adjacent_difference_config_selectorILb1EiEEZNS1_24adjacent_difference_implIS3_Lb1ELb0EPiS7_N6thrust23THRUST_200600_302600_NS5minusIiEEEE10hipError_tPvRmT2_T3_mT4_P12ihipStream_tbEUlT_E_NS1_11comp_targetILNS1_3genE0ELNS1_11target_archE4294967295ELNS1_3gpuE0ELNS1_3repE0EEENS1_30default_config_static_selectorELNS0_4arch9wavefront6targetE1EEEvT1_ ; -- Begin function _ZN7rocprim17ROCPRIM_400000_NS6detail17trampoline_kernelINS0_14default_configENS1_35adjacent_difference_config_selectorILb1EiEEZNS1_24adjacent_difference_implIS3_Lb1ELb0EPiS7_N6thrust23THRUST_200600_302600_NS5minusIiEEEE10hipError_tPvRmT2_T3_mT4_P12ihipStream_tbEUlT_E_NS1_11comp_targetILNS1_3genE0ELNS1_11target_archE4294967295ELNS1_3gpuE0ELNS1_3repE0EEENS1_30default_config_static_selectorELNS0_4arch9wavefront6targetE1EEEvT1_
	.globl	_ZN7rocprim17ROCPRIM_400000_NS6detail17trampoline_kernelINS0_14default_configENS1_35adjacent_difference_config_selectorILb1EiEEZNS1_24adjacent_difference_implIS3_Lb1ELb0EPiS7_N6thrust23THRUST_200600_302600_NS5minusIiEEEE10hipError_tPvRmT2_T3_mT4_P12ihipStream_tbEUlT_E_NS1_11comp_targetILNS1_3genE0ELNS1_11target_archE4294967295ELNS1_3gpuE0ELNS1_3repE0EEENS1_30default_config_static_selectorELNS0_4arch9wavefront6targetE1EEEvT1_
	.p2align	8
	.type	_ZN7rocprim17ROCPRIM_400000_NS6detail17trampoline_kernelINS0_14default_configENS1_35adjacent_difference_config_selectorILb1EiEEZNS1_24adjacent_difference_implIS3_Lb1ELb0EPiS7_N6thrust23THRUST_200600_302600_NS5minusIiEEEE10hipError_tPvRmT2_T3_mT4_P12ihipStream_tbEUlT_E_NS1_11comp_targetILNS1_3genE0ELNS1_11target_archE4294967295ELNS1_3gpuE0ELNS1_3repE0EEENS1_30default_config_static_selectorELNS0_4arch9wavefront6targetE1EEEvT1_,@function
_ZN7rocprim17ROCPRIM_400000_NS6detail17trampoline_kernelINS0_14default_configENS1_35adjacent_difference_config_selectorILb1EiEEZNS1_24adjacent_difference_implIS3_Lb1ELb0EPiS7_N6thrust23THRUST_200600_302600_NS5minusIiEEEE10hipError_tPvRmT2_T3_mT4_P12ihipStream_tbEUlT_E_NS1_11comp_targetILNS1_3genE0ELNS1_11target_archE4294967295ELNS1_3gpuE0ELNS1_3repE0EEENS1_30default_config_static_selectorELNS0_4arch9wavefront6targetE1EEEvT1_: ; @_ZN7rocprim17ROCPRIM_400000_NS6detail17trampoline_kernelINS0_14default_configENS1_35adjacent_difference_config_selectorILb1EiEEZNS1_24adjacent_difference_implIS3_Lb1ELb0EPiS7_N6thrust23THRUST_200600_302600_NS5minusIiEEEE10hipError_tPvRmT2_T3_mT4_P12ihipStream_tbEUlT_E_NS1_11comp_targetILNS1_3genE0ELNS1_11target_archE4294967295ELNS1_3gpuE0ELNS1_3repE0EEENS1_30default_config_static_selectorELNS0_4arch9wavefront6targetE1EEEvT1_
; %bb.0:
	.section	.rodata,"a",@progbits
	.p2align	6, 0x0
	.amdhsa_kernel _ZN7rocprim17ROCPRIM_400000_NS6detail17trampoline_kernelINS0_14default_configENS1_35adjacent_difference_config_selectorILb1EiEEZNS1_24adjacent_difference_implIS3_Lb1ELb0EPiS7_N6thrust23THRUST_200600_302600_NS5minusIiEEEE10hipError_tPvRmT2_T3_mT4_P12ihipStream_tbEUlT_E_NS1_11comp_targetILNS1_3genE0ELNS1_11target_archE4294967295ELNS1_3gpuE0ELNS1_3repE0EEENS1_30default_config_static_selectorELNS0_4arch9wavefront6targetE1EEEvT1_
		.amdhsa_group_segment_fixed_size 0
		.amdhsa_private_segment_fixed_size 0
		.amdhsa_kernarg_size 56
		.amdhsa_user_sgpr_count 6
		.amdhsa_user_sgpr_private_segment_buffer 1
		.amdhsa_user_sgpr_dispatch_ptr 0
		.amdhsa_user_sgpr_queue_ptr 0
		.amdhsa_user_sgpr_kernarg_segment_ptr 1
		.amdhsa_user_sgpr_dispatch_id 0
		.amdhsa_user_sgpr_flat_scratch_init 0
		.amdhsa_user_sgpr_kernarg_preload_length 0
		.amdhsa_user_sgpr_kernarg_preload_offset 0
		.amdhsa_user_sgpr_private_segment_size 0
		.amdhsa_uses_dynamic_stack 0
		.amdhsa_system_sgpr_private_segment_wavefront_offset 0
		.amdhsa_system_sgpr_workgroup_id_x 1
		.amdhsa_system_sgpr_workgroup_id_y 0
		.amdhsa_system_sgpr_workgroup_id_z 0
		.amdhsa_system_sgpr_workgroup_info 0
		.amdhsa_system_vgpr_workitem_id 0
		.amdhsa_next_free_vgpr 1
		.amdhsa_next_free_sgpr 0
		.amdhsa_accum_offset 4
		.amdhsa_reserve_vcc 0
		.amdhsa_reserve_flat_scratch 0
		.amdhsa_float_round_mode_32 0
		.amdhsa_float_round_mode_16_64 0
		.amdhsa_float_denorm_mode_32 3
		.amdhsa_float_denorm_mode_16_64 3
		.amdhsa_dx10_clamp 1
		.amdhsa_ieee_mode 1
		.amdhsa_fp16_overflow 0
		.amdhsa_tg_split 0
		.amdhsa_exception_fp_ieee_invalid_op 0
		.amdhsa_exception_fp_denorm_src 0
		.amdhsa_exception_fp_ieee_div_zero 0
		.amdhsa_exception_fp_ieee_overflow 0
		.amdhsa_exception_fp_ieee_underflow 0
		.amdhsa_exception_fp_ieee_inexact 0
		.amdhsa_exception_int_div_zero 0
	.end_amdhsa_kernel
	.section	.text._ZN7rocprim17ROCPRIM_400000_NS6detail17trampoline_kernelINS0_14default_configENS1_35adjacent_difference_config_selectorILb1EiEEZNS1_24adjacent_difference_implIS3_Lb1ELb0EPiS7_N6thrust23THRUST_200600_302600_NS5minusIiEEEE10hipError_tPvRmT2_T3_mT4_P12ihipStream_tbEUlT_E_NS1_11comp_targetILNS1_3genE0ELNS1_11target_archE4294967295ELNS1_3gpuE0ELNS1_3repE0EEENS1_30default_config_static_selectorELNS0_4arch9wavefront6targetE1EEEvT1_,"axG",@progbits,_ZN7rocprim17ROCPRIM_400000_NS6detail17trampoline_kernelINS0_14default_configENS1_35adjacent_difference_config_selectorILb1EiEEZNS1_24adjacent_difference_implIS3_Lb1ELb0EPiS7_N6thrust23THRUST_200600_302600_NS5minusIiEEEE10hipError_tPvRmT2_T3_mT4_P12ihipStream_tbEUlT_E_NS1_11comp_targetILNS1_3genE0ELNS1_11target_archE4294967295ELNS1_3gpuE0ELNS1_3repE0EEENS1_30default_config_static_selectorELNS0_4arch9wavefront6targetE1EEEvT1_,comdat
.Lfunc_end119:
	.size	_ZN7rocprim17ROCPRIM_400000_NS6detail17trampoline_kernelINS0_14default_configENS1_35adjacent_difference_config_selectorILb1EiEEZNS1_24adjacent_difference_implIS3_Lb1ELb0EPiS7_N6thrust23THRUST_200600_302600_NS5minusIiEEEE10hipError_tPvRmT2_T3_mT4_P12ihipStream_tbEUlT_E_NS1_11comp_targetILNS1_3genE0ELNS1_11target_archE4294967295ELNS1_3gpuE0ELNS1_3repE0EEENS1_30default_config_static_selectorELNS0_4arch9wavefront6targetE1EEEvT1_, .Lfunc_end119-_ZN7rocprim17ROCPRIM_400000_NS6detail17trampoline_kernelINS0_14default_configENS1_35adjacent_difference_config_selectorILb1EiEEZNS1_24adjacent_difference_implIS3_Lb1ELb0EPiS7_N6thrust23THRUST_200600_302600_NS5minusIiEEEE10hipError_tPvRmT2_T3_mT4_P12ihipStream_tbEUlT_E_NS1_11comp_targetILNS1_3genE0ELNS1_11target_archE4294967295ELNS1_3gpuE0ELNS1_3repE0EEENS1_30default_config_static_selectorELNS0_4arch9wavefront6targetE1EEEvT1_
                                        ; -- End function
	.section	.AMDGPU.csdata,"",@progbits
; Kernel info:
; codeLenInByte = 0
; NumSgprs: 4
; NumVgprs: 0
; NumAgprs: 0
; TotalNumVgprs: 0
; ScratchSize: 0
; MemoryBound: 0
; FloatMode: 240
; IeeeMode: 1
; LDSByteSize: 0 bytes/workgroup (compile time only)
; SGPRBlocks: 0
; VGPRBlocks: 0
; NumSGPRsForWavesPerEU: 4
; NumVGPRsForWavesPerEU: 1
; AccumOffset: 4
; Occupancy: 8
; WaveLimiterHint : 0
; COMPUTE_PGM_RSRC2:SCRATCH_EN: 0
; COMPUTE_PGM_RSRC2:USER_SGPR: 6
; COMPUTE_PGM_RSRC2:TRAP_HANDLER: 0
; COMPUTE_PGM_RSRC2:TGID_X_EN: 1
; COMPUTE_PGM_RSRC2:TGID_Y_EN: 0
; COMPUTE_PGM_RSRC2:TGID_Z_EN: 0
; COMPUTE_PGM_RSRC2:TIDIG_COMP_CNT: 0
; COMPUTE_PGM_RSRC3_GFX90A:ACCUM_OFFSET: 0
; COMPUTE_PGM_RSRC3_GFX90A:TG_SPLIT: 0
	.section	.text._ZN7rocprim17ROCPRIM_400000_NS6detail17trampoline_kernelINS0_14default_configENS1_35adjacent_difference_config_selectorILb1EiEEZNS1_24adjacent_difference_implIS3_Lb1ELb0EPiS7_N6thrust23THRUST_200600_302600_NS5minusIiEEEE10hipError_tPvRmT2_T3_mT4_P12ihipStream_tbEUlT_E_NS1_11comp_targetILNS1_3genE10ELNS1_11target_archE1201ELNS1_3gpuE5ELNS1_3repE0EEENS1_30default_config_static_selectorELNS0_4arch9wavefront6targetE1EEEvT1_,"axG",@progbits,_ZN7rocprim17ROCPRIM_400000_NS6detail17trampoline_kernelINS0_14default_configENS1_35adjacent_difference_config_selectorILb1EiEEZNS1_24adjacent_difference_implIS3_Lb1ELb0EPiS7_N6thrust23THRUST_200600_302600_NS5minusIiEEEE10hipError_tPvRmT2_T3_mT4_P12ihipStream_tbEUlT_E_NS1_11comp_targetILNS1_3genE10ELNS1_11target_archE1201ELNS1_3gpuE5ELNS1_3repE0EEENS1_30default_config_static_selectorELNS0_4arch9wavefront6targetE1EEEvT1_,comdat
	.protected	_ZN7rocprim17ROCPRIM_400000_NS6detail17trampoline_kernelINS0_14default_configENS1_35adjacent_difference_config_selectorILb1EiEEZNS1_24adjacent_difference_implIS3_Lb1ELb0EPiS7_N6thrust23THRUST_200600_302600_NS5minusIiEEEE10hipError_tPvRmT2_T3_mT4_P12ihipStream_tbEUlT_E_NS1_11comp_targetILNS1_3genE10ELNS1_11target_archE1201ELNS1_3gpuE5ELNS1_3repE0EEENS1_30default_config_static_selectorELNS0_4arch9wavefront6targetE1EEEvT1_ ; -- Begin function _ZN7rocprim17ROCPRIM_400000_NS6detail17trampoline_kernelINS0_14default_configENS1_35adjacent_difference_config_selectorILb1EiEEZNS1_24adjacent_difference_implIS3_Lb1ELb0EPiS7_N6thrust23THRUST_200600_302600_NS5minusIiEEEE10hipError_tPvRmT2_T3_mT4_P12ihipStream_tbEUlT_E_NS1_11comp_targetILNS1_3genE10ELNS1_11target_archE1201ELNS1_3gpuE5ELNS1_3repE0EEENS1_30default_config_static_selectorELNS0_4arch9wavefront6targetE1EEEvT1_
	.globl	_ZN7rocprim17ROCPRIM_400000_NS6detail17trampoline_kernelINS0_14default_configENS1_35adjacent_difference_config_selectorILb1EiEEZNS1_24adjacent_difference_implIS3_Lb1ELb0EPiS7_N6thrust23THRUST_200600_302600_NS5minusIiEEEE10hipError_tPvRmT2_T3_mT4_P12ihipStream_tbEUlT_E_NS1_11comp_targetILNS1_3genE10ELNS1_11target_archE1201ELNS1_3gpuE5ELNS1_3repE0EEENS1_30default_config_static_selectorELNS0_4arch9wavefront6targetE1EEEvT1_
	.p2align	8
	.type	_ZN7rocprim17ROCPRIM_400000_NS6detail17trampoline_kernelINS0_14default_configENS1_35adjacent_difference_config_selectorILb1EiEEZNS1_24adjacent_difference_implIS3_Lb1ELb0EPiS7_N6thrust23THRUST_200600_302600_NS5minusIiEEEE10hipError_tPvRmT2_T3_mT4_P12ihipStream_tbEUlT_E_NS1_11comp_targetILNS1_3genE10ELNS1_11target_archE1201ELNS1_3gpuE5ELNS1_3repE0EEENS1_30default_config_static_selectorELNS0_4arch9wavefront6targetE1EEEvT1_,@function
_ZN7rocprim17ROCPRIM_400000_NS6detail17trampoline_kernelINS0_14default_configENS1_35adjacent_difference_config_selectorILb1EiEEZNS1_24adjacent_difference_implIS3_Lb1ELb0EPiS7_N6thrust23THRUST_200600_302600_NS5minusIiEEEE10hipError_tPvRmT2_T3_mT4_P12ihipStream_tbEUlT_E_NS1_11comp_targetILNS1_3genE10ELNS1_11target_archE1201ELNS1_3gpuE5ELNS1_3repE0EEENS1_30default_config_static_selectorELNS0_4arch9wavefront6targetE1EEEvT1_: ; @_ZN7rocprim17ROCPRIM_400000_NS6detail17trampoline_kernelINS0_14default_configENS1_35adjacent_difference_config_selectorILb1EiEEZNS1_24adjacent_difference_implIS3_Lb1ELb0EPiS7_N6thrust23THRUST_200600_302600_NS5minusIiEEEE10hipError_tPvRmT2_T3_mT4_P12ihipStream_tbEUlT_E_NS1_11comp_targetILNS1_3genE10ELNS1_11target_archE1201ELNS1_3gpuE5ELNS1_3repE0EEENS1_30default_config_static_selectorELNS0_4arch9wavefront6targetE1EEEvT1_
; %bb.0:
	.section	.rodata,"a",@progbits
	.p2align	6, 0x0
	.amdhsa_kernel _ZN7rocprim17ROCPRIM_400000_NS6detail17trampoline_kernelINS0_14default_configENS1_35adjacent_difference_config_selectorILb1EiEEZNS1_24adjacent_difference_implIS3_Lb1ELb0EPiS7_N6thrust23THRUST_200600_302600_NS5minusIiEEEE10hipError_tPvRmT2_T3_mT4_P12ihipStream_tbEUlT_E_NS1_11comp_targetILNS1_3genE10ELNS1_11target_archE1201ELNS1_3gpuE5ELNS1_3repE0EEENS1_30default_config_static_selectorELNS0_4arch9wavefront6targetE1EEEvT1_
		.amdhsa_group_segment_fixed_size 0
		.amdhsa_private_segment_fixed_size 0
		.amdhsa_kernarg_size 56
		.amdhsa_user_sgpr_count 6
		.amdhsa_user_sgpr_private_segment_buffer 1
		.amdhsa_user_sgpr_dispatch_ptr 0
		.amdhsa_user_sgpr_queue_ptr 0
		.amdhsa_user_sgpr_kernarg_segment_ptr 1
		.amdhsa_user_sgpr_dispatch_id 0
		.amdhsa_user_sgpr_flat_scratch_init 0
		.amdhsa_user_sgpr_kernarg_preload_length 0
		.amdhsa_user_sgpr_kernarg_preload_offset 0
		.amdhsa_user_sgpr_private_segment_size 0
		.amdhsa_uses_dynamic_stack 0
		.amdhsa_system_sgpr_private_segment_wavefront_offset 0
		.amdhsa_system_sgpr_workgroup_id_x 1
		.amdhsa_system_sgpr_workgroup_id_y 0
		.amdhsa_system_sgpr_workgroup_id_z 0
		.amdhsa_system_sgpr_workgroup_info 0
		.amdhsa_system_vgpr_workitem_id 0
		.amdhsa_next_free_vgpr 1
		.amdhsa_next_free_sgpr 0
		.amdhsa_accum_offset 4
		.amdhsa_reserve_vcc 0
		.amdhsa_reserve_flat_scratch 0
		.amdhsa_float_round_mode_32 0
		.amdhsa_float_round_mode_16_64 0
		.amdhsa_float_denorm_mode_32 3
		.amdhsa_float_denorm_mode_16_64 3
		.amdhsa_dx10_clamp 1
		.amdhsa_ieee_mode 1
		.amdhsa_fp16_overflow 0
		.amdhsa_tg_split 0
		.amdhsa_exception_fp_ieee_invalid_op 0
		.amdhsa_exception_fp_denorm_src 0
		.amdhsa_exception_fp_ieee_div_zero 0
		.amdhsa_exception_fp_ieee_overflow 0
		.amdhsa_exception_fp_ieee_underflow 0
		.amdhsa_exception_fp_ieee_inexact 0
		.amdhsa_exception_int_div_zero 0
	.end_amdhsa_kernel
	.section	.text._ZN7rocprim17ROCPRIM_400000_NS6detail17trampoline_kernelINS0_14default_configENS1_35adjacent_difference_config_selectorILb1EiEEZNS1_24adjacent_difference_implIS3_Lb1ELb0EPiS7_N6thrust23THRUST_200600_302600_NS5minusIiEEEE10hipError_tPvRmT2_T3_mT4_P12ihipStream_tbEUlT_E_NS1_11comp_targetILNS1_3genE10ELNS1_11target_archE1201ELNS1_3gpuE5ELNS1_3repE0EEENS1_30default_config_static_selectorELNS0_4arch9wavefront6targetE1EEEvT1_,"axG",@progbits,_ZN7rocprim17ROCPRIM_400000_NS6detail17trampoline_kernelINS0_14default_configENS1_35adjacent_difference_config_selectorILb1EiEEZNS1_24adjacent_difference_implIS3_Lb1ELb0EPiS7_N6thrust23THRUST_200600_302600_NS5minusIiEEEE10hipError_tPvRmT2_T3_mT4_P12ihipStream_tbEUlT_E_NS1_11comp_targetILNS1_3genE10ELNS1_11target_archE1201ELNS1_3gpuE5ELNS1_3repE0EEENS1_30default_config_static_selectorELNS0_4arch9wavefront6targetE1EEEvT1_,comdat
.Lfunc_end120:
	.size	_ZN7rocprim17ROCPRIM_400000_NS6detail17trampoline_kernelINS0_14default_configENS1_35adjacent_difference_config_selectorILb1EiEEZNS1_24adjacent_difference_implIS3_Lb1ELb0EPiS7_N6thrust23THRUST_200600_302600_NS5minusIiEEEE10hipError_tPvRmT2_T3_mT4_P12ihipStream_tbEUlT_E_NS1_11comp_targetILNS1_3genE10ELNS1_11target_archE1201ELNS1_3gpuE5ELNS1_3repE0EEENS1_30default_config_static_selectorELNS0_4arch9wavefront6targetE1EEEvT1_, .Lfunc_end120-_ZN7rocprim17ROCPRIM_400000_NS6detail17trampoline_kernelINS0_14default_configENS1_35adjacent_difference_config_selectorILb1EiEEZNS1_24adjacent_difference_implIS3_Lb1ELb0EPiS7_N6thrust23THRUST_200600_302600_NS5minusIiEEEE10hipError_tPvRmT2_T3_mT4_P12ihipStream_tbEUlT_E_NS1_11comp_targetILNS1_3genE10ELNS1_11target_archE1201ELNS1_3gpuE5ELNS1_3repE0EEENS1_30default_config_static_selectorELNS0_4arch9wavefront6targetE1EEEvT1_
                                        ; -- End function
	.section	.AMDGPU.csdata,"",@progbits
; Kernel info:
; codeLenInByte = 0
; NumSgprs: 4
; NumVgprs: 0
; NumAgprs: 0
; TotalNumVgprs: 0
; ScratchSize: 0
; MemoryBound: 0
; FloatMode: 240
; IeeeMode: 1
; LDSByteSize: 0 bytes/workgroup (compile time only)
; SGPRBlocks: 0
; VGPRBlocks: 0
; NumSGPRsForWavesPerEU: 4
; NumVGPRsForWavesPerEU: 1
; AccumOffset: 4
; Occupancy: 8
; WaveLimiterHint : 0
; COMPUTE_PGM_RSRC2:SCRATCH_EN: 0
; COMPUTE_PGM_RSRC2:USER_SGPR: 6
; COMPUTE_PGM_RSRC2:TRAP_HANDLER: 0
; COMPUTE_PGM_RSRC2:TGID_X_EN: 1
; COMPUTE_PGM_RSRC2:TGID_Y_EN: 0
; COMPUTE_PGM_RSRC2:TGID_Z_EN: 0
; COMPUTE_PGM_RSRC2:TIDIG_COMP_CNT: 0
; COMPUTE_PGM_RSRC3_GFX90A:ACCUM_OFFSET: 0
; COMPUTE_PGM_RSRC3_GFX90A:TG_SPLIT: 0
	.section	.text._ZN7rocprim17ROCPRIM_400000_NS6detail17trampoline_kernelINS0_14default_configENS1_35adjacent_difference_config_selectorILb1EiEEZNS1_24adjacent_difference_implIS3_Lb1ELb0EPiS7_N6thrust23THRUST_200600_302600_NS5minusIiEEEE10hipError_tPvRmT2_T3_mT4_P12ihipStream_tbEUlT_E_NS1_11comp_targetILNS1_3genE5ELNS1_11target_archE942ELNS1_3gpuE9ELNS1_3repE0EEENS1_30default_config_static_selectorELNS0_4arch9wavefront6targetE1EEEvT1_,"axG",@progbits,_ZN7rocprim17ROCPRIM_400000_NS6detail17trampoline_kernelINS0_14default_configENS1_35adjacent_difference_config_selectorILb1EiEEZNS1_24adjacent_difference_implIS3_Lb1ELb0EPiS7_N6thrust23THRUST_200600_302600_NS5minusIiEEEE10hipError_tPvRmT2_T3_mT4_P12ihipStream_tbEUlT_E_NS1_11comp_targetILNS1_3genE5ELNS1_11target_archE942ELNS1_3gpuE9ELNS1_3repE0EEENS1_30default_config_static_selectorELNS0_4arch9wavefront6targetE1EEEvT1_,comdat
	.protected	_ZN7rocprim17ROCPRIM_400000_NS6detail17trampoline_kernelINS0_14default_configENS1_35adjacent_difference_config_selectorILb1EiEEZNS1_24adjacent_difference_implIS3_Lb1ELb0EPiS7_N6thrust23THRUST_200600_302600_NS5minusIiEEEE10hipError_tPvRmT2_T3_mT4_P12ihipStream_tbEUlT_E_NS1_11comp_targetILNS1_3genE5ELNS1_11target_archE942ELNS1_3gpuE9ELNS1_3repE0EEENS1_30default_config_static_selectorELNS0_4arch9wavefront6targetE1EEEvT1_ ; -- Begin function _ZN7rocprim17ROCPRIM_400000_NS6detail17trampoline_kernelINS0_14default_configENS1_35adjacent_difference_config_selectorILb1EiEEZNS1_24adjacent_difference_implIS3_Lb1ELb0EPiS7_N6thrust23THRUST_200600_302600_NS5minusIiEEEE10hipError_tPvRmT2_T3_mT4_P12ihipStream_tbEUlT_E_NS1_11comp_targetILNS1_3genE5ELNS1_11target_archE942ELNS1_3gpuE9ELNS1_3repE0EEENS1_30default_config_static_selectorELNS0_4arch9wavefront6targetE1EEEvT1_
	.globl	_ZN7rocprim17ROCPRIM_400000_NS6detail17trampoline_kernelINS0_14default_configENS1_35adjacent_difference_config_selectorILb1EiEEZNS1_24adjacent_difference_implIS3_Lb1ELb0EPiS7_N6thrust23THRUST_200600_302600_NS5minusIiEEEE10hipError_tPvRmT2_T3_mT4_P12ihipStream_tbEUlT_E_NS1_11comp_targetILNS1_3genE5ELNS1_11target_archE942ELNS1_3gpuE9ELNS1_3repE0EEENS1_30default_config_static_selectorELNS0_4arch9wavefront6targetE1EEEvT1_
	.p2align	8
	.type	_ZN7rocprim17ROCPRIM_400000_NS6detail17trampoline_kernelINS0_14default_configENS1_35adjacent_difference_config_selectorILb1EiEEZNS1_24adjacent_difference_implIS3_Lb1ELb0EPiS7_N6thrust23THRUST_200600_302600_NS5minusIiEEEE10hipError_tPvRmT2_T3_mT4_P12ihipStream_tbEUlT_E_NS1_11comp_targetILNS1_3genE5ELNS1_11target_archE942ELNS1_3gpuE9ELNS1_3repE0EEENS1_30default_config_static_selectorELNS0_4arch9wavefront6targetE1EEEvT1_,@function
_ZN7rocprim17ROCPRIM_400000_NS6detail17trampoline_kernelINS0_14default_configENS1_35adjacent_difference_config_selectorILb1EiEEZNS1_24adjacent_difference_implIS3_Lb1ELb0EPiS7_N6thrust23THRUST_200600_302600_NS5minusIiEEEE10hipError_tPvRmT2_T3_mT4_P12ihipStream_tbEUlT_E_NS1_11comp_targetILNS1_3genE5ELNS1_11target_archE942ELNS1_3gpuE9ELNS1_3repE0EEENS1_30default_config_static_selectorELNS0_4arch9wavefront6targetE1EEEvT1_: ; @_ZN7rocprim17ROCPRIM_400000_NS6detail17trampoline_kernelINS0_14default_configENS1_35adjacent_difference_config_selectorILb1EiEEZNS1_24adjacent_difference_implIS3_Lb1ELb0EPiS7_N6thrust23THRUST_200600_302600_NS5minusIiEEEE10hipError_tPvRmT2_T3_mT4_P12ihipStream_tbEUlT_E_NS1_11comp_targetILNS1_3genE5ELNS1_11target_archE942ELNS1_3gpuE9ELNS1_3repE0EEENS1_30default_config_static_selectorELNS0_4arch9wavefront6targetE1EEEvT1_
; %bb.0:
	.section	.rodata,"a",@progbits
	.p2align	6, 0x0
	.amdhsa_kernel _ZN7rocprim17ROCPRIM_400000_NS6detail17trampoline_kernelINS0_14default_configENS1_35adjacent_difference_config_selectorILb1EiEEZNS1_24adjacent_difference_implIS3_Lb1ELb0EPiS7_N6thrust23THRUST_200600_302600_NS5minusIiEEEE10hipError_tPvRmT2_T3_mT4_P12ihipStream_tbEUlT_E_NS1_11comp_targetILNS1_3genE5ELNS1_11target_archE942ELNS1_3gpuE9ELNS1_3repE0EEENS1_30default_config_static_selectorELNS0_4arch9wavefront6targetE1EEEvT1_
		.amdhsa_group_segment_fixed_size 0
		.amdhsa_private_segment_fixed_size 0
		.amdhsa_kernarg_size 56
		.amdhsa_user_sgpr_count 6
		.amdhsa_user_sgpr_private_segment_buffer 1
		.amdhsa_user_sgpr_dispatch_ptr 0
		.amdhsa_user_sgpr_queue_ptr 0
		.amdhsa_user_sgpr_kernarg_segment_ptr 1
		.amdhsa_user_sgpr_dispatch_id 0
		.amdhsa_user_sgpr_flat_scratch_init 0
		.amdhsa_user_sgpr_kernarg_preload_length 0
		.amdhsa_user_sgpr_kernarg_preload_offset 0
		.amdhsa_user_sgpr_private_segment_size 0
		.amdhsa_uses_dynamic_stack 0
		.amdhsa_system_sgpr_private_segment_wavefront_offset 0
		.amdhsa_system_sgpr_workgroup_id_x 1
		.amdhsa_system_sgpr_workgroup_id_y 0
		.amdhsa_system_sgpr_workgroup_id_z 0
		.amdhsa_system_sgpr_workgroup_info 0
		.amdhsa_system_vgpr_workitem_id 0
		.amdhsa_next_free_vgpr 1
		.amdhsa_next_free_sgpr 0
		.amdhsa_accum_offset 4
		.amdhsa_reserve_vcc 0
		.amdhsa_reserve_flat_scratch 0
		.amdhsa_float_round_mode_32 0
		.amdhsa_float_round_mode_16_64 0
		.amdhsa_float_denorm_mode_32 3
		.amdhsa_float_denorm_mode_16_64 3
		.amdhsa_dx10_clamp 1
		.amdhsa_ieee_mode 1
		.amdhsa_fp16_overflow 0
		.amdhsa_tg_split 0
		.amdhsa_exception_fp_ieee_invalid_op 0
		.amdhsa_exception_fp_denorm_src 0
		.amdhsa_exception_fp_ieee_div_zero 0
		.amdhsa_exception_fp_ieee_overflow 0
		.amdhsa_exception_fp_ieee_underflow 0
		.amdhsa_exception_fp_ieee_inexact 0
		.amdhsa_exception_int_div_zero 0
	.end_amdhsa_kernel
	.section	.text._ZN7rocprim17ROCPRIM_400000_NS6detail17trampoline_kernelINS0_14default_configENS1_35adjacent_difference_config_selectorILb1EiEEZNS1_24adjacent_difference_implIS3_Lb1ELb0EPiS7_N6thrust23THRUST_200600_302600_NS5minusIiEEEE10hipError_tPvRmT2_T3_mT4_P12ihipStream_tbEUlT_E_NS1_11comp_targetILNS1_3genE5ELNS1_11target_archE942ELNS1_3gpuE9ELNS1_3repE0EEENS1_30default_config_static_selectorELNS0_4arch9wavefront6targetE1EEEvT1_,"axG",@progbits,_ZN7rocprim17ROCPRIM_400000_NS6detail17trampoline_kernelINS0_14default_configENS1_35adjacent_difference_config_selectorILb1EiEEZNS1_24adjacent_difference_implIS3_Lb1ELb0EPiS7_N6thrust23THRUST_200600_302600_NS5minusIiEEEE10hipError_tPvRmT2_T3_mT4_P12ihipStream_tbEUlT_E_NS1_11comp_targetILNS1_3genE5ELNS1_11target_archE942ELNS1_3gpuE9ELNS1_3repE0EEENS1_30default_config_static_selectorELNS0_4arch9wavefront6targetE1EEEvT1_,comdat
.Lfunc_end121:
	.size	_ZN7rocprim17ROCPRIM_400000_NS6detail17trampoline_kernelINS0_14default_configENS1_35adjacent_difference_config_selectorILb1EiEEZNS1_24adjacent_difference_implIS3_Lb1ELb0EPiS7_N6thrust23THRUST_200600_302600_NS5minusIiEEEE10hipError_tPvRmT2_T3_mT4_P12ihipStream_tbEUlT_E_NS1_11comp_targetILNS1_3genE5ELNS1_11target_archE942ELNS1_3gpuE9ELNS1_3repE0EEENS1_30default_config_static_selectorELNS0_4arch9wavefront6targetE1EEEvT1_, .Lfunc_end121-_ZN7rocprim17ROCPRIM_400000_NS6detail17trampoline_kernelINS0_14default_configENS1_35adjacent_difference_config_selectorILb1EiEEZNS1_24adjacent_difference_implIS3_Lb1ELb0EPiS7_N6thrust23THRUST_200600_302600_NS5minusIiEEEE10hipError_tPvRmT2_T3_mT4_P12ihipStream_tbEUlT_E_NS1_11comp_targetILNS1_3genE5ELNS1_11target_archE942ELNS1_3gpuE9ELNS1_3repE0EEENS1_30default_config_static_selectorELNS0_4arch9wavefront6targetE1EEEvT1_
                                        ; -- End function
	.section	.AMDGPU.csdata,"",@progbits
; Kernel info:
; codeLenInByte = 0
; NumSgprs: 4
; NumVgprs: 0
; NumAgprs: 0
; TotalNumVgprs: 0
; ScratchSize: 0
; MemoryBound: 0
; FloatMode: 240
; IeeeMode: 1
; LDSByteSize: 0 bytes/workgroup (compile time only)
; SGPRBlocks: 0
; VGPRBlocks: 0
; NumSGPRsForWavesPerEU: 4
; NumVGPRsForWavesPerEU: 1
; AccumOffset: 4
; Occupancy: 8
; WaveLimiterHint : 0
; COMPUTE_PGM_RSRC2:SCRATCH_EN: 0
; COMPUTE_PGM_RSRC2:USER_SGPR: 6
; COMPUTE_PGM_RSRC2:TRAP_HANDLER: 0
; COMPUTE_PGM_RSRC2:TGID_X_EN: 1
; COMPUTE_PGM_RSRC2:TGID_Y_EN: 0
; COMPUTE_PGM_RSRC2:TGID_Z_EN: 0
; COMPUTE_PGM_RSRC2:TIDIG_COMP_CNT: 0
; COMPUTE_PGM_RSRC3_GFX90A:ACCUM_OFFSET: 0
; COMPUTE_PGM_RSRC3_GFX90A:TG_SPLIT: 0
	.section	.text._ZN7rocprim17ROCPRIM_400000_NS6detail17trampoline_kernelINS0_14default_configENS1_35adjacent_difference_config_selectorILb1EiEEZNS1_24adjacent_difference_implIS3_Lb1ELb0EPiS7_N6thrust23THRUST_200600_302600_NS5minusIiEEEE10hipError_tPvRmT2_T3_mT4_P12ihipStream_tbEUlT_E_NS1_11comp_targetILNS1_3genE4ELNS1_11target_archE910ELNS1_3gpuE8ELNS1_3repE0EEENS1_30default_config_static_selectorELNS0_4arch9wavefront6targetE1EEEvT1_,"axG",@progbits,_ZN7rocprim17ROCPRIM_400000_NS6detail17trampoline_kernelINS0_14default_configENS1_35adjacent_difference_config_selectorILb1EiEEZNS1_24adjacent_difference_implIS3_Lb1ELb0EPiS7_N6thrust23THRUST_200600_302600_NS5minusIiEEEE10hipError_tPvRmT2_T3_mT4_P12ihipStream_tbEUlT_E_NS1_11comp_targetILNS1_3genE4ELNS1_11target_archE910ELNS1_3gpuE8ELNS1_3repE0EEENS1_30default_config_static_selectorELNS0_4arch9wavefront6targetE1EEEvT1_,comdat
	.protected	_ZN7rocprim17ROCPRIM_400000_NS6detail17trampoline_kernelINS0_14default_configENS1_35adjacent_difference_config_selectorILb1EiEEZNS1_24adjacent_difference_implIS3_Lb1ELb0EPiS7_N6thrust23THRUST_200600_302600_NS5minusIiEEEE10hipError_tPvRmT2_T3_mT4_P12ihipStream_tbEUlT_E_NS1_11comp_targetILNS1_3genE4ELNS1_11target_archE910ELNS1_3gpuE8ELNS1_3repE0EEENS1_30default_config_static_selectorELNS0_4arch9wavefront6targetE1EEEvT1_ ; -- Begin function _ZN7rocprim17ROCPRIM_400000_NS6detail17trampoline_kernelINS0_14default_configENS1_35adjacent_difference_config_selectorILb1EiEEZNS1_24adjacent_difference_implIS3_Lb1ELb0EPiS7_N6thrust23THRUST_200600_302600_NS5minusIiEEEE10hipError_tPvRmT2_T3_mT4_P12ihipStream_tbEUlT_E_NS1_11comp_targetILNS1_3genE4ELNS1_11target_archE910ELNS1_3gpuE8ELNS1_3repE0EEENS1_30default_config_static_selectorELNS0_4arch9wavefront6targetE1EEEvT1_
	.globl	_ZN7rocprim17ROCPRIM_400000_NS6detail17trampoline_kernelINS0_14default_configENS1_35adjacent_difference_config_selectorILb1EiEEZNS1_24adjacent_difference_implIS3_Lb1ELb0EPiS7_N6thrust23THRUST_200600_302600_NS5minusIiEEEE10hipError_tPvRmT2_T3_mT4_P12ihipStream_tbEUlT_E_NS1_11comp_targetILNS1_3genE4ELNS1_11target_archE910ELNS1_3gpuE8ELNS1_3repE0EEENS1_30default_config_static_selectorELNS0_4arch9wavefront6targetE1EEEvT1_
	.p2align	8
	.type	_ZN7rocprim17ROCPRIM_400000_NS6detail17trampoline_kernelINS0_14default_configENS1_35adjacent_difference_config_selectorILb1EiEEZNS1_24adjacent_difference_implIS3_Lb1ELb0EPiS7_N6thrust23THRUST_200600_302600_NS5minusIiEEEE10hipError_tPvRmT2_T3_mT4_P12ihipStream_tbEUlT_E_NS1_11comp_targetILNS1_3genE4ELNS1_11target_archE910ELNS1_3gpuE8ELNS1_3repE0EEENS1_30default_config_static_selectorELNS0_4arch9wavefront6targetE1EEEvT1_,@function
_ZN7rocprim17ROCPRIM_400000_NS6detail17trampoline_kernelINS0_14default_configENS1_35adjacent_difference_config_selectorILb1EiEEZNS1_24adjacent_difference_implIS3_Lb1ELb0EPiS7_N6thrust23THRUST_200600_302600_NS5minusIiEEEE10hipError_tPvRmT2_T3_mT4_P12ihipStream_tbEUlT_E_NS1_11comp_targetILNS1_3genE4ELNS1_11target_archE910ELNS1_3gpuE8ELNS1_3repE0EEENS1_30default_config_static_selectorELNS0_4arch9wavefront6targetE1EEEvT1_: ; @_ZN7rocprim17ROCPRIM_400000_NS6detail17trampoline_kernelINS0_14default_configENS1_35adjacent_difference_config_selectorILb1EiEEZNS1_24adjacent_difference_implIS3_Lb1ELb0EPiS7_N6thrust23THRUST_200600_302600_NS5minusIiEEEE10hipError_tPvRmT2_T3_mT4_P12ihipStream_tbEUlT_E_NS1_11comp_targetILNS1_3genE4ELNS1_11target_archE910ELNS1_3gpuE8ELNS1_3repE0EEENS1_30default_config_static_selectorELNS0_4arch9wavefront6targetE1EEEvT1_
; %bb.0:
	s_load_dwordx8 s[8:15], s[4:5], 0x0
	s_mov_b32 s0, 0x59999780
	s_load_dwordx4 s[16:19], s[4:5], 0x28
	s_movk_i32 s2, 0xa00
	s_mul_i32 s4, s6, 0xa00
	s_waitcnt lgkmcnt(0)
	s_lshl_b64 s[10:11], s[10:11], 2
	s_add_u32 s26, s8, s10
	s_addc_u32 s27, s9, s11
	s_add_u32 s0, 0xe0, s0
	s_addc_u32 s3, 0, 0
	v_add_co_u32_e64 v1, s[0:1], s0, 2.0
	s_cmp_lg_u64 s[0:1], 0
	s_addc_u32 s0, s3, 0x199999
	v_readfirstlane_b32 s3, v1
	s_mul_hi_u32 s5, s3, 0xfffff600
	s_mul_i32 s1, s0, 0xfffff600
	s_sub_i32 s5, s5, s3
	s_add_i32 s5, s5, s1
	s_mul_i32 s9, s3, 0xfffff600
	s_mul_hi_u32 s1, s3, s5
	s_mul_i32 s8, s3, s5
	s_mul_hi_u32 s3, s3, s9
	s_add_u32 s3, s3, s8
	s_addc_u32 s1, 0, s1
	s_mul_hi_u32 s20, s0, s9
	s_mul_i32 s9, s0, s9
	s_add_u32 s3, s3, s9
	s_mul_hi_u32 s8, s0, s5
	s_addc_u32 s1, s1, s20
	s_addc_u32 s3, s8, 0
	s_mul_i32 s5, s0, s5
	s_add_u32 s1, s1, s5
	s_addc_u32 s3, 0, s3
	v_add_co_u32_e32 v1, vcc, s1, v1
	s_cmp_lg_u64 vcc, 0
	s_addc_u32 s0, s0, s3
	v_readfirstlane_b32 s5, v1
	s_mul_i32 s3, s14, s0
	s_mul_hi_u32 s8, s14, s5
	s_mul_hi_u32 s1, s14, s0
	s_add_u32 s3, s8, s3
	s_addc_u32 s1, 0, s1
	s_mul_hi_u32 s9, s15, s5
	s_mul_i32 s5, s15, s5
	s_add_u32 s3, s3, s5
	s_mul_hi_u32 s8, s15, s0
	s_addc_u32 s1, s1, s9
	s_addc_u32 s3, s8, 0
	s_mul_i32 s0, s15, s0
	s_add_u32 s0, s1, s0
	s_addc_u32 s1, 0, s3
	s_add_u32 s3, s0, 1
	s_addc_u32 s5, s1, 0
	s_add_u32 s8, s0, 2
	s_mul_i32 s20, s1, 0xa00
	s_mul_hi_u32 s21, s0, 0xa00
	s_addc_u32 s9, s1, 0
	s_add_i32 s21, s21, s20
	s_mul_i32 s20, s0, 0xa00
	v_mov_b32_e32 v1, s20
	v_sub_co_u32_e32 v1, vcc, s14, v1
	s_cmp_lg_u64 vcc, 0
	s_subb_u32 s20, s15, s21
	v_subrev_co_u32_e32 v2, vcc, s2, v1
	s_cmp_lg_u64 vcc, 0
	s_subb_u32 s2, s20, 0
	v_readfirstlane_b32 s21, v2
	s_cmpk_gt_u32 s21, 0x9ff
	s_cselect_b32 s21, -1, 0
	s_cmp_eq_u32 s2, 0
	s_cselect_b32 s2, s21, -1
	s_cmp_lg_u32 s2, 0
	s_cselect_b32 s2, s8, s3
	s_cselect_b32 s3, s9, s5
	v_readfirstlane_b32 s5, v1
	s_cmpk_gt_u32 s5, 0x9ff
	s_cselect_b32 s5, -1, 0
	s_cmp_eq_u32 s20, 0
	s_cselect_b32 s5, s5, -1
	s_cmp_lg_u32 s5, 0
	s_cselect_b32 s3, s3, s1
	s_cselect_b32 s2, s2, s0
	s_mul_i32 s0, s3, 0xa00
	s_mul_hi_u32 s1, s2, 0xa00
	s_add_i32 s1, s1, s0
	s_mul_i32 s0, s2, 0xa00
	s_sub_u32 s0, s14, s0
	s_subb_u32 s1, s15, s1
	s_cmp_lg_u64 s[0:1], 0
	s_cselect_b64 s[0:1], -1, 0
	v_cndmask_b32_e64 v1, 0, 1, s[0:1]
	v_readfirstlane_b32 s0, v1
	s_add_u32 s2, s2, s0
	s_addc_u32 s3, s3, 0
	s_add_u32 s8, s18, s6
	s_addc_u32 s9, s19, 0
	s_add_u32 s20, s2, -1
	s_addc_u32 s21, s3, -1
	v_pk_mov_b32 v[2:3], s[20:21], s[20:21] op_sel:[0,1]
	v_cmp_ge_u64_e64 s[0:1], s[8:9], v[2:3]
	s_mov_b32 s7, 0
	s_mov_b64 s[22:23], -1
	s_and_b64 vcc, exec, s[0:1]
	s_mul_i32 s15, s20, 0xfffff600
	s_cbranch_vccz .LBB122_12
; %bb.1:
	s_mov_b32 s5, s7
	s_add_i32 s28, s15, s14
	s_lshl_b64 s[22:23], s[4:5], 2
	s_add_u32 s22, s26, s22
	s_addc_u32 s23, s27, s23
	v_cmp_gt_u32_e32 vcc, s28, v0
                                        ; implicit-def: $vgpr2_vgpr3_vgpr4_vgpr5_vgpr6
	s_and_saveexec_b64 s[24:25], vcc
	s_cbranch_execz .LBB122_3
; %bb.2:
	v_lshlrev_b32_e32 v1, 2, v0
	global_load_dword v2, v1, s[22:23]
.LBB122_3:
	s_or_b64 exec, exec, s[24:25]
	v_or_b32_e32 v1, 0x200, v0
	v_cmp_gt_u32_e32 vcc, s28, v1
	s_and_saveexec_b64 s[24:25], vcc
	s_cbranch_execz .LBB122_5
; %bb.4:
	v_lshlrev_b32_e32 v1, 2, v0
	global_load_dword v3, v1, s[22:23] offset:2048
.LBB122_5:
	s_or_b64 exec, exec, s[24:25]
	v_or_b32_e32 v1, 0x400, v0
	v_cmp_gt_u32_e32 vcc, s28, v1
	s_and_saveexec_b64 s[24:25], vcc
	s_cbranch_execz .LBB122_7
; %bb.6:
	v_lshlrev_b32_e32 v1, 2, v1
	global_load_dword v4, v1, s[22:23]
.LBB122_7:
	s_or_b64 exec, exec, s[24:25]
	v_or_b32_e32 v1, 0x600, v0
	v_cmp_gt_u32_e32 vcc, s28, v1
	s_and_saveexec_b64 s[24:25], vcc
	s_cbranch_execz .LBB122_9
; %bb.8:
	v_lshlrev_b32_e32 v1, 2, v1
	global_load_dword v5, v1, s[22:23]
.LBB122_9:
	;; [unrolled: 9-line block ×3, first 2 shown]
	s_or_b64 exec, exec, s[24:25]
	v_lshlrev_b32_e32 v1, 2, v0
	s_mov_b64 s[22:23], 0
	s_waitcnt vmcnt(0)
	ds_write2st64_b32 v1, v2, v3 offset1:8
	ds_write2st64_b32 v1, v4, v5 offset0:16 offset1:24
	ds_write_b32 v1, v6 offset:8192
	s_waitcnt lgkmcnt(0)
	s_barrier
.LBB122_12:
	s_and_b64 vcc, exec, s[22:23]
	v_lshlrev_b32_e32 v1, 2, v0
	s_cbranch_vccz .LBB122_14
; %bb.13:
	s_mov_b32 s5, 0
	s_lshl_b64 s[22:23], s[4:5], 2
	s_add_u32 s22, s26, s22
	s_addc_u32 s23, s27, s23
	v_mov_b32_e32 v2, s23
	v_add_co_u32_e32 v4, vcc, s22, v1
	v_addc_co_u32_e32 v5, vcc, 0, v2, vcc
	v_add_co_u32_e32 v2, vcc, 0x1000, v4
	v_addc_co_u32_e32 v3, vcc, 0, v5, vcc
	global_load_dword v6, v1, s[22:23]
	global_load_dword v7, v1, s[22:23] offset:2048
	global_load_dword v8, v[2:3], off
	global_load_dword v9, v[2:3], off offset:2048
	v_add_co_u32_e32 v2, vcc, 0x2000, v4
	v_addc_co_u32_e32 v3, vcc, 0, v5, vcc
	global_load_dword v2, v[2:3], off
	s_waitcnt vmcnt(3)
	ds_write2st64_b32 v1, v6, v7 offset1:8
	s_waitcnt vmcnt(1)
	ds_write2st64_b32 v1, v8, v9 offset0:16 offset1:24
	s_waitcnt vmcnt(0)
	ds_write_b32 v1, v2 offset:8192
	s_waitcnt lgkmcnt(0)
	s_barrier
.LBB122_14:
	v_mul_u32_u24_e32 v2, 5, v0
	v_lshlrev_b32_e32 v3, 2, v2
	ds_read_b32 v2, v3
	ds_read2_b32 v[20:21], v3 offset0:1 offset1:2
	ds_read2_b32 v[22:23], v3 offset0:3 offset1:4
	s_cmp_eq_u64 s[8:9], 0
	s_waitcnt lgkmcnt(0)
	s_barrier
	s_cbranch_scc1 .LBB122_19
; %bb.15:
	s_lshl_b64 s[18:19], s[18:19], 2
	s_add_u32 s5, s16, s18
	s_addc_u32 s16, s17, s19
	s_lshl_b64 s[6:7], s[6:7], 2
	s_add_u32 s5, s5, s6
	s_addc_u32 s7, s16, s7
	s_add_u32 s6, s5, -4
	s_addc_u32 s7, s7, -1
	s_load_dword s5, s[6:7], 0x0
	s_cmp_eq_u64 s[8:9], s[20:21]
	s_cbranch_scc1 .LBB122_20
; %bb.16:
	v_cmp_ne_u32_e32 vcc, 0, v0
	s_waitcnt lgkmcnt(0)
	v_mov_b32_e32 v3, s5
	ds_write_b32 v1, v23
	s_waitcnt lgkmcnt(0)
	s_barrier
	s_and_saveexec_b64 s[6:7], vcc
	s_cbranch_execz .LBB122_18
; %bb.17:
	v_add_u32_e32 v3, -4, v1
	ds_read_b32 v3, v3
.LBB122_18:
	s_or_b64 exec, exec, s[6:7]
	v_sub_u32_e32 v8, v23, v22
	v_sub_u32_e32 v9, v22, v21
	v_sub_u32_e32 v12, v21, v20
	v_sub_u32_e32 v15, v20, v2
	s_cbranch_execz .LBB122_21
	s_branch .LBB122_24
.LBB122_19:
                                        ; implicit-def: $vgpr14_vgpr15_vgpr16_vgpr17_vgpr18
                                        ; implicit-def: $vgpr10_vgpr11_vgpr12_vgpr13_vgpr14
	s_mov_b64 s[6:7], 0
                                        ; implicit-def: $vgpr6_vgpr7_vgpr8_vgpr9_vgpr10
                                        ; implicit-def: $vgpr3
                                        ; implicit-def: $vgpr4_vgpr5_vgpr6_vgpr7_vgpr8
	s_branch .LBB122_25
.LBB122_20:
                                        ; implicit-def: $vgpr14_vgpr15_vgpr16_vgpr17_vgpr18
                                        ; implicit-def: $vgpr10_vgpr11_vgpr12_vgpr13_vgpr14
                                        ; implicit-def: $vgpr3
                                        ; implicit-def: $vgpr6_vgpr7_vgpr8_vgpr9_vgpr10
                                        ; implicit-def: $vgpr4_vgpr5_vgpr6_vgpr7_vgpr8
.LBB122_21:
	s_waitcnt lgkmcnt(0)
	v_mul_u32_u24_e32 v3, 5, v0
	v_cmp_ne_u32_e32 vcc, 0, v0
	v_mov_b32_e32 v4, s5
	ds_write_b32 v1, v23
	s_waitcnt lgkmcnt(0)
	s_barrier
	s_and_saveexec_b64 s[6:7], vcc
	s_cbranch_execz .LBB122_23
; %bb.22:
	v_add_u32_e32 v4, -4, v1
	ds_read_b32 v4, v4
.LBB122_23:
	s_or_b64 exec, exec, s[6:7]
	s_mul_i32 s5, s8, 0xfffff600
	s_add_i32 s5, s5, s14
	v_add_u32_e32 v5, 4, v3
	v_sub_u32_e32 v6, v23, v22
	v_cmp_gt_u32_e32 vcc, s5, v5
	v_add_u32_e32 v5, 3, v3
	v_cndmask_b32_e32 v8, v23, v6, vcc
	v_sub_u32_e32 v6, v22, v21
	v_cmp_gt_u32_e32 vcc, s5, v5
	v_add_u32_e32 v5, 2, v3
	v_cndmask_b32_e32 v9, v22, v6, vcc
	;; [unrolled: 4-line block ×3, first 2 shown]
	v_sub_u32_e32 v6, v20, v2
	v_cmp_gt_u32_e32 vcc, s5, v5
	v_cndmask_b32_e32 v15, v20, v6, vcc
	v_cmp_gt_u32_e32 vcc, s5, v3
	s_waitcnt lgkmcnt(0)
	v_cndmask_b32_e32 v3, 0, v4, vcc
.LBB122_24:
	s_mov_b64 s[6:7], -1
	s_cbranch_execnz .LBB122_33
.LBB122_25:
	s_cmp_lg_u64 s[2:3], 1
	v_sub_u32_e32 v9, v22, v21
	v_sub_u32_e32 v8, v23, v22
	;; [unrolled: 1-line block ×4, first 2 shown]
	v_cmp_ne_u32_e32 vcc, 0, v0
	s_cbranch_scc0 .LBB122_29
; %bb.26:
	ds_write_b32 v1, v23
	s_waitcnt lgkmcnt(0)
	s_barrier
	s_waitcnt lgkmcnt(0)
                                        ; implicit-def: $vgpr3
	s_and_saveexec_b64 s[2:3], vcc
	s_cbranch_execz .LBB122_28
; %bb.27:
	v_add_u32_e32 v3, -4, v1
	ds_read_b32 v3, v3
	s_or_b64 s[6:7], s[6:7], exec
.LBB122_28:
	s_or_b64 exec, exec, s[2:3]
	s_branch .LBB122_33
.LBB122_29:
                                        ; implicit-def: $vgpr3
	s_cbranch_execz .LBB122_33
; %bb.30:
	v_mad_u32_u24 v4, v0, 5, 4
	v_cmp_gt_u32_e32 vcc, s14, v4
	v_mad_u32_u24 v4, v0, 5, 3
	v_cndmask_b32_e32 v8, v23, v8, vcc
	v_cmp_gt_u32_e32 vcc, s14, v4
	v_mad_u32_u24 v4, v0, 5, 2
	v_cndmask_b32_e32 v9, v22, v9, vcc
	v_cmp_gt_u32_e32 vcc, s14, v4
	v_mad_u32_u24 v4, v0, 5, 1
	s_waitcnt lgkmcnt(0)
	v_mul_u32_u24_e32 v3, 5, v0
	v_cndmask_b32_e32 v12, v21, v12, vcc
	v_cmp_gt_u32_e32 vcc, s14, v4
	v_cndmask_b32_e32 v15, v20, v15, vcc
	v_cmp_ne_u32_e32 vcc, 0, v0
	v_cmp_gt_u32_e64 s[2:3], s14, v3
	s_and_b64 s[8:9], vcc, s[2:3]
	ds_write_b32 v1, v23
	s_waitcnt lgkmcnt(0)
	s_barrier
	s_waitcnt lgkmcnt(0)
                                        ; implicit-def: $vgpr3
	s_and_saveexec_b64 s[2:3], s[8:9]
	s_cbranch_execz .LBB122_32
; %bb.31:
	v_add_u32_e32 v3, -4, v1
	ds_read_b32 v3, v3
	s_or_b64 s[6:7], s[6:7], exec
.LBB122_32:
	s_or_b64 exec, exec, s[2:3]
.LBB122_33:
	s_and_saveexec_b64 s[2:3], s[6:7]
	s_cbranch_execz .LBB122_35
; %bb.34:
	s_waitcnt lgkmcnt(0)
	v_sub_u32_e32 v2, v2, v3
.LBB122_35:
	s_or_b64 exec, exec, s[2:3]
	s_add_u32 s6, s12, s10
	s_addc_u32 s7, s13, s11
	s_and_b64 vcc, exec, s[0:1]
	s_waitcnt lgkmcnt(0)
	v_mul_u32_u24_e32 v3, 20, v0
	v_lshlrev_b32_e32 v13, 4, v0
	s_barrier
	s_cbranch_vccz .LBB122_45
; %bb.36:
	s_mov_b32 s5, 0
	s_add_i32 s15, s15, s14
	s_lshl_b64 s[0:1], s[4:5], 2
	v_sub_u32_e32 v4, v3, v13
	s_add_u32 s0, s6, s0
	ds_write2_b32 v3, v2, v15 offset1:1
	ds_write2_b32 v3, v12, v9 offset0:2 offset1:3
	ds_write_b32 v3, v8 offset:16
	s_waitcnt lgkmcnt(0)
	s_barrier
	ds_read2st64_b32 v[10:11], v4 offset0:8 offset1:16
	ds_read2st64_b32 v[4:5], v4 offset0:24 offset1:32
	s_addc_u32 s1, s7, s1
	v_mov_b32_e32 v7, s1
	v_add_co_u32_e32 v6, vcc, s0, v1
	v_addc_co_u32_e32 v7, vcc, 0, v7, vcc
	v_cmp_gt_u32_e32 vcc, s15, v0
	s_and_saveexec_b64 s[0:1], vcc
	s_cbranch_execz .LBB122_38
; %bb.37:
	v_sub_u32_e32 v14, 0, v13
	v_add_u32_e32 v14, v3, v14
	ds_read_b32 v14, v14
	s_waitcnt lgkmcnt(0)
	global_store_dword v[6:7], v14, off
.LBB122_38:
	s_or_b64 exec, exec, s[0:1]
	v_or_b32_e32 v14, 0x200, v0
	v_cmp_gt_u32_e32 vcc, s15, v14
	s_and_saveexec_b64 s[0:1], vcc
	s_cbranch_execz .LBB122_40
; %bb.39:
	s_waitcnt lgkmcnt(1)
	global_store_dword v[6:7], v10, off offset:2048
.LBB122_40:
	s_or_b64 exec, exec, s[0:1]
	s_waitcnt lgkmcnt(1)
	v_or_b32_e32 v10, 0x400, v0
	v_cmp_gt_u32_e32 vcc, s15, v10
	s_and_saveexec_b64 s[0:1], vcc
	s_cbranch_execz .LBB122_42
; %bb.41:
	v_add_co_u32_e32 v16, vcc, 0x1000, v6
	v_addc_co_u32_e32 v17, vcc, 0, v7, vcc
	global_store_dword v[16:17], v11, off
.LBB122_42:
	s_or_b64 exec, exec, s[0:1]
	v_or_b32_e32 v10, 0x600, v0
	v_cmp_gt_u32_e32 vcc, s15, v10
	s_and_saveexec_b64 s[0:1], vcc
	s_cbranch_execz .LBB122_44
; %bb.43:
	v_add_co_u32_e32 v10, vcc, 0x1000, v6
	v_addc_co_u32_e32 v11, vcc, 0, v7, vcc
	s_waitcnt lgkmcnt(0)
	global_store_dword v[10:11], v4, off offset:2048
.LBB122_44:
	s_or_b64 exec, exec, s[0:1]
	v_or_b32_e32 v0, 0x800, v0
	v_cmp_gt_u32_e64 s[0:1], s15, v0
	s_branch .LBB122_47
.LBB122_45:
	s_mov_b64 s[0:1], 0
                                        ; implicit-def: $vgpr5
                                        ; implicit-def: $vgpr6_vgpr7
	s_cbranch_execz .LBB122_47
; %bb.46:
	s_mov_b32 s5, 0
	s_lshl_b64 s[2:3], s[4:5], 2
	s_add_u32 s2, s6, s2
	s_addc_u32 s3, s7, s3
	v_sub_u32_e32 v0, v3, v13
	ds_write2_b32 v3, v2, v15 offset1:1
	ds_write2_b32 v3, v12, v9 offset0:2 offset1:3
	ds_write_b32 v3, v8 offset:16
	s_waitcnt lgkmcnt(0)
	s_barrier
	ds_read2st64_b32 v[2:3], v0 offset1:8
	ds_read2st64_b32 v[8:9], v0 offset0:16 offset1:24
	ds_read_b32 v5, v0 offset:8192
	v_mov_b32_e32 v0, s3
	v_add_co_u32_e32 v6, vcc, s2, v1
	v_addc_co_u32_e32 v7, vcc, 0, v0, vcc
	v_add_co_u32_e32 v0, vcc, 0x1000, v6
	s_waitcnt lgkmcnt(2)
	global_store_dword v1, v2, s[2:3]
	global_store_dword v1, v3, s[2:3] offset:2048
	v_addc_co_u32_e32 v1, vcc, 0, v7, vcc
	s_or_b64 s[0:1], s[0:1], exec
	s_waitcnt lgkmcnt(1)
	global_store_dword v[0:1], v8, off
	global_store_dword v[0:1], v9, off offset:2048
.LBB122_47:
	s_and_saveexec_b64 s[2:3], s[0:1]
	s_cbranch_execnz .LBB122_49
; %bb.48:
	s_endpgm
.LBB122_49:
	v_add_co_u32_e32 v0, vcc, 0x2000, v6
	v_addc_co_u32_e32 v1, vcc, 0, v7, vcc
	s_waitcnt lgkmcnt(0)
	global_store_dword v[0:1], v5, off
	s_endpgm
	.section	.rodata,"a",@progbits
	.p2align	6, 0x0
	.amdhsa_kernel _ZN7rocprim17ROCPRIM_400000_NS6detail17trampoline_kernelINS0_14default_configENS1_35adjacent_difference_config_selectorILb1EiEEZNS1_24adjacent_difference_implIS3_Lb1ELb0EPiS7_N6thrust23THRUST_200600_302600_NS5minusIiEEEE10hipError_tPvRmT2_T3_mT4_P12ihipStream_tbEUlT_E_NS1_11comp_targetILNS1_3genE4ELNS1_11target_archE910ELNS1_3gpuE8ELNS1_3repE0EEENS1_30default_config_static_selectorELNS0_4arch9wavefront6targetE1EEEvT1_
		.amdhsa_group_segment_fixed_size 10240
		.amdhsa_private_segment_fixed_size 0
		.amdhsa_kernarg_size 56
		.amdhsa_user_sgpr_count 6
		.amdhsa_user_sgpr_private_segment_buffer 1
		.amdhsa_user_sgpr_dispatch_ptr 0
		.amdhsa_user_sgpr_queue_ptr 0
		.amdhsa_user_sgpr_kernarg_segment_ptr 1
		.amdhsa_user_sgpr_dispatch_id 0
		.amdhsa_user_sgpr_flat_scratch_init 0
		.amdhsa_user_sgpr_kernarg_preload_length 0
		.amdhsa_user_sgpr_kernarg_preload_offset 0
		.amdhsa_user_sgpr_private_segment_size 0
		.amdhsa_uses_dynamic_stack 0
		.amdhsa_system_sgpr_private_segment_wavefront_offset 0
		.amdhsa_system_sgpr_workgroup_id_x 1
		.amdhsa_system_sgpr_workgroup_id_y 0
		.amdhsa_system_sgpr_workgroup_id_z 0
		.amdhsa_system_sgpr_workgroup_info 0
		.amdhsa_system_vgpr_workitem_id 0
		.amdhsa_next_free_vgpr 24
		.amdhsa_next_free_sgpr 29
		.amdhsa_accum_offset 24
		.amdhsa_reserve_vcc 1
		.amdhsa_reserve_flat_scratch 0
		.amdhsa_float_round_mode_32 0
		.amdhsa_float_round_mode_16_64 0
		.amdhsa_float_denorm_mode_32 3
		.amdhsa_float_denorm_mode_16_64 3
		.amdhsa_dx10_clamp 1
		.amdhsa_ieee_mode 1
		.amdhsa_fp16_overflow 0
		.amdhsa_tg_split 0
		.amdhsa_exception_fp_ieee_invalid_op 0
		.amdhsa_exception_fp_denorm_src 0
		.amdhsa_exception_fp_ieee_div_zero 0
		.amdhsa_exception_fp_ieee_overflow 0
		.amdhsa_exception_fp_ieee_underflow 0
		.amdhsa_exception_fp_ieee_inexact 0
		.amdhsa_exception_int_div_zero 0
	.end_amdhsa_kernel
	.section	.text._ZN7rocprim17ROCPRIM_400000_NS6detail17trampoline_kernelINS0_14default_configENS1_35adjacent_difference_config_selectorILb1EiEEZNS1_24adjacent_difference_implIS3_Lb1ELb0EPiS7_N6thrust23THRUST_200600_302600_NS5minusIiEEEE10hipError_tPvRmT2_T3_mT4_P12ihipStream_tbEUlT_E_NS1_11comp_targetILNS1_3genE4ELNS1_11target_archE910ELNS1_3gpuE8ELNS1_3repE0EEENS1_30default_config_static_selectorELNS0_4arch9wavefront6targetE1EEEvT1_,"axG",@progbits,_ZN7rocprim17ROCPRIM_400000_NS6detail17trampoline_kernelINS0_14default_configENS1_35adjacent_difference_config_selectorILb1EiEEZNS1_24adjacent_difference_implIS3_Lb1ELb0EPiS7_N6thrust23THRUST_200600_302600_NS5minusIiEEEE10hipError_tPvRmT2_T3_mT4_P12ihipStream_tbEUlT_E_NS1_11comp_targetILNS1_3genE4ELNS1_11target_archE910ELNS1_3gpuE8ELNS1_3repE0EEENS1_30default_config_static_selectorELNS0_4arch9wavefront6targetE1EEEvT1_,comdat
.Lfunc_end122:
	.size	_ZN7rocprim17ROCPRIM_400000_NS6detail17trampoline_kernelINS0_14default_configENS1_35adjacent_difference_config_selectorILb1EiEEZNS1_24adjacent_difference_implIS3_Lb1ELb0EPiS7_N6thrust23THRUST_200600_302600_NS5minusIiEEEE10hipError_tPvRmT2_T3_mT4_P12ihipStream_tbEUlT_E_NS1_11comp_targetILNS1_3genE4ELNS1_11target_archE910ELNS1_3gpuE8ELNS1_3repE0EEENS1_30default_config_static_selectorELNS0_4arch9wavefront6targetE1EEEvT1_, .Lfunc_end122-_ZN7rocprim17ROCPRIM_400000_NS6detail17trampoline_kernelINS0_14default_configENS1_35adjacent_difference_config_selectorILb1EiEEZNS1_24adjacent_difference_implIS3_Lb1ELb0EPiS7_N6thrust23THRUST_200600_302600_NS5minusIiEEEE10hipError_tPvRmT2_T3_mT4_P12ihipStream_tbEUlT_E_NS1_11comp_targetILNS1_3genE4ELNS1_11target_archE910ELNS1_3gpuE8ELNS1_3repE0EEENS1_30default_config_static_selectorELNS0_4arch9wavefront6targetE1EEEvT1_
                                        ; -- End function
	.section	.AMDGPU.csdata,"",@progbits
; Kernel info:
; codeLenInByte = 1964
; NumSgprs: 33
; NumVgprs: 24
; NumAgprs: 0
; TotalNumVgprs: 24
; ScratchSize: 0
; MemoryBound: 0
; FloatMode: 240
; IeeeMode: 1
; LDSByteSize: 10240 bytes/workgroup (compile time only)
; SGPRBlocks: 4
; VGPRBlocks: 2
; NumSGPRsForWavesPerEU: 33
; NumVGPRsForWavesPerEU: 24
; AccumOffset: 24
; Occupancy: 8
; WaveLimiterHint : 1
; COMPUTE_PGM_RSRC2:SCRATCH_EN: 0
; COMPUTE_PGM_RSRC2:USER_SGPR: 6
; COMPUTE_PGM_RSRC2:TRAP_HANDLER: 0
; COMPUTE_PGM_RSRC2:TGID_X_EN: 1
; COMPUTE_PGM_RSRC2:TGID_Y_EN: 0
; COMPUTE_PGM_RSRC2:TGID_Z_EN: 0
; COMPUTE_PGM_RSRC2:TIDIG_COMP_CNT: 0
; COMPUTE_PGM_RSRC3_GFX90A:ACCUM_OFFSET: 5
; COMPUTE_PGM_RSRC3_GFX90A:TG_SPLIT: 0
	.section	.text._ZN7rocprim17ROCPRIM_400000_NS6detail17trampoline_kernelINS0_14default_configENS1_35adjacent_difference_config_selectorILb1EiEEZNS1_24adjacent_difference_implIS3_Lb1ELb0EPiS7_N6thrust23THRUST_200600_302600_NS5minusIiEEEE10hipError_tPvRmT2_T3_mT4_P12ihipStream_tbEUlT_E_NS1_11comp_targetILNS1_3genE3ELNS1_11target_archE908ELNS1_3gpuE7ELNS1_3repE0EEENS1_30default_config_static_selectorELNS0_4arch9wavefront6targetE1EEEvT1_,"axG",@progbits,_ZN7rocprim17ROCPRIM_400000_NS6detail17trampoline_kernelINS0_14default_configENS1_35adjacent_difference_config_selectorILb1EiEEZNS1_24adjacent_difference_implIS3_Lb1ELb0EPiS7_N6thrust23THRUST_200600_302600_NS5minusIiEEEE10hipError_tPvRmT2_T3_mT4_P12ihipStream_tbEUlT_E_NS1_11comp_targetILNS1_3genE3ELNS1_11target_archE908ELNS1_3gpuE7ELNS1_3repE0EEENS1_30default_config_static_selectorELNS0_4arch9wavefront6targetE1EEEvT1_,comdat
	.protected	_ZN7rocprim17ROCPRIM_400000_NS6detail17trampoline_kernelINS0_14default_configENS1_35adjacent_difference_config_selectorILb1EiEEZNS1_24adjacent_difference_implIS3_Lb1ELb0EPiS7_N6thrust23THRUST_200600_302600_NS5minusIiEEEE10hipError_tPvRmT2_T3_mT4_P12ihipStream_tbEUlT_E_NS1_11comp_targetILNS1_3genE3ELNS1_11target_archE908ELNS1_3gpuE7ELNS1_3repE0EEENS1_30default_config_static_selectorELNS0_4arch9wavefront6targetE1EEEvT1_ ; -- Begin function _ZN7rocprim17ROCPRIM_400000_NS6detail17trampoline_kernelINS0_14default_configENS1_35adjacent_difference_config_selectorILb1EiEEZNS1_24adjacent_difference_implIS3_Lb1ELb0EPiS7_N6thrust23THRUST_200600_302600_NS5minusIiEEEE10hipError_tPvRmT2_T3_mT4_P12ihipStream_tbEUlT_E_NS1_11comp_targetILNS1_3genE3ELNS1_11target_archE908ELNS1_3gpuE7ELNS1_3repE0EEENS1_30default_config_static_selectorELNS0_4arch9wavefront6targetE1EEEvT1_
	.globl	_ZN7rocprim17ROCPRIM_400000_NS6detail17trampoline_kernelINS0_14default_configENS1_35adjacent_difference_config_selectorILb1EiEEZNS1_24adjacent_difference_implIS3_Lb1ELb0EPiS7_N6thrust23THRUST_200600_302600_NS5minusIiEEEE10hipError_tPvRmT2_T3_mT4_P12ihipStream_tbEUlT_E_NS1_11comp_targetILNS1_3genE3ELNS1_11target_archE908ELNS1_3gpuE7ELNS1_3repE0EEENS1_30default_config_static_selectorELNS0_4arch9wavefront6targetE1EEEvT1_
	.p2align	8
	.type	_ZN7rocprim17ROCPRIM_400000_NS6detail17trampoline_kernelINS0_14default_configENS1_35adjacent_difference_config_selectorILb1EiEEZNS1_24adjacent_difference_implIS3_Lb1ELb0EPiS7_N6thrust23THRUST_200600_302600_NS5minusIiEEEE10hipError_tPvRmT2_T3_mT4_P12ihipStream_tbEUlT_E_NS1_11comp_targetILNS1_3genE3ELNS1_11target_archE908ELNS1_3gpuE7ELNS1_3repE0EEENS1_30default_config_static_selectorELNS0_4arch9wavefront6targetE1EEEvT1_,@function
_ZN7rocprim17ROCPRIM_400000_NS6detail17trampoline_kernelINS0_14default_configENS1_35adjacent_difference_config_selectorILb1EiEEZNS1_24adjacent_difference_implIS3_Lb1ELb0EPiS7_N6thrust23THRUST_200600_302600_NS5minusIiEEEE10hipError_tPvRmT2_T3_mT4_P12ihipStream_tbEUlT_E_NS1_11comp_targetILNS1_3genE3ELNS1_11target_archE908ELNS1_3gpuE7ELNS1_3repE0EEENS1_30default_config_static_selectorELNS0_4arch9wavefront6targetE1EEEvT1_: ; @_ZN7rocprim17ROCPRIM_400000_NS6detail17trampoline_kernelINS0_14default_configENS1_35adjacent_difference_config_selectorILb1EiEEZNS1_24adjacent_difference_implIS3_Lb1ELb0EPiS7_N6thrust23THRUST_200600_302600_NS5minusIiEEEE10hipError_tPvRmT2_T3_mT4_P12ihipStream_tbEUlT_E_NS1_11comp_targetILNS1_3genE3ELNS1_11target_archE908ELNS1_3gpuE7ELNS1_3repE0EEENS1_30default_config_static_selectorELNS0_4arch9wavefront6targetE1EEEvT1_
; %bb.0:
	.section	.rodata,"a",@progbits
	.p2align	6, 0x0
	.amdhsa_kernel _ZN7rocprim17ROCPRIM_400000_NS6detail17trampoline_kernelINS0_14default_configENS1_35adjacent_difference_config_selectorILb1EiEEZNS1_24adjacent_difference_implIS3_Lb1ELb0EPiS7_N6thrust23THRUST_200600_302600_NS5minusIiEEEE10hipError_tPvRmT2_T3_mT4_P12ihipStream_tbEUlT_E_NS1_11comp_targetILNS1_3genE3ELNS1_11target_archE908ELNS1_3gpuE7ELNS1_3repE0EEENS1_30default_config_static_selectorELNS0_4arch9wavefront6targetE1EEEvT1_
		.amdhsa_group_segment_fixed_size 0
		.amdhsa_private_segment_fixed_size 0
		.amdhsa_kernarg_size 56
		.amdhsa_user_sgpr_count 6
		.amdhsa_user_sgpr_private_segment_buffer 1
		.amdhsa_user_sgpr_dispatch_ptr 0
		.amdhsa_user_sgpr_queue_ptr 0
		.amdhsa_user_sgpr_kernarg_segment_ptr 1
		.amdhsa_user_sgpr_dispatch_id 0
		.amdhsa_user_sgpr_flat_scratch_init 0
		.amdhsa_user_sgpr_kernarg_preload_length 0
		.amdhsa_user_sgpr_kernarg_preload_offset 0
		.amdhsa_user_sgpr_private_segment_size 0
		.amdhsa_uses_dynamic_stack 0
		.amdhsa_system_sgpr_private_segment_wavefront_offset 0
		.amdhsa_system_sgpr_workgroup_id_x 1
		.amdhsa_system_sgpr_workgroup_id_y 0
		.amdhsa_system_sgpr_workgroup_id_z 0
		.amdhsa_system_sgpr_workgroup_info 0
		.amdhsa_system_vgpr_workitem_id 0
		.amdhsa_next_free_vgpr 1
		.amdhsa_next_free_sgpr 0
		.amdhsa_accum_offset 4
		.amdhsa_reserve_vcc 0
		.amdhsa_reserve_flat_scratch 0
		.amdhsa_float_round_mode_32 0
		.amdhsa_float_round_mode_16_64 0
		.amdhsa_float_denorm_mode_32 3
		.amdhsa_float_denorm_mode_16_64 3
		.amdhsa_dx10_clamp 1
		.amdhsa_ieee_mode 1
		.amdhsa_fp16_overflow 0
		.amdhsa_tg_split 0
		.amdhsa_exception_fp_ieee_invalid_op 0
		.amdhsa_exception_fp_denorm_src 0
		.amdhsa_exception_fp_ieee_div_zero 0
		.amdhsa_exception_fp_ieee_overflow 0
		.amdhsa_exception_fp_ieee_underflow 0
		.amdhsa_exception_fp_ieee_inexact 0
		.amdhsa_exception_int_div_zero 0
	.end_amdhsa_kernel
	.section	.text._ZN7rocprim17ROCPRIM_400000_NS6detail17trampoline_kernelINS0_14default_configENS1_35adjacent_difference_config_selectorILb1EiEEZNS1_24adjacent_difference_implIS3_Lb1ELb0EPiS7_N6thrust23THRUST_200600_302600_NS5minusIiEEEE10hipError_tPvRmT2_T3_mT4_P12ihipStream_tbEUlT_E_NS1_11comp_targetILNS1_3genE3ELNS1_11target_archE908ELNS1_3gpuE7ELNS1_3repE0EEENS1_30default_config_static_selectorELNS0_4arch9wavefront6targetE1EEEvT1_,"axG",@progbits,_ZN7rocprim17ROCPRIM_400000_NS6detail17trampoline_kernelINS0_14default_configENS1_35adjacent_difference_config_selectorILb1EiEEZNS1_24adjacent_difference_implIS3_Lb1ELb0EPiS7_N6thrust23THRUST_200600_302600_NS5minusIiEEEE10hipError_tPvRmT2_T3_mT4_P12ihipStream_tbEUlT_E_NS1_11comp_targetILNS1_3genE3ELNS1_11target_archE908ELNS1_3gpuE7ELNS1_3repE0EEENS1_30default_config_static_selectorELNS0_4arch9wavefront6targetE1EEEvT1_,comdat
.Lfunc_end123:
	.size	_ZN7rocprim17ROCPRIM_400000_NS6detail17trampoline_kernelINS0_14default_configENS1_35adjacent_difference_config_selectorILb1EiEEZNS1_24adjacent_difference_implIS3_Lb1ELb0EPiS7_N6thrust23THRUST_200600_302600_NS5minusIiEEEE10hipError_tPvRmT2_T3_mT4_P12ihipStream_tbEUlT_E_NS1_11comp_targetILNS1_3genE3ELNS1_11target_archE908ELNS1_3gpuE7ELNS1_3repE0EEENS1_30default_config_static_selectorELNS0_4arch9wavefront6targetE1EEEvT1_, .Lfunc_end123-_ZN7rocprim17ROCPRIM_400000_NS6detail17trampoline_kernelINS0_14default_configENS1_35adjacent_difference_config_selectorILb1EiEEZNS1_24adjacent_difference_implIS3_Lb1ELb0EPiS7_N6thrust23THRUST_200600_302600_NS5minusIiEEEE10hipError_tPvRmT2_T3_mT4_P12ihipStream_tbEUlT_E_NS1_11comp_targetILNS1_3genE3ELNS1_11target_archE908ELNS1_3gpuE7ELNS1_3repE0EEENS1_30default_config_static_selectorELNS0_4arch9wavefront6targetE1EEEvT1_
                                        ; -- End function
	.section	.AMDGPU.csdata,"",@progbits
; Kernel info:
; codeLenInByte = 0
; NumSgprs: 4
; NumVgprs: 0
; NumAgprs: 0
; TotalNumVgprs: 0
; ScratchSize: 0
; MemoryBound: 0
; FloatMode: 240
; IeeeMode: 1
; LDSByteSize: 0 bytes/workgroup (compile time only)
; SGPRBlocks: 0
; VGPRBlocks: 0
; NumSGPRsForWavesPerEU: 4
; NumVGPRsForWavesPerEU: 1
; AccumOffset: 4
; Occupancy: 8
; WaveLimiterHint : 0
; COMPUTE_PGM_RSRC2:SCRATCH_EN: 0
; COMPUTE_PGM_RSRC2:USER_SGPR: 6
; COMPUTE_PGM_RSRC2:TRAP_HANDLER: 0
; COMPUTE_PGM_RSRC2:TGID_X_EN: 1
; COMPUTE_PGM_RSRC2:TGID_Y_EN: 0
; COMPUTE_PGM_RSRC2:TGID_Z_EN: 0
; COMPUTE_PGM_RSRC2:TIDIG_COMP_CNT: 0
; COMPUTE_PGM_RSRC3_GFX90A:ACCUM_OFFSET: 0
; COMPUTE_PGM_RSRC3_GFX90A:TG_SPLIT: 0
	.section	.text._ZN7rocprim17ROCPRIM_400000_NS6detail17trampoline_kernelINS0_14default_configENS1_35adjacent_difference_config_selectorILb1EiEEZNS1_24adjacent_difference_implIS3_Lb1ELb0EPiS7_N6thrust23THRUST_200600_302600_NS5minusIiEEEE10hipError_tPvRmT2_T3_mT4_P12ihipStream_tbEUlT_E_NS1_11comp_targetILNS1_3genE2ELNS1_11target_archE906ELNS1_3gpuE6ELNS1_3repE0EEENS1_30default_config_static_selectorELNS0_4arch9wavefront6targetE1EEEvT1_,"axG",@progbits,_ZN7rocprim17ROCPRIM_400000_NS6detail17trampoline_kernelINS0_14default_configENS1_35adjacent_difference_config_selectorILb1EiEEZNS1_24adjacent_difference_implIS3_Lb1ELb0EPiS7_N6thrust23THRUST_200600_302600_NS5minusIiEEEE10hipError_tPvRmT2_T3_mT4_P12ihipStream_tbEUlT_E_NS1_11comp_targetILNS1_3genE2ELNS1_11target_archE906ELNS1_3gpuE6ELNS1_3repE0EEENS1_30default_config_static_selectorELNS0_4arch9wavefront6targetE1EEEvT1_,comdat
	.protected	_ZN7rocprim17ROCPRIM_400000_NS6detail17trampoline_kernelINS0_14default_configENS1_35adjacent_difference_config_selectorILb1EiEEZNS1_24adjacent_difference_implIS3_Lb1ELb0EPiS7_N6thrust23THRUST_200600_302600_NS5minusIiEEEE10hipError_tPvRmT2_T3_mT4_P12ihipStream_tbEUlT_E_NS1_11comp_targetILNS1_3genE2ELNS1_11target_archE906ELNS1_3gpuE6ELNS1_3repE0EEENS1_30default_config_static_selectorELNS0_4arch9wavefront6targetE1EEEvT1_ ; -- Begin function _ZN7rocprim17ROCPRIM_400000_NS6detail17trampoline_kernelINS0_14default_configENS1_35adjacent_difference_config_selectorILb1EiEEZNS1_24adjacent_difference_implIS3_Lb1ELb0EPiS7_N6thrust23THRUST_200600_302600_NS5minusIiEEEE10hipError_tPvRmT2_T3_mT4_P12ihipStream_tbEUlT_E_NS1_11comp_targetILNS1_3genE2ELNS1_11target_archE906ELNS1_3gpuE6ELNS1_3repE0EEENS1_30default_config_static_selectorELNS0_4arch9wavefront6targetE1EEEvT1_
	.globl	_ZN7rocprim17ROCPRIM_400000_NS6detail17trampoline_kernelINS0_14default_configENS1_35adjacent_difference_config_selectorILb1EiEEZNS1_24adjacent_difference_implIS3_Lb1ELb0EPiS7_N6thrust23THRUST_200600_302600_NS5minusIiEEEE10hipError_tPvRmT2_T3_mT4_P12ihipStream_tbEUlT_E_NS1_11comp_targetILNS1_3genE2ELNS1_11target_archE906ELNS1_3gpuE6ELNS1_3repE0EEENS1_30default_config_static_selectorELNS0_4arch9wavefront6targetE1EEEvT1_
	.p2align	8
	.type	_ZN7rocprim17ROCPRIM_400000_NS6detail17trampoline_kernelINS0_14default_configENS1_35adjacent_difference_config_selectorILb1EiEEZNS1_24adjacent_difference_implIS3_Lb1ELb0EPiS7_N6thrust23THRUST_200600_302600_NS5minusIiEEEE10hipError_tPvRmT2_T3_mT4_P12ihipStream_tbEUlT_E_NS1_11comp_targetILNS1_3genE2ELNS1_11target_archE906ELNS1_3gpuE6ELNS1_3repE0EEENS1_30default_config_static_selectorELNS0_4arch9wavefront6targetE1EEEvT1_,@function
_ZN7rocprim17ROCPRIM_400000_NS6detail17trampoline_kernelINS0_14default_configENS1_35adjacent_difference_config_selectorILb1EiEEZNS1_24adjacent_difference_implIS3_Lb1ELb0EPiS7_N6thrust23THRUST_200600_302600_NS5minusIiEEEE10hipError_tPvRmT2_T3_mT4_P12ihipStream_tbEUlT_E_NS1_11comp_targetILNS1_3genE2ELNS1_11target_archE906ELNS1_3gpuE6ELNS1_3repE0EEENS1_30default_config_static_selectorELNS0_4arch9wavefront6targetE1EEEvT1_: ; @_ZN7rocprim17ROCPRIM_400000_NS6detail17trampoline_kernelINS0_14default_configENS1_35adjacent_difference_config_selectorILb1EiEEZNS1_24adjacent_difference_implIS3_Lb1ELb0EPiS7_N6thrust23THRUST_200600_302600_NS5minusIiEEEE10hipError_tPvRmT2_T3_mT4_P12ihipStream_tbEUlT_E_NS1_11comp_targetILNS1_3genE2ELNS1_11target_archE906ELNS1_3gpuE6ELNS1_3repE0EEENS1_30default_config_static_selectorELNS0_4arch9wavefront6targetE1EEEvT1_
; %bb.0:
	.section	.rodata,"a",@progbits
	.p2align	6, 0x0
	.amdhsa_kernel _ZN7rocprim17ROCPRIM_400000_NS6detail17trampoline_kernelINS0_14default_configENS1_35adjacent_difference_config_selectorILb1EiEEZNS1_24adjacent_difference_implIS3_Lb1ELb0EPiS7_N6thrust23THRUST_200600_302600_NS5minusIiEEEE10hipError_tPvRmT2_T3_mT4_P12ihipStream_tbEUlT_E_NS1_11comp_targetILNS1_3genE2ELNS1_11target_archE906ELNS1_3gpuE6ELNS1_3repE0EEENS1_30default_config_static_selectorELNS0_4arch9wavefront6targetE1EEEvT1_
		.amdhsa_group_segment_fixed_size 0
		.amdhsa_private_segment_fixed_size 0
		.amdhsa_kernarg_size 56
		.amdhsa_user_sgpr_count 6
		.amdhsa_user_sgpr_private_segment_buffer 1
		.amdhsa_user_sgpr_dispatch_ptr 0
		.amdhsa_user_sgpr_queue_ptr 0
		.amdhsa_user_sgpr_kernarg_segment_ptr 1
		.amdhsa_user_sgpr_dispatch_id 0
		.amdhsa_user_sgpr_flat_scratch_init 0
		.amdhsa_user_sgpr_kernarg_preload_length 0
		.amdhsa_user_sgpr_kernarg_preload_offset 0
		.amdhsa_user_sgpr_private_segment_size 0
		.amdhsa_uses_dynamic_stack 0
		.amdhsa_system_sgpr_private_segment_wavefront_offset 0
		.amdhsa_system_sgpr_workgroup_id_x 1
		.amdhsa_system_sgpr_workgroup_id_y 0
		.amdhsa_system_sgpr_workgroup_id_z 0
		.amdhsa_system_sgpr_workgroup_info 0
		.amdhsa_system_vgpr_workitem_id 0
		.amdhsa_next_free_vgpr 1
		.amdhsa_next_free_sgpr 0
		.amdhsa_accum_offset 4
		.amdhsa_reserve_vcc 0
		.amdhsa_reserve_flat_scratch 0
		.amdhsa_float_round_mode_32 0
		.amdhsa_float_round_mode_16_64 0
		.amdhsa_float_denorm_mode_32 3
		.amdhsa_float_denorm_mode_16_64 3
		.amdhsa_dx10_clamp 1
		.amdhsa_ieee_mode 1
		.amdhsa_fp16_overflow 0
		.amdhsa_tg_split 0
		.amdhsa_exception_fp_ieee_invalid_op 0
		.amdhsa_exception_fp_denorm_src 0
		.amdhsa_exception_fp_ieee_div_zero 0
		.amdhsa_exception_fp_ieee_overflow 0
		.amdhsa_exception_fp_ieee_underflow 0
		.amdhsa_exception_fp_ieee_inexact 0
		.amdhsa_exception_int_div_zero 0
	.end_amdhsa_kernel
	.section	.text._ZN7rocprim17ROCPRIM_400000_NS6detail17trampoline_kernelINS0_14default_configENS1_35adjacent_difference_config_selectorILb1EiEEZNS1_24adjacent_difference_implIS3_Lb1ELb0EPiS7_N6thrust23THRUST_200600_302600_NS5minusIiEEEE10hipError_tPvRmT2_T3_mT4_P12ihipStream_tbEUlT_E_NS1_11comp_targetILNS1_3genE2ELNS1_11target_archE906ELNS1_3gpuE6ELNS1_3repE0EEENS1_30default_config_static_selectorELNS0_4arch9wavefront6targetE1EEEvT1_,"axG",@progbits,_ZN7rocprim17ROCPRIM_400000_NS6detail17trampoline_kernelINS0_14default_configENS1_35adjacent_difference_config_selectorILb1EiEEZNS1_24adjacent_difference_implIS3_Lb1ELb0EPiS7_N6thrust23THRUST_200600_302600_NS5minusIiEEEE10hipError_tPvRmT2_T3_mT4_P12ihipStream_tbEUlT_E_NS1_11comp_targetILNS1_3genE2ELNS1_11target_archE906ELNS1_3gpuE6ELNS1_3repE0EEENS1_30default_config_static_selectorELNS0_4arch9wavefront6targetE1EEEvT1_,comdat
.Lfunc_end124:
	.size	_ZN7rocprim17ROCPRIM_400000_NS6detail17trampoline_kernelINS0_14default_configENS1_35adjacent_difference_config_selectorILb1EiEEZNS1_24adjacent_difference_implIS3_Lb1ELb0EPiS7_N6thrust23THRUST_200600_302600_NS5minusIiEEEE10hipError_tPvRmT2_T3_mT4_P12ihipStream_tbEUlT_E_NS1_11comp_targetILNS1_3genE2ELNS1_11target_archE906ELNS1_3gpuE6ELNS1_3repE0EEENS1_30default_config_static_selectorELNS0_4arch9wavefront6targetE1EEEvT1_, .Lfunc_end124-_ZN7rocprim17ROCPRIM_400000_NS6detail17trampoline_kernelINS0_14default_configENS1_35adjacent_difference_config_selectorILb1EiEEZNS1_24adjacent_difference_implIS3_Lb1ELb0EPiS7_N6thrust23THRUST_200600_302600_NS5minusIiEEEE10hipError_tPvRmT2_T3_mT4_P12ihipStream_tbEUlT_E_NS1_11comp_targetILNS1_3genE2ELNS1_11target_archE906ELNS1_3gpuE6ELNS1_3repE0EEENS1_30default_config_static_selectorELNS0_4arch9wavefront6targetE1EEEvT1_
                                        ; -- End function
	.section	.AMDGPU.csdata,"",@progbits
; Kernel info:
; codeLenInByte = 0
; NumSgprs: 4
; NumVgprs: 0
; NumAgprs: 0
; TotalNumVgprs: 0
; ScratchSize: 0
; MemoryBound: 0
; FloatMode: 240
; IeeeMode: 1
; LDSByteSize: 0 bytes/workgroup (compile time only)
; SGPRBlocks: 0
; VGPRBlocks: 0
; NumSGPRsForWavesPerEU: 4
; NumVGPRsForWavesPerEU: 1
; AccumOffset: 4
; Occupancy: 8
; WaveLimiterHint : 0
; COMPUTE_PGM_RSRC2:SCRATCH_EN: 0
; COMPUTE_PGM_RSRC2:USER_SGPR: 6
; COMPUTE_PGM_RSRC2:TRAP_HANDLER: 0
; COMPUTE_PGM_RSRC2:TGID_X_EN: 1
; COMPUTE_PGM_RSRC2:TGID_Y_EN: 0
; COMPUTE_PGM_RSRC2:TGID_Z_EN: 0
; COMPUTE_PGM_RSRC2:TIDIG_COMP_CNT: 0
; COMPUTE_PGM_RSRC3_GFX90A:ACCUM_OFFSET: 0
; COMPUTE_PGM_RSRC3_GFX90A:TG_SPLIT: 0
	.section	.text._ZN7rocprim17ROCPRIM_400000_NS6detail17trampoline_kernelINS0_14default_configENS1_35adjacent_difference_config_selectorILb1EiEEZNS1_24adjacent_difference_implIS3_Lb1ELb0EPiS7_N6thrust23THRUST_200600_302600_NS5minusIiEEEE10hipError_tPvRmT2_T3_mT4_P12ihipStream_tbEUlT_E_NS1_11comp_targetILNS1_3genE9ELNS1_11target_archE1100ELNS1_3gpuE3ELNS1_3repE0EEENS1_30default_config_static_selectorELNS0_4arch9wavefront6targetE1EEEvT1_,"axG",@progbits,_ZN7rocprim17ROCPRIM_400000_NS6detail17trampoline_kernelINS0_14default_configENS1_35adjacent_difference_config_selectorILb1EiEEZNS1_24adjacent_difference_implIS3_Lb1ELb0EPiS7_N6thrust23THRUST_200600_302600_NS5minusIiEEEE10hipError_tPvRmT2_T3_mT4_P12ihipStream_tbEUlT_E_NS1_11comp_targetILNS1_3genE9ELNS1_11target_archE1100ELNS1_3gpuE3ELNS1_3repE0EEENS1_30default_config_static_selectorELNS0_4arch9wavefront6targetE1EEEvT1_,comdat
	.protected	_ZN7rocprim17ROCPRIM_400000_NS6detail17trampoline_kernelINS0_14default_configENS1_35adjacent_difference_config_selectorILb1EiEEZNS1_24adjacent_difference_implIS3_Lb1ELb0EPiS7_N6thrust23THRUST_200600_302600_NS5minusIiEEEE10hipError_tPvRmT2_T3_mT4_P12ihipStream_tbEUlT_E_NS1_11comp_targetILNS1_3genE9ELNS1_11target_archE1100ELNS1_3gpuE3ELNS1_3repE0EEENS1_30default_config_static_selectorELNS0_4arch9wavefront6targetE1EEEvT1_ ; -- Begin function _ZN7rocprim17ROCPRIM_400000_NS6detail17trampoline_kernelINS0_14default_configENS1_35adjacent_difference_config_selectorILb1EiEEZNS1_24adjacent_difference_implIS3_Lb1ELb0EPiS7_N6thrust23THRUST_200600_302600_NS5minusIiEEEE10hipError_tPvRmT2_T3_mT4_P12ihipStream_tbEUlT_E_NS1_11comp_targetILNS1_3genE9ELNS1_11target_archE1100ELNS1_3gpuE3ELNS1_3repE0EEENS1_30default_config_static_selectorELNS0_4arch9wavefront6targetE1EEEvT1_
	.globl	_ZN7rocprim17ROCPRIM_400000_NS6detail17trampoline_kernelINS0_14default_configENS1_35adjacent_difference_config_selectorILb1EiEEZNS1_24adjacent_difference_implIS3_Lb1ELb0EPiS7_N6thrust23THRUST_200600_302600_NS5minusIiEEEE10hipError_tPvRmT2_T3_mT4_P12ihipStream_tbEUlT_E_NS1_11comp_targetILNS1_3genE9ELNS1_11target_archE1100ELNS1_3gpuE3ELNS1_3repE0EEENS1_30default_config_static_selectorELNS0_4arch9wavefront6targetE1EEEvT1_
	.p2align	8
	.type	_ZN7rocprim17ROCPRIM_400000_NS6detail17trampoline_kernelINS0_14default_configENS1_35adjacent_difference_config_selectorILb1EiEEZNS1_24adjacent_difference_implIS3_Lb1ELb0EPiS7_N6thrust23THRUST_200600_302600_NS5minusIiEEEE10hipError_tPvRmT2_T3_mT4_P12ihipStream_tbEUlT_E_NS1_11comp_targetILNS1_3genE9ELNS1_11target_archE1100ELNS1_3gpuE3ELNS1_3repE0EEENS1_30default_config_static_selectorELNS0_4arch9wavefront6targetE1EEEvT1_,@function
_ZN7rocprim17ROCPRIM_400000_NS6detail17trampoline_kernelINS0_14default_configENS1_35adjacent_difference_config_selectorILb1EiEEZNS1_24adjacent_difference_implIS3_Lb1ELb0EPiS7_N6thrust23THRUST_200600_302600_NS5minusIiEEEE10hipError_tPvRmT2_T3_mT4_P12ihipStream_tbEUlT_E_NS1_11comp_targetILNS1_3genE9ELNS1_11target_archE1100ELNS1_3gpuE3ELNS1_3repE0EEENS1_30default_config_static_selectorELNS0_4arch9wavefront6targetE1EEEvT1_: ; @_ZN7rocprim17ROCPRIM_400000_NS6detail17trampoline_kernelINS0_14default_configENS1_35adjacent_difference_config_selectorILb1EiEEZNS1_24adjacent_difference_implIS3_Lb1ELb0EPiS7_N6thrust23THRUST_200600_302600_NS5minusIiEEEE10hipError_tPvRmT2_T3_mT4_P12ihipStream_tbEUlT_E_NS1_11comp_targetILNS1_3genE9ELNS1_11target_archE1100ELNS1_3gpuE3ELNS1_3repE0EEENS1_30default_config_static_selectorELNS0_4arch9wavefront6targetE1EEEvT1_
; %bb.0:
	.section	.rodata,"a",@progbits
	.p2align	6, 0x0
	.amdhsa_kernel _ZN7rocprim17ROCPRIM_400000_NS6detail17trampoline_kernelINS0_14default_configENS1_35adjacent_difference_config_selectorILb1EiEEZNS1_24adjacent_difference_implIS3_Lb1ELb0EPiS7_N6thrust23THRUST_200600_302600_NS5minusIiEEEE10hipError_tPvRmT2_T3_mT4_P12ihipStream_tbEUlT_E_NS1_11comp_targetILNS1_3genE9ELNS1_11target_archE1100ELNS1_3gpuE3ELNS1_3repE0EEENS1_30default_config_static_selectorELNS0_4arch9wavefront6targetE1EEEvT1_
		.amdhsa_group_segment_fixed_size 0
		.amdhsa_private_segment_fixed_size 0
		.amdhsa_kernarg_size 56
		.amdhsa_user_sgpr_count 6
		.amdhsa_user_sgpr_private_segment_buffer 1
		.amdhsa_user_sgpr_dispatch_ptr 0
		.amdhsa_user_sgpr_queue_ptr 0
		.amdhsa_user_sgpr_kernarg_segment_ptr 1
		.amdhsa_user_sgpr_dispatch_id 0
		.amdhsa_user_sgpr_flat_scratch_init 0
		.amdhsa_user_sgpr_kernarg_preload_length 0
		.amdhsa_user_sgpr_kernarg_preload_offset 0
		.amdhsa_user_sgpr_private_segment_size 0
		.amdhsa_uses_dynamic_stack 0
		.amdhsa_system_sgpr_private_segment_wavefront_offset 0
		.amdhsa_system_sgpr_workgroup_id_x 1
		.amdhsa_system_sgpr_workgroup_id_y 0
		.amdhsa_system_sgpr_workgroup_id_z 0
		.amdhsa_system_sgpr_workgroup_info 0
		.amdhsa_system_vgpr_workitem_id 0
		.amdhsa_next_free_vgpr 1
		.amdhsa_next_free_sgpr 0
		.amdhsa_accum_offset 4
		.amdhsa_reserve_vcc 0
		.amdhsa_reserve_flat_scratch 0
		.amdhsa_float_round_mode_32 0
		.amdhsa_float_round_mode_16_64 0
		.amdhsa_float_denorm_mode_32 3
		.amdhsa_float_denorm_mode_16_64 3
		.amdhsa_dx10_clamp 1
		.amdhsa_ieee_mode 1
		.amdhsa_fp16_overflow 0
		.amdhsa_tg_split 0
		.amdhsa_exception_fp_ieee_invalid_op 0
		.amdhsa_exception_fp_denorm_src 0
		.amdhsa_exception_fp_ieee_div_zero 0
		.amdhsa_exception_fp_ieee_overflow 0
		.amdhsa_exception_fp_ieee_underflow 0
		.amdhsa_exception_fp_ieee_inexact 0
		.amdhsa_exception_int_div_zero 0
	.end_amdhsa_kernel
	.section	.text._ZN7rocprim17ROCPRIM_400000_NS6detail17trampoline_kernelINS0_14default_configENS1_35adjacent_difference_config_selectorILb1EiEEZNS1_24adjacent_difference_implIS3_Lb1ELb0EPiS7_N6thrust23THRUST_200600_302600_NS5minusIiEEEE10hipError_tPvRmT2_T3_mT4_P12ihipStream_tbEUlT_E_NS1_11comp_targetILNS1_3genE9ELNS1_11target_archE1100ELNS1_3gpuE3ELNS1_3repE0EEENS1_30default_config_static_selectorELNS0_4arch9wavefront6targetE1EEEvT1_,"axG",@progbits,_ZN7rocprim17ROCPRIM_400000_NS6detail17trampoline_kernelINS0_14default_configENS1_35adjacent_difference_config_selectorILb1EiEEZNS1_24adjacent_difference_implIS3_Lb1ELb0EPiS7_N6thrust23THRUST_200600_302600_NS5minusIiEEEE10hipError_tPvRmT2_T3_mT4_P12ihipStream_tbEUlT_E_NS1_11comp_targetILNS1_3genE9ELNS1_11target_archE1100ELNS1_3gpuE3ELNS1_3repE0EEENS1_30default_config_static_selectorELNS0_4arch9wavefront6targetE1EEEvT1_,comdat
.Lfunc_end125:
	.size	_ZN7rocprim17ROCPRIM_400000_NS6detail17trampoline_kernelINS0_14default_configENS1_35adjacent_difference_config_selectorILb1EiEEZNS1_24adjacent_difference_implIS3_Lb1ELb0EPiS7_N6thrust23THRUST_200600_302600_NS5minusIiEEEE10hipError_tPvRmT2_T3_mT4_P12ihipStream_tbEUlT_E_NS1_11comp_targetILNS1_3genE9ELNS1_11target_archE1100ELNS1_3gpuE3ELNS1_3repE0EEENS1_30default_config_static_selectorELNS0_4arch9wavefront6targetE1EEEvT1_, .Lfunc_end125-_ZN7rocprim17ROCPRIM_400000_NS6detail17trampoline_kernelINS0_14default_configENS1_35adjacent_difference_config_selectorILb1EiEEZNS1_24adjacent_difference_implIS3_Lb1ELb0EPiS7_N6thrust23THRUST_200600_302600_NS5minusIiEEEE10hipError_tPvRmT2_T3_mT4_P12ihipStream_tbEUlT_E_NS1_11comp_targetILNS1_3genE9ELNS1_11target_archE1100ELNS1_3gpuE3ELNS1_3repE0EEENS1_30default_config_static_selectorELNS0_4arch9wavefront6targetE1EEEvT1_
                                        ; -- End function
	.section	.AMDGPU.csdata,"",@progbits
; Kernel info:
; codeLenInByte = 0
; NumSgprs: 4
; NumVgprs: 0
; NumAgprs: 0
; TotalNumVgprs: 0
; ScratchSize: 0
; MemoryBound: 0
; FloatMode: 240
; IeeeMode: 1
; LDSByteSize: 0 bytes/workgroup (compile time only)
; SGPRBlocks: 0
; VGPRBlocks: 0
; NumSGPRsForWavesPerEU: 4
; NumVGPRsForWavesPerEU: 1
; AccumOffset: 4
; Occupancy: 8
; WaveLimiterHint : 0
; COMPUTE_PGM_RSRC2:SCRATCH_EN: 0
; COMPUTE_PGM_RSRC2:USER_SGPR: 6
; COMPUTE_PGM_RSRC2:TRAP_HANDLER: 0
; COMPUTE_PGM_RSRC2:TGID_X_EN: 1
; COMPUTE_PGM_RSRC2:TGID_Y_EN: 0
; COMPUTE_PGM_RSRC2:TGID_Z_EN: 0
; COMPUTE_PGM_RSRC2:TIDIG_COMP_CNT: 0
; COMPUTE_PGM_RSRC3_GFX90A:ACCUM_OFFSET: 0
; COMPUTE_PGM_RSRC3_GFX90A:TG_SPLIT: 0
	.section	.text._ZN7rocprim17ROCPRIM_400000_NS6detail17trampoline_kernelINS0_14default_configENS1_35adjacent_difference_config_selectorILb1EiEEZNS1_24adjacent_difference_implIS3_Lb1ELb0EPiS7_N6thrust23THRUST_200600_302600_NS5minusIiEEEE10hipError_tPvRmT2_T3_mT4_P12ihipStream_tbEUlT_E_NS1_11comp_targetILNS1_3genE8ELNS1_11target_archE1030ELNS1_3gpuE2ELNS1_3repE0EEENS1_30default_config_static_selectorELNS0_4arch9wavefront6targetE1EEEvT1_,"axG",@progbits,_ZN7rocprim17ROCPRIM_400000_NS6detail17trampoline_kernelINS0_14default_configENS1_35adjacent_difference_config_selectorILb1EiEEZNS1_24adjacent_difference_implIS3_Lb1ELb0EPiS7_N6thrust23THRUST_200600_302600_NS5minusIiEEEE10hipError_tPvRmT2_T3_mT4_P12ihipStream_tbEUlT_E_NS1_11comp_targetILNS1_3genE8ELNS1_11target_archE1030ELNS1_3gpuE2ELNS1_3repE0EEENS1_30default_config_static_selectorELNS0_4arch9wavefront6targetE1EEEvT1_,comdat
	.protected	_ZN7rocprim17ROCPRIM_400000_NS6detail17trampoline_kernelINS0_14default_configENS1_35adjacent_difference_config_selectorILb1EiEEZNS1_24adjacent_difference_implIS3_Lb1ELb0EPiS7_N6thrust23THRUST_200600_302600_NS5minusIiEEEE10hipError_tPvRmT2_T3_mT4_P12ihipStream_tbEUlT_E_NS1_11comp_targetILNS1_3genE8ELNS1_11target_archE1030ELNS1_3gpuE2ELNS1_3repE0EEENS1_30default_config_static_selectorELNS0_4arch9wavefront6targetE1EEEvT1_ ; -- Begin function _ZN7rocprim17ROCPRIM_400000_NS6detail17trampoline_kernelINS0_14default_configENS1_35adjacent_difference_config_selectorILb1EiEEZNS1_24adjacent_difference_implIS3_Lb1ELb0EPiS7_N6thrust23THRUST_200600_302600_NS5minusIiEEEE10hipError_tPvRmT2_T3_mT4_P12ihipStream_tbEUlT_E_NS1_11comp_targetILNS1_3genE8ELNS1_11target_archE1030ELNS1_3gpuE2ELNS1_3repE0EEENS1_30default_config_static_selectorELNS0_4arch9wavefront6targetE1EEEvT1_
	.globl	_ZN7rocprim17ROCPRIM_400000_NS6detail17trampoline_kernelINS0_14default_configENS1_35adjacent_difference_config_selectorILb1EiEEZNS1_24adjacent_difference_implIS3_Lb1ELb0EPiS7_N6thrust23THRUST_200600_302600_NS5minusIiEEEE10hipError_tPvRmT2_T3_mT4_P12ihipStream_tbEUlT_E_NS1_11comp_targetILNS1_3genE8ELNS1_11target_archE1030ELNS1_3gpuE2ELNS1_3repE0EEENS1_30default_config_static_selectorELNS0_4arch9wavefront6targetE1EEEvT1_
	.p2align	8
	.type	_ZN7rocprim17ROCPRIM_400000_NS6detail17trampoline_kernelINS0_14default_configENS1_35adjacent_difference_config_selectorILb1EiEEZNS1_24adjacent_difference_implIS3_Lb1ELb0EPiS7_N6thrust23THRUST_200600_302600_NS5minusIiEEEE10hipError_tPvRmT2_T3_mT4_P12ihipStream_tbEUlT_E_NS1_11comp_targetILNS1_3genE8ELNS1_11target_archE1030ELNS1_3gpuE2ELNS1_3repE0EEENS1_30default_config_static_selectorELNS0_4arch9wavefront6targetE1EEEvT1_,@function
_ZN7rocprim17ROCPRIM_400000_NS6detail17trampoline_kernelINS0_14default_configENS1_35adjacent_difference_config_selectorILb1EiEEZNS1_24adjacent_difference_implIS3_Lb1ELb0EPiS7_N6thrust23THRUST_200600_302600_NS5minusIiEEEE10hipError_tPvRmT2_T3_mT4_P12ihipStream_tbEUlT_E_NS1_11comp_targetILNS1_3genE8ELNS1_11target_archE1030ELNS1_3gpuE2ELNS1_3repE0EEENS1_30default_config_static_selectorELNS0_4arch9wavefront6targetE1EEEvT1_: ; @_ZN7rocprim17ROCPRIM_400000_NS6detail17trampoline_kernelINS0_14default_configENS1_35adjacent_difference_config_selectorILb1EiEEZNS1_24adjacent_difference_implIS3_Lb1ELb0EPiS7_N6thrust23THRUST_200600_302600_NS5minusIiEEEE10hipError_tPvRmT2_T3_mT4_P12ihipStream_tbEUlT_E_NS1_11comp_targetILNS1_3genE8ELNS1_11target_archE1030ELNS1_3gpuE2ELNS1_3repE0EEENS1_30default_config_static_selectorELNS0_4arch9wavefront6targetE1EEEvT1_
; %bb.0:
	.section	.rodata,"a",@progbits
	.p2align	6, 0x0
	.amdhsa_kernel _ZN7rocprim17ROCPRIM_400000_NS6detail17trampoline_kernelINS0_14default_configENS1_35adjacent_difference_config_selectorILb1EiEEZNS1_24adjacent_difference_implIS3_Lb1ELb0EPiS7_N6thrust23THRUST_200600_302600_NS5minusIiEEEE10hipError_tPvRmT2_T3_mT4_P12ihipStream_tbEUlT_E_NS1_11comp_targetILNS1_3genE8ELNS1_11target_archE1030ELNS1_3gpuE2ELNS1_3repE0EEENS1_30default_config_static_selectorELNS0_4arch9wavefront6targetE1EEEvT1_
		.amdhsa_group_segment_fixed_size 0
		.amdhsa_private_segment_fixed_size 0
		.amdhsa_kernarg_size 56
		.amdhsa_user_sgpr_count 6
		.amdhsa_user_sgpr_private_segment_buffer 1
		.amdhsa_user_sgpr_dispatch_ptr 0
		.amdhsa_user_sgpr_queue_ptr 0
		.amdhsa_user_sgpr_kernarg_segment_ptr 1
		.amdhsa_user_sgpr_dispatch_id 0
		.amdhsa_user_sgpr_flat_scratch_init 0
		.amdhsa_user_sgpr_kernarg_preload_length 0
		.amdhsa_user_sgpr_kernarg_preload_offset 0
		.amdhsa_user_sgpr_private_segment_size 0
		.amdhsa_uses_dynamic_stack 0
		.amdhsa_system_sgpr_private_segment_wavefront_offset 0
		.amdhsa_system_sgpr_workgroup_id_x 1
		.amdhsa_system_sgpr_workgroup_id_y 0
		.amdhsa_system_sgpr_workgroup_id_z 0
		.amdhsa_system_sgpr_workgroup_info 0
		.amdhsa_system_vgpr_workitem_id 0
		.amdhsa_next_free_vgpr 1
		.amdhsa_next_free_sgpr 0
		.amdhsa_accum_offset 4
		.amdhsa_reserve_vcc 0
		.amdhsa_reserve_flat_scratch 0
		.amdhsa_float_round_mode_32 0
		.amdhsa_float_round_mode_16_64 0
		.amdhsa_float_denorm_mode_32 3
		.amdhsa_float_denorm_mode_16_64 3
		.amdhsa_dx10_clamp 1
		.amdhsa_ieee_mode 1
		.amdhsa_fp16_overflow 0
		.amdhsa_tg_split 0
		.amdhsa_exception_fp_ieee_invalid_op 0
		.amdhsa_exception_fp_denorm_src 0
		.amdhsa_exception_fp_ieee_div_zero 0
		.amdhsa_exception_fp_ieee_overflow 0
		.amdhsa_exception_fp_ieee_underflow 0
		.amdhsa_exception_fp_ieee_inexact 0
		.amdhsa_exception_int_div_zero 0
	.end_amdhsa_kernel
	.section	.text._ZN7rocprim17ROCPRIM_400000_NS6detail17trampoline_kernelINS0_14default_configENS1_35adjacent_difference_config_selectorILb1EiEEZNS1_24adjacent_difference_implIS3_Lb1ELb0EPiS7_N6thrust23THRUST_200600_302600_NS5minusIiEEEE10hipError_tPvRmT2_T3_mT4_P12ihipStream_tbEUlT_E_NS1_11comp_targetILNS1_3genE8ELNS1_11target_archE1030ELNS1_3gpuE2ELNS1_3repE0EEENS1_30default_config_static_selectorELNS0_4arch9wavefront6targetE1EEEvT1_,"axG",@progbits,_ZN7rocprim17ROCPRIM_400000_NS6detail17trampoline_kernelINS0_14default_configENS1_35adjacent_difference_config_selectorILb1EiEEZNS1_24adjacent_difference_implIS3_Lb1ELb0EPiS7_N6thrust23THRUST_200600_302600_NS5minusIiEEEE10hipError_tPvRmT2_T3_mT4_P12ihipStream_tbEUlT_E_NS1_11comp_targetILNS1_3genE8ELNS1_11target_archE1030ELNS1_3gpuE2ELNS1_3repE0EEENS1_30default_config_static_selectorELNS0_4arch9wavefront6targetE1EEEvT1_,comdat
.Lfunc_end126:
	.size	_ZN7rocprim17ROCPRIM_400000_NS6detail17trampoline_kernelINS0_14default_configENS1_35adjacent_difference_config_selectorILb1EiEEZNS1_24adjacent_difference_implIS3_Lb1ELb0EPiS7_N6thrust23THRUST_200600_302600_NS5minusIiEEEE10hipError_tPvRmT2_T3_mT4_P12ihipStream_tbEUlT_E_NS1_11comp_targetILNS1_3genE8ELNS1_11target_archE1030ELNS1_3gpuE2ELNS1_3repE0EEENS1_30default_config_static_selectorELNS0_4arch9wavefront6targetE1EEEvT1_, .Lfunc_end126-_ZN7rocprim17ROCPRIM_400000_NS6detail17trampoline_kernelINS0_14default_configENS1_35adjacent_difference_config_selectorILb1EiEEZNS1_24adjacent_difference_implIS3_Lb1ELb0EPiS7_N6thrust23THRUST_200600_302600_NS5minusIiEEEE10hipError_tPvRmT2_T3_mT4_P12ihipStream_tbEUlT_E_NS1_11comp_targetILNS1_3genE8ELNS1_11target_archE1030ELNS1_3gpuE2ELNS1_3repE0EEENS1_30default_config_static_selectorELNS0_4arch9wavefront6targetE1EEEvT1_
                                        ; -- End function
	.section	.AMDGPU.csdata,"",@progbits
; Kernel info:
; codeLenInByte = 0
; NumSgprs: 4
; NumVgprs: 0
; NumAgprs: 0
; TotalNumVgprs: 0
; ScratchSize: 0
; MemoryBound: 0
; FloatMode: 240
; IeeeMode: 1
; LDSByteSize: 0 bytes/workgroup (compile time only)
; SGPRBlocks: 0
; VGPRBlocks: 0
; NumSGPRsForWavesPerEU: 4
; NumVGPRsForWavesPerEU: 1
; AccumOffset: 4
; Occupancy: 8
; WaveLimiterHint : 0
; COMPUTE_PGM_RSRC2:SCRATCH_EN: 0
; COMPUTE_PGM_RSRC2:USER_SGPR: 6
; COMPUTE_PGM_RSRC2:TRAP_HANDLER: 0
; COMPUTE_PGM_RSRC2:TGID_X_EN: 1
; COMPUTE_PGM_RSRC2:TGID_Y_EN: 0
; COMPUTE_PGM_RSRC2:TGID_Z_EN: 0
; COMPUTE_PGM_RSRC2:TIDIG_COMP_CNT: 0
; COMPUTE_PGM_RSRC3_GFX90A:ACCUM_OFFSET: 0
; COMPUTE_PGM_RSRC3_GFX90A:TG_SPLIT: 0
	.section	.text._ZN7rocprim17ROCPRIM_400000_NS6detail17trampoline_kernelINS0_14default_configENS1_35adjacent_difference_config_selectorILb0EiEEZNS1_24adjacent_difference_implIS3_Lb0ELb0EPiS7_N6thrust23THRUST_200600_302600_NS4plusIiEEEE10hipError_tPvRmT2_T3_mT4_P12ihipStream_tbEUlT_E_NS1_11comp_targetILNS1_3genE0ELNS1_11target_archE4294967295ELNS1_3gpuE0ELNS1_3repE0EEENS1_30default_config_static_selectorELNS0_4arch9wavefront6targetE1EEEvT1_,"axG",@progbits,_ZN7rocprim17ROCPRIM_400000_NS6detail17trampoline_kernelINS0_14default_configENS1_35adjacent_difference_config_selectorILb0EiEEZNS1_24adjacent_difference_implIS3_Lb0ELb0EPiS7_N6thrust23THRUST_200600_302600_NS4plusIiEEEE10hipError_tPvRmT2_T3_mT4_P12ihipStream_tbEUlT_E_NS1_11comp_targetILNS1_3genE0ELNS1_11target_archE4294967295ELNS1_3gpuE0ELNS1_3repE0EEENS1_30default_config_static_selectorELNS0_4arch9wavefront6targetE1EEEvT1_,comdat
	.protected	_ZN7rocprim17ROCPRIM_400000_NS6detail17trampoline_kernelINS0_14default_configENS1_35adjacent_difference_config_selectorILb0EiEEZNS1_24adjacent_difference_implIS3_Lb0ELb0EPiS7_N6thrust23THRUST_200600_302600_NS4plusIiEEEE10hipError_tPvRmT2_T3_mT4_P12ihipStream_tbEUlT_E_NS1_11comp_targetILNS1_3genE0ELNS1_11target_archE4294967295ELNS1_3gpuE0ELNS1_3repE0EEENS1_30default_config_static_selectorELNS0_4arch9wavefront6targetE1EEEvT1_ ; -- Begin function _ZN7rocprim17ROCPRIM_400000_NS6detail17trampoline_kernelINS0_14default_configENS1_35adjacent_difference_config_selectorILb0EiEEZNS1_24adjacent_difference_implIS3_Lb0ELb0EPiS7_N6thrust23THRUST_200600_302600_NS4plusIiEEEE10hipError_tPvRmT2_T3_mT4_P12ihipStream_tbEUlT_E_NS1_11comp_targetILNS1_3genE0ELNS1_11target_archE4294967295ELNS1_3gpuE0ELNS1_3repE0EEENS1_30default_config_static_selectorELNS0_4arch9wavefront6targetE1EEEvT1_
	.globl	_ZN7rocprim17ROCPRIM_400000_NS6detail17trampoline_kernelINS0_14default_configENS1_35adjacent_difference_config_selectorILb0EiEEZNS1_24adjacent_difference_implIS3_Lb0ELb0EPiS7_N6thrust23THRUST_200600_302600_NS4plusIiEEEE10hipError_tPvRmT2_T3_mT4_P12ihipStream_tbEUlT_E_NS1_11comp_targetILNS1_3genE0ELNS1_11target_archE4294967295ELNS1_3gpuE0ELNS1_3repE0EEENS1_30default_config_static_selectorELNS0_4arch9wavefront6targetE1EEEvT1_
	.p2align	8
	.type	_ZN7rocprim17ROCPRIM_400000_NS6detail17trampoline_kernelINS0_14default_configENS1_35adjacent_difference_config_selectorILb0EiEEZNS1_24adjacent_difference_implIS3_Lb0ELb0EPiS7_N6thrust23THRUST_200600_302600_NS4plusIiEEEE10hipError_tPvRmT2_T3_mT4_P12ihipStream_tbEUlT_E_NS1_11comp_targetILNS1_3genE0ELNS1_11target_archE4294967295ELNS1_3gpuE0ELNS1_3repE0EEENS1_30default_config_static_selectorELNS0_4arch9wavefront6targetE1EEEvT1_,@function
_ZN7rocprim17ROCPRIM_400000_NS6detail17trampoline_kernelINS0_14default_configENS1_35adjacent_difference_config_selectorILb0EiEEZNS1_24adjacent_difference_implIS3_Lb0ELb0EPiS7_N6thrust23THRUST_200600_302600_NS4plusIiEEEE10hipError_tPvRmT2_T3_mT4_P12ihipStream_tbEUlT_E_NS1_11comp_targetILNS1_3genE0ELNS1_11target_archE4294967295ELNS1_3gpuE0ELNS1_3repE0EEENS1_30default_config_static_selectorELNS0_4arch9wavefront6targetE1EEEvT1_: ; @_ZN7rocprim17ROCPRIM_400000_NS6detail17trampoline_kernelINS0_14default_configENS1_35adjacent_difference_config_selectorILb0EiEEZNS1_24adjacent_difference_implIS3_Lb0ELb0EPiS7_N6thrust23THRUST_200600_302600_NS4plusIiEEEE10hipError_tPvRmT2_T3_mT4_P12ihipStream_tbEUlT_E_NS1_11comp_targetILNS1_3genE0ELNS1_11target_archE4294967295ELNS1_3gpuE0ELNS1_3repE0EEENS1_30default_config_static_selectorELNS0_4arch9wavefront6targetE1EEEvT1_
; %bb.0:
	.section	.rodata,"a",@progbits
	.p2align	6, 0x0
	.amdhsa_kernel _ZN7rocprim17ROCPRIM_400000_NS6detail17trampoline_kernelINS0_14default_configENS1_35adjacent_difference_config_selectorILb0EiEEZNS1_24adjacent_difference_implIS3_Lb0ELb0EPiS7_N6thrust23THRUST_200600_302600_NS4plusIiEEEE10hipError_tPvRmT2_T3_mT4_P12ihipStream_tbEUlT_E_NS1_11comp_targetILNS1_3genE0ELNS1_11target_archE4294967295ELNS1_3gpuE0ELNS1_3repE0EEENS1_30default_config_static_selectorELNS0_4arch9wavefront6targetE1EEEvT1_
		.amdhsa_group_segment_fixed_size 0
		.amdhsa_private_segment_fixed_size 0
		.amdhsa_kernarg_size 56
		.amdhsa_user_sgpr_count 6
		.amdhsa_user_sgpr_private_segment_buffer 1
		.amdhsa_user_sgpr_dispatch_ptr 0
		.amdhsa_user_sgpr_queue_ptr 0
		.amdhsa_user_sgpr_kernarg_segment_ptr 1
		.amdhsa_user_sgpr_dispatch_id 0
		.amdhsa_user_sgpr_flat_scratch_init 0
		.amdhsa_user_sgpr_kernarg_preload_length 0
		.amdhsa_user_sgpr_kernarg_preload_offset 0
		.amdhsa_user_sgpr_private_segment_size 0
		.amdhsa_uses_dynamic_stack 0
		.amdhsa_system_sgpr_private_segment_wavefront_offset 0
		.amdhsa_system_sgpr_workgroup_id_x 1
		.amdhsa_system_sgpr_workgroup_id_y 0
		.amdhsa_system_sgpr_workgroup_id_z 0
		.amdhsa_system_sgpr_workgroup_info 0
		.amdhsa_system_vgpr_workitem_id 0
		.amdhsa_next_free_vgpr 1
		.amdhsa_next_free_sgpr 0
		.amdhsa_accum_offset 4
		.amdhsa_reserve_vcc 0
		.amdhsa_reserve_flat_scratch 0
		.amdhsa_float_round_mode_32 0
		.amdhsa_float_round_mode_16_64 0
		.amdhsa_float_denorm_mode_32 3
		.amdhsa_float_denorm_mode_16_64 3
		.amdhsa_dx10_clamp 1
		.amdhsa_ieee_mode 1
		.amdhsa_fp16_overflow 0
		.amdhsa_tg_split 0
		.amdhsa_exception_fp_ieee_invalid_op 0
		.amdhsa_exception_fp_denorm_src 0
		.amdhsa_exception_fp_ieee_div_zero 0
		.amdhsa_exception_fp_ieee_overflow 0
		.amdhsa_exception_fp_ieee_underflow 0
		.amdhsa_exception_fp_ieee_inexact 0
		.amdhsa_exception_int_div_zero 0
	.end_amdhsa_kernel
	.section	.text._ZN7rocprim17ROCPRIM_400000_NS6detail17trampoline_kernelINS0_14default_configENS1_35adjacent_difference_config_selectorILb0EiEEZNS1_24adjacent_difference_implIS3_Lb0ELb0EPiS7_N6thrust23THRUST_200600_302600_NS4plusIiEEEE10hipError_tPvRmT2_T3_mT4_P12ihipStream_tbEUlT_E_NS1_11comp_targetILNS1_3genE0ELNS1_11target_archE4294967295ELNS1_3gpuE0ELNS1_3repE0EEENS1_30default_config_static_selectorELNS0_4arch9wavefront6targetE1EEEvT1_,"axG",@progbits,_ZN7rocprim17ROCPRIM_400000_NS6detail17trampoline_kernelINS0_14default_configENS1_35adjacent_difference_config_selectorILb0EiEEZNS1_24adjacent_difference_implIS3_Lb0ELb0EPiS7_N6thrust23THRUST_200600_302600_NS4plusIiEEEE10hipError_tPvRmT2_T3_mT4_P12ihipStream_tbEUlT_E_NS1_11comp_targetILNS1_3genE0ELNS1_11target_archE4294967295ELNS1_3gpuE0ELNS1_3repE0EEENS1_30default_config_static_selectorELNS0_4arch9wavefront6targetE1EEEvT1_,comdat
.Lfunc_end127:
	.size	_ZN7rocprim17ROCPRIM_400000_NS6detail17trampoline_kernelINS0_14default_configENS1_35adjacent_difference_config_selectorILb0EiEEZNS1_24adjacent_difference_implIS3_Lb0ELb0EPiS7_N6thrust23THRUST_200600_302600_NS4plusIiEEEE10hipError_tPvRmT2_T3_mT4_P12ihipStream_tbEUlT_E_NS1_11comp_targetILNS1_3genE0ELNS1_11target_archE4294967295ELNS1_3gpuE0ELNS1_3repE0EEENS1_30default_config_static_selectorELNS0_4arch9wavefront6targetE1EEEvT1_, .Lfunc_end127-_ZN7rocprim17ROCPRIM_400000_NS6detail17trampoline_kernelINS0_14default_configENS1_35adjacent_difference_config_selectorILb0EiEEZNS1_24adjacent_difference_implIS3_Lb0ELb0EPiS7_N6thrust23THRUST_200600_302600_NS4plusIiEEEE10hipError_tPvRmT2_T3_mT4_P12ihipStream_tbEUlT_E_NS1_11comp_targetILNS1_3genE0ELNS1_11target_archE4294967295ELNS1_3gpuE0ELNS1_3repE0EEENS1_30default_config_static_selectorELNS0_4arch9wavefront6targetE1EEEvT1_
                                        ; -- End function
	.section	.AMDGPU.csdata,"",@progbits
; Kernel info:
; codeLenInByte = 0
; NumSgprs: 4
; NumVgprs: 0
; NumAgprs: 0
; TotalNumVgprs: 0
; ScratchSize: 0
; MemoryBound: 0
; FloatMode: 240
; IeeeMode: 1
; LDSByteSize: 0 bytes/workgroup (compile time only)
; SGPRBlocks: 0
; VGPRBlocks: 0
; NumSGPRsForWavesPerEU: 4
; NumVGPRsForWavesPerEU: 1
; AccumOffset: 4
; Occupancy: 8
; WaveLimiterHint : 0
; COMPUTE_PGM_RSRC2:SCRATCH_EN: 0
; COMPUTE_PGM_RSRC2:USER_SGPR: 6
; COMPUTE_PGM_RSRC2:TRAP_HANDLER: 0
; COMPUTE_PGM_RSRC2:TGID_X_EN: 1
; COMPUTE_PGM_RSRC2:TGID_Y_EN: 0
; COMPUTE_PGM_RSRC2:TGID_Z_EN: 0
; COMPUTE_PGM_RSRC2:TIDIG_COMP_CNT: 0
; COMPUTE_PGM_RSRC3_GFX90A:ACCUM_OFFSET: 0
; COMPUTE_PGM_RSRC3_GFX90A:TG_SPLIT: 0
	.section	.text._ZN7rocprim17ROCPRIM_400000_NS6detail17trampoline_kernelINS0_14default_configENS1_35adjacent_difference_config_selectorILb0EiEEZNS1_24adjacent_difference_implIS3_Lb0ELb0EPiS7_N6thrust23THRUST_200600_302600_NS4plusIiEEEE10hipError_tPvRmT2_T3_mT4_P12ihipStream_tbEUlT_E_NS1_11comp_targetILNS1_3genE10ELNS1_11target_archE1201ELNS1_3gpuE5ELNS1_3repE0EEENS1_30default_config_static_selectorELNS0_4arch9wavefront6targetE1EEEvT1_,"axG",@progbits,_ZN7rocprim17ROCPRIM_400000_NS6detail17trampoline_kernelINS0_14default_configENS1_35adjacent_difference_config_selectorILb0EiEEZNS1_24adjacent_difference_implIS3_Lb0ELb0EPiS7_N6thrust23THRUST_200600_302600_NS4plusIiEEEE10hipError_tPvRmT2_T3_mT4_P12ihipStream_tbEUlT_E_NS1_11comp_targetILNS1_3genE10ELNS1_11target_archE1201ELNS1_3gpuE5ELNS1_3repE0EEENS1_30default_config_static_selectorELNS0_4arch9wavefront6targetE1EEEvT1_,comdat
	.protected	_ZN7rocprim17ROCPRIM_400000_NS6detail17trampoline_kernelINS0_14default_configENS1_35adjacent_difference_config_selectorILb0EiEEZNS1_24adjacent_difference_implIS3_Lb0ELb0EPiS7_N6thrust23THRUST_200600_302600_NS4plusIiEEEE10hipError_tPvRmT2_T3_mT4_P12ihipStream_tbEUlT_E_NS1_11comp_targetILNS1_3genE10ELNS1_11target_archE1201ELNS1_3gpuE5ELNS1_3repE0EEENS1_30default_config_static_selectorELNS0_4arch9wavefront6targetE1EEEvT1_ ; -- Begin function _ZN7rocprim17ROCPRIM_400000_NS6detail17trampoline_kernelINS0_14default_configENS1_35adjacent_difference_config_selectorILb0EiEEZNS1_24adjacent_difference_implIS3_Lb0ELb0EPiS7_N6thrust23THRUST_200600_302600_NS4plusIiEEEE10hipError_tPvRmT2_T3_mT4_P12ihipStream_tbEUlT_E_NS1_11comp_targetILNS1_3genE10ELNS1_11target_archE1201ELNS1_3gpuE5ELNS1_3repE0EEENS1_30default_config_static_selectorELNS0_4arch9wavefront6targetE1EEEvT1_
	.globl	_ZN7rocprim17ROCPRIM_400000_NS6detail17trampoline_kernelINS0_14default_configENS1_35adjacent_difference_config_selectorILb0EiEEZNS1_24adjacent_difference_implIS3_Lb0ELb0EPiS7_N6thrust23THRUST_200600_302600_NS4plusIiEEEE10hipError_tPvRmT2_T3_mT4_P12ihipStream_tbEUlT_E_NS1_11comp_targetILNS1_3genE10ELNS1_11target_archE1201ELNS1_3gpuE5ELNS1_3repE0EEENS1_30default_config_static_selectorELNS0_4arch9wavefront6targetE1EEEvT1_
	.p2align	8
	.type	_ZN7rocprim17ROCPRIM_400000_NS6detail17trampoline_kernelINS0_14default_configENS1_35adjacent_difference_config_selectorILb0EiEEZNS1_24adjacent_difference_implIS3_Lb0ELb0EPiS7_N6thrust23THRUST_200600_302600_NS4plusIiEEEE10hipError_tPvRmT2_T3_mT4_P12ihipStream_tbEUlT_E_NS1_11comp_targetILNS1_3genE10ELNS1_11target_archE1201ELNS1_3gpuE5ELNS1_3repE0EEENS1_30default_config_static_selectorELNS0_4arch9wavefront6targetE1EEEvT1_,@function
_ZN7rocprim17ROCPRIM_400000_NS6detail17trampoline_kernelINS0_14default_configENS1_35adjacent_difference_config_selectorILb0EiEEZNS1_24adjacent_difference_implIS3_Lb0ELb0EPiS7_N6thrust23THRUST_200600_302600_NS4plusIiEEEE10hipError_tPvRmT2_T3_mT4_P12ihipStream_tbEUlT_E_NS1_11comp_targetILNS1_3genE10ELNS1_11target_archE1201ELNS1_3gpuE5ELNS1_3repE0EEENS1_30default_config_static_selectorELNS0_4arch9wavefront6targetE1EEEvT1_: ; @_ZN7rocprim17ROCPRIM_400000_NS6detail17trampoline_kernelINS0_14default_configENS1_35adjacent_difference_config_selectorILb0EiEEZNS1_24adjacent_difference_implIS3_Lb0ELb0EPiS7_N6thrust23THRUST_200600_302600_NS4plusIiEEEE10hipError_tPvRmT2_T3_mT4_P12ihipStream_tbEUlT_E_NS1_11comp_targetILNS1_3genE10ELNS1_11target_archE1201ELNS1_3gpuE5ELNS1_3repE0EEENS1_30default_config_static_selectorELNS0_4arch9wavefront6targetE1EEEvT1_
; %bb.0:
	.section	.rodata,"a",@progbits
	.p2align	6, 0x0
	.amdhsa_kernel _ZN7rocprim17ROCPRIM_400000_NS6detail17trampoline_kernelINS0_14default_configENS1_35adjacent_difference_config_selectorILb0EiEEZNS1_24adjacent_difference_implIS3_Lb0ELb0EPiS7_N6thrust23THRUST_200600_302600_NS4plusIiEEEE10hipError_tPvRmT2_T3_mT4_P12ihipStream_tbEUlT_E_NS1_11comp_targetILNS1_3genE10ELNS1_11target_archE1201ELNS1_3gpuE5ELNS1_3repE0EEENS1_30default_config_static_selectorELNS0_4arch9wavefront6targetE1EEEvT1_
		.amdhsa_group_segment_fixed_size 0
		.amdhsa_private_segment_fixed_size 0
		.amdhsa_kernarg_size 56
		.amdhsa_user_sgpr_count 6
		.amdhsa_user_sgpr_private_segment_buffer 1
		.amdhsa_user_sgpr_dispatch_ptr 0
		.amdhsa_user_sgpr_queue_ptr 0
		.amdhsa_user_sgpr_kernarg_segment_ptr 1
		.amdhsa_user_sgpr_dispatch_id 0
		.amdhsa_user_sgpr_flat_scratch_init 0
		.amdhsa_user_sgpr_kernarg_preload_length 0
		.amdhsa_user_sgpr_kernarg_preload_offset 0
		.amdhsa_user_sgpr_private_segment_size 0
		.amdhsa_uses_dynamic_stack 0
		.amdhsa_system_sgpr_private_segment_wavefront_offset 0
		.amdhsa_system_sgpr_workgroup_id_x 1
		.amdhsa_system_sgpr_workgroup_id_y 0
		.amdhsa_system_sgpr_workgroup_id_z 0
		.amdhsa_system_sgpr_workgroup_info 0
		.amdhsa_system_vgpr_workitem_id 0
		.amdhsa_next_free_vgpr 1
		.amdhsa_next_free_sgpr 0
		.amdhsa_accum_offset 4
		.amdhsa_reserve_vcc 0
		.amdhsa_reserve_flat_scratch 0
		.amdhsa_float_round_mode_32 0
		.amdhsa_float_round_mode_16_64 0
		.amdhsa_float_denorm_mode_32 3
		.amdhsa_float_denorm_mode_16_64 3
		.amdhsa_dx10_clamp 1
		.amdhsa_ieee_mode 1
		.amdhsa_fp16_overflow 0
		.amdhsa_tg_split 0
		.amdhsa_exception_fp_ieee_invalid_op 0
		.amdhsa_exception_fp_denorm_src 0
		.amdhsa_exception_fp_ieee_div_zero 0
		.amdhsa_exception_fp_ieee_overflow 0
		.amdhsa_exception_fp_ieee_underflow 0
		.amdhsa_exception_fp_ieee_inexact 0
		.amdhsa_exception_int_div_zero 0
	.end_amdhsa_kernel
	.section	.text._ZN7rocprim17ROCPRIM_400000_NS6detail17trampoline_kernelINS0_14default_configENS1_35adjacent_difference_config_selectorILb0EiEEZNS1_24adjacent_difference_implIS3_Lb0ELb0EPiS7_N6thrust23THRUST_200600_302600_NS4plusIiEEEE10hipError_tPvRmT2_T3_mT4_P12ihipStream_tbEUlT_E_NS1_11comp_targetILNS1_3genE10ELNS1_11target_archE1201ELNS1_3gpuE5ELNS1_3repE0EEENS1_30default_config_static_selectorELNS0_4arch9wavefront6targetE1EEEvT1_,"axG",@progbits,_ZN7rocprim17ROCPRIM_400000_NS6detail17trampoline_kernelINS0_14default_configENS1_35adjacent_difference_config_selectorILb0EiEEZNS1_24adjacent_difference_implIS3_Lb0ELb0EPiS7_N6thrust23THRUST_200600_302600_NS4plusIiEEEE10hipError_tPvRmT2_T3_mT4_P12ihipStream_tbEUlT_E_NS1_11comp_targetILNS1_3genE10ELNS1_11target_archE1201ELNS1_3gpuE5ELNS1_3repE0EEENS1_30default_config_static_selectorELNS0_4arch9wavefront6targetE1EEEvT1_,comdat
.Lfunc_end128:
	.size	_ZN7rocprim17ROCPRIM_400000_NS6detail17trampoline_kernelINS0_14default_configENS1_35adjacent_difference_config_selectorILb0EiEEZNS1_24adjacent_difference_implIS3_Lb0ELb0EPiS7_N6thrust23THRUST_200600_302600_NS4plusIiEEEE10hipError_tPvRmT2_T3_mT4_P12ihipStream_tbEUlT_E_NS1_11comp_targetILNS1_3genE10ELNS1_11target_archE1201ELNS1_3gpuE5ELNS1_3repE0EEENS1_30default_config_static_selectorELNS0_4arch9wavefront6targetE1EEEvT1_, .Lfunc_end128-_ZN7rocprim17ROCPRIM_400000_NS6detail17trampoline_kernelINS0_14default_configENS1_35adjacent_difference_config_selectorILb0EiEEZNS1_24adjacent_difference_implIS3_Lb0ELb0EPiS7_N6thrust23THRUST_200600_302600_NS4plusIiEEEE10hipError_tPvRmT2_T3_mT4_P12ihipStream_tbEUlT_E_NS1_11comp_targetILNS1_3genE10ELNS1_11target_archE1201ELNS1_3gpuE5ELNS1_3repE0EEENS1_30default_config_static_selectorELNS0_4arch9wavefront6targetE1EEEvT1_
                                        ; -- End function
	.section	.AMDGPU.csdata,"",@progbits
; Kernel info:
; codeLenInByte = 0
; NumSgprs: 4
; NumVgprs: 0
; NumAgprs: 0
; TotalNumVgprs: 0
; ScratchSize: 0
; MemoryBound: 0
; FloatMode: 240
; IeeeMode: 1
; LDSByteSize: 0 bytes/workgroup (compile time only)
; SGPRBlocks: 0
; VGPRBlocks: 0
; NumSGPRsForWavesPerEU: 4
; NumVGPRsForWavesPerEU: 1
; AccumOffset: 4
; Occupancy: 8
; WaveLimiterHint : 0
; COMPUTE_PGM_RSRC2:SCRATCH_EN: 0
; COMPUTE_PGM_RSRC2:USER_SGPR: 6
; COMPUTE_PGM_RSRC2:TRAP_HANDLER: 0
; COMPUTE_PGM_RSRC2:TGID_X_EN: 1
; COMPUTE_PGM_RSRC2:TGID_Y_EN: 0
; COMPUTE_PGM_RSRC2:TGID_Z_EN: 0
; COMPUTE_PGM_RSRC2:TIDIG_COMP_CNT: 0
; COMPUTE_PGM_RSRC3_GFX90A:ACCUM_OFFSET: 0
; COMPUTE_PGM_RSRC3_GFX90A:TG_SPLIT: 0
	.section	.text._ZN7rocprim17ROCPRIM_400000_NS6detail17trampoline_kernelINS0_14default_configENS1_35adjacent_difference_config_selectorILb0EiEEZNS1_24adjacent_difference_implIS3_Lb0ELb0EPiS7_N6thrust23THRUST_200600_302600_NS4plusIiEEEE10hipError_tPvRmT2_T3_mT4_P12ihipStream_tbEUlT_E_NS1_11comp_targetILNS1_3genE5ELNS1_11target_archE942ELNS1_3gpuE9ELNS1_3repE0EEENS1_30default_config_static_selectorELNS0_4arch9wavefront6targetE1EEEvT1_,"axG",@progbits,_ZN7rocprim17ROCPRIM_400000_NS6detail17trampoline_kernelINS0_14default_configENS1_35adjacent_difference_config_selectorILb0EiEEZNS1_24adjacent_difference_implIS3_Lb0ELb0EPiS7_N6thrust23THRUST_200600_302600_NS4plusIiEEEE10hipError_tPvRmT2_T3_mT4_P12ihipStream_tbEUlT_E_NS1_11comp_targetILNS1_3genE5ELNS1_11target_archE942ELNS1_3gpuE9ELNS1_3repE0EEENS1_30default_config_static_selectorELNS0_4arch9wavefront6targetE1EEEvT1_,comdat
	.protected	_ZN7rocprim17ROCPRIM_400000_NS6detail17trampoline_kernelINS0_14default_configENS1_35adjacent_difference_config_selectorILb0EiEEZNS1_24adjacent_difference_implIS3_Lb0ELb0EPiS7_N6thrust23THRUST_200600_302600_NS4plusIiEEEE10hipError_tPvRmT2_T3_mT4_P12ihipStream_tbEUlT_E_NS1_11comp_targetILNS1_3genE5ELNS1_11target_archE942ELNS1_3gpuE9ELNS1_3repE0EEENS1_30default_config_static_selectorELNS0_4arch9wavefront6targetE1EEEvT1_ ; -- Begin function _ZN7rocprim17ROCPRIM_400000_NS6detail17trampoline_kernelINS0_14default_configENS1_35adjacent_difference_config_selectorILb0EiEEZNS1_24adjacent_difference_implIS3_Lb0ELb0EPiS7_N6thrust23THRUST_200600_302600_NS4plusIiEEEE10hipError_tPvRmT2_T3_mT4_P12ihipStream_tbEUlT_E_NS1_11comp_targetILNS1_3genE5ELNS1_11target_archE942ELNS1_3gpuE9ELNS1_3repE0EEENS1_30default_config_static_selectorELNS0_4arch9wavefront6targetE1EEEvT1_
	.globl	_ZN7rocprim17ROCPRIM_400000_NS6detail17trampoline_kernelINS0_14default_configENS1_35adjacent_difference_config_selectorILb0EiEEZNS1_24adjacent_difference_implIS3_Lb0ELb0EPiS7_N6thrust23THRUST_200600_302600_NS4plusIiEEEE10hipError_tPvRmT2_T3_mT4_P12ihipStream_tbEUlT_E_NS1_11comp_targetILNS1_3genE5ELNS1_11target_archE942ELNS1_3gpuE9ELNS1_3repE0EEENS1_30default_config_static_selectorELNS0_4arch9wavefront6targetE1EEEvT1_
	.p2align	8
	.type	_ZN7rocprim17ROCPRIM_400000_NS6detail17trampoline_kernelINS0_14default_configENS1_35adjacent_difference_config_selectorILb0EiEEZNS1_24adjacent_difference_implIS3_Lb0ELb0EPiS7_N6thrust23THRUST_200600_302600_NS4plusIiEEEE10hipError_tPvRmT2_T3_mT4_P12ihipStream_tbEUlT_E_NS1_11comp_targetILNS1_3genE5ELNS1_11target_archE942ELNS1_3gpuE9ELNS1_3repE0EEENS1_30default_config_static_selectorELNS0_4arch9wavefront6targetE1EEEvT1_,@function
_ZN7rocprim17ROCPRIM_400000_NS6detail17trampoline_kernelINS0_14default_configENS1_35adjacent_difference_config_selectorILb0EiEEZNS1_24adjacent_difference_implIS3_Lb0ELb0EPiS7_N6thrust23THRUST_200600_302600_NS4plusIiEEEE10hipError_tPvRmT2_T3_mT4_P12ihipStream_tbEUlT_E_NS1_11comp_targetILNS1_3genE5ELNS1_11target_archE942ELNS1_3gpuE9ELNS1_3repE0EEENS1_30default_config_static_selectorELNS0_4arch9wavefront6targetE1EEEvT1_: ; @_ZN7rocprim17ROCPRIM_400000_NS6detail17trampoline_kernelINS0_14default_configENS1_35adjacent_difference_config_selectorILb0EiEEZNS1_24adjacent_difference_implIS3_Lb0ELb0EPiS7_N6thrust23THRUST_200600_302600_NS4plusIiEEEE10hipError_tPvRmT2_T3_mT4_P12ihipStream_tbEUlT_E_NS1_11comp_targetILNS1_3genE5ELNS1_11target_archE942ELNS1_3gpuE9ELNS1_3repE0EEENS1_30default_config_static_selectorELNS0_4arch9wavefront6targetE1EEEvT1_
; %bb.0:
	.section	.rodata,"a",@progbits
	.p2align	6, 0x0
	.amdhsa_kernel _ZN7rocprim17ROCPRIM_400000_NS6detail17trampoline_kernelINS0_14default_configENS1_35adjacent_difference_config_selectorILb0EiEEZNS1_24adjacent_difference_implIS3_Lb0ELb0EPiS7_N6thrust23THRUST_200600_302600_NS4plusIiEEEE10hipError_tPvRmT2_T3_mT4_P12ihipStream_tbEUlT_E_NS1_11comp_targetILNS1_3genE5ELNS1_11target_archE942ELNS1_3gpuE9ELNS1_3repE0EEENS1_30default_config_static_selectorELNS0_4arch9wavefront6targetE1EEEvT1_
		.amdhsa_group_segment_fixed_size 0
		.amdhsa_private_segment_fixed_size 0
		.amdhsa_kernarg_size 56
		.amdhsa_user_sgpr_count 6
		.amdhsa_user_sgpr_private_segment_buffer 1
		.amdhsa_user_sgpr_dispatch_ptr 0
		.amdhsa_user_sgpr_queue_ptr 0
		.amdhsa_user_sgpr_kernarg_segment_ptr 1
		.amdhsa_user_sgpr_dispatch_id 0
		.amdhsa_user_sgpr_flat_scratch_init 0
		.amdhsa_user_sgpr_kernarg_preload_length 0
		.amdhsa_user_sgpr_kernarg_preload_offset 0
		.amdhsa_user_sgpr_private_segment_size 0
		.amdhsa_uses_dynamic_stack 0
		.amdhsa_system_sgpr_private_segment_wavefront_offset 0
		.amdhsa_system_sgpr_workgroup_id_x 1
		.amdhsa_system_sgpr_workgroup_id_y 0
		.amdhsa_system_sgpr_workgroup_id_z 0
		.amdhsa_system_sgpr_workgroup_info 0
		.amdhsa_system_vgpr_workitem_id 0
		.amdhsa_next_free_vgpr 1
		.amdhsa_next_free_sgpr 0
		.amdhsa_accum_offset 4
		.amdhsa_reserve_vcc 0
		.amdhsa_reserve_flat_scratch 0
		.amdhsa_float_round_mode_32 0
		.amdhsa_float_round_mode_16_64 0
		.amdhsa_float_denorm_mode_32 3
		.amdhsa_float_denorm_mode_16_64 3
		.amdhsa_dx10_clamp 1
		.amdhsa_ieee_mode 1
		.amdhsa_fp16_overflow 0
		.amdhsa_tg_split 0
		.amdhsa_exception_fp_ieee_invalid_op 0
		.amdhsa_exception_fp_denorm_src 0
		.amdhsa_exception_fp_ieee_div_zero 0
		.amdhsa_exception_fp_ieee_overflow 0
		.amdhsa_exception_fp_ieee_underflow 0
		.amdhsa_exception_fp_ieee_inexact 0
		.amdhsa_exception_int_div_zero 0
	.end_amdhsa_kernel
	.section	.text._ZN7rocprim17ROCPRIM_400000_NS6detail17trampoline_kernelINS0_14default_configENS1_35adjacent_difference_config_selectorILb0EiEEZNS1_24adjacent_difference_implIS3_Lb0ELb0EPiS7_N6thrust23THRUST_200600_302600_NS4plusIiEEEE10hipError_tPvRmT2_T3_mT4_P12ihipStream_tbEUlT_E_NS1_11comp_targetILNS1_3genE5ELNS1_11target_archE942ELNS1_3gpuE9ELNS1_3repE0EEENS1_30default_config_static_selectorELNS0_4arch9wavefront6targetE1EEEvT1_,"axG",@progbits,_ZN7rocprim17ROCPRIM_400000_NS6detail17trampoline_kernelINS0_14default_configENS1_35adjacent_difference_config_selectorILb0EiEEZNS1_24adjacent_difference_implIS3_Lb0ELb0EPiS7_N6thrust23THRUST_200600_302600_NS4plusIiEEEE10hipError_tPvRmT2_T3_mT4_P12ihipStream_tbEUlT_E_NS1_11comp_targetILNS1_3genE5ELNS1_11target_archE942ELNS1_3gpuE9ELNS1_3repE0EEENS1_30default_config_static_selectorELNS0_4arch9wavefront6targetE1EEEvT1_,comdat
.Lfunc_end129:
	.size	_ZN7rocprim17ROCPRIM_400000_NS6detail17trampoline_kernelINS0_14default_configENS1_35adjacent_difference_config_selectorILb0EiEEZNS1_24adjacent_difference_implIS3_Lb0ELb0EPiS7_N6thrust23THRUST_200600_302600_NS4plusIiEEEE10hipError_tPvRmT2_T3_mT4_P12ihipStream_tbEUlT_E_NS1_11comp_targetILNS1_3genE5ELNS1_11target_archE942ELNS1_3gpuE9ELNS1_3repE0EEENS1_30default_config_static_selectorELNS0_4arch9wavefront6targetE1EEEvT1_, .Lfunc_end129-_ZN7rocprim17ROCPRIM_400000_NS6detail17trampoline_kernelINS0_14default_configENS1_35adjacent_difference_config_selectorILb0EiEEZNS1_24adjacent_difference_implIS3_Lb0ELb0EPiS7_N6thrust23THRUST_200600_302600_NS4plusIiEEEE10hipError_tPvRmT2_T3_mT4_P12ihipStream_tbEUlT_E_NS1_11comp_targetILNS1_3genE5ELNS1_11target_archE942ELNS1_3gpuE9ELNS1_3repE0EEENS1_30default_config_static_selectorELNS0_4arch9wavefront6targetE1EEEvT1_
                                        ; -- End function
	.section	.AMDGPU.csdata,"",@progbits
; Kernel info:
; codeLenInByte = 0
; NumSgprs: 4
; NumVgprs: 0
; NumAgprs: 0
; TotalNumVgprs: 0
; ScratchSize: 0
; MemoryBound: 0
; FloatMode: 240
; IeeeMode: 1
; LDSByteSize: 0 bytes/workgroup (compile time only)
; SGPRBlocks: 0
; VGPRBlocks: 0
; NumSGPRsForWavesPerEU: 4
; NumVGPRsForWavesPerEU: 1
; AccumOffset: 4
; Occupancy: 8
; WaveLimiterHint : 0
; COMPUTE_PGM_RSRC2:SCRATCH_EN: 0
; COMPUTE_PGM_RSRC2:USER_SGPR: 6
; COMPUTE_PGM_RSRC2:TRAP_HANDLER: 0
; COMPUTE_PGM_RSRC2:TGID_X_EN: 1
; COMPUTE_PGM_RSRC2:TGID_Y_EN: 0
; COMPUTE_PGM_RSRC2:TGID_Z_EN: 0
; COMPUTE_PGM_RSRC2:TIDIG_COMP_CNT: 0
; COMPUTE_PGM_RSRC3_GFX90A:ACCUM_OFFSET: 0
; COMPUTE_PGM_RSRC3_GFX90A:TG_SPLIT: 0
	.section	.text._ZN7rocprim17ROCPRIM_400000_NS6detail17trampoline_kernelINS0_14default_configENS1_35adjacent_difference_config_selectorILb0EiEEZNS1_24adjacent_difference_implIS3_Lb0ELb0EPiS7_N6thrust23THRUST_200600_302600_NS4plusIiEEEE10hipError_tPvRmT2_T3_mT4_P12ihipStream_tbEUlT_E_NS1_11comp_targetILNS1_3genE4ELNS1_11target_archE910ELNS1_3gpuE8ELNS1_3repE0EEENS1_30default_config_static_selectorELNS0_4arch9wavefront6targetE1EEEvT1_,"axG",@progbits,_ZN7rocprim17ROCPRIM_400000_NS6detail17trampoline_kernelINS0_14default_configENS1_35adjacent_difference_config_selectorILb0EiEEZNS1_24adjacent_difference_implIS3_Lb0ELb0EPiS7_N6thrust23THRUST_200600_302600_NS4plusIiEEEE10hipError_tPvRmT2_T3_mT4_P12ihipStream_tbEUlT_E_NS1_11comp_targetILNS1_3genE4ELNS1_11target_archE910ELNS1_3gpuE8ELNS1_3repE0EEENS1_30default_config_static_selectorELNS0_4arch9wavefront6targetE1EEEvT1_,comdat
	.protected	_ZN7rocprim17ROCPRIM_400000_NS6detail17trampoline_kernelINS0_14default_configENS1_35adjacent_difference_config_selectorILb0EiEEZNS1_24adjacent_difference_implIS3_Lb0ELb0EPiS7_N6thrust23THRUST_200600_302600_NS4plusIiEEEE10hipError_tPvRmT2_T3_mT4_P12ihipStream_tbEUlT_E_NS1_11comp_targetILNS1_3genE4ELNS1_11target_archE910ELNS1_3gpuE8ELNS1_3repE0EEENS1_30default_config_static_selectorELNS0_4arch9wavefront6targetE1EEEvT1_ ; -- Begin function _ZN7rocprim17ROCPRIM_400000_NS6detail17trampoline_kernelINS0_14default_configENS1_35adjacent_difference_config_selectorILb0EiEEZNS1_24adjacent_difference_implIS3_Lb0ELb0EPiS7_N6thrust23THRUST_200600_302600_NS4plusIiEEEE10hipError_tPvRmT2_T3_mT4_P12ihipStream_tbEUlT_E_NS1_11comp_targetILNS1_3genE4ELNS1_11target_archE910ELNS1_3gpuE8ELNS1_3repE0EEENS1_30default_config_static_selectorELNS0_4arch9wavefront6targetE1EEEvT1_
	.globl	_ZN7rocprim17ROCPRIM_400000_NS6detail17trampoline_kernelINS0_14default_configENS1_35adjacent_difference_config_selectorILb0EiEEZNS1_24adjacent_difference_implIS3_Lb0ELb0EPiS7_N6thrust23THRUST_200600_302600_NS4plusIiEEEE10hipError_tPvRmT2_T3_mT4_P12ihipStream_tbEUlT_E_NS1_11comp_targetILNS1_3genE4ELNS1_11target_archE910ELNS1_3gpuE8ELNS1_3repE0EEENS1_30default_config_static_selectorELNS0_4arch9wavefront6targetE1EEEvT1_
	.p2align	8
	.type	_ZN7rocprim17ROCPRIM_400000_NS6detail17trampoline_kernelINS0_14default_configENS1_35adjacent_difference_config_selectorILb0EiEEZNS1_24adjacent_difference_implIS3_Lb0ELb0EPiS7_N6thrust23THRUST_200600_302600_NS4plusIiEEEE10hipError_tPvRmT2_T3_mT4_P12ihipStream_tbEUlT_E_NS1_11comp_targetILNS1_3genE4ELNS1_11target_archE910ELNS1_3gpuE8ELNS1_3repE0EEENS1_30default_config_static_selectorELNS0_4arch9wavefront6targetE1EEEvT1_,@function
_ZN7rocprim17ROCPRIM_400000_NS6detail17trampoline_kernelINS0_14default_configENS1_35adjacent_difference_config_selectorILb0EiEEZNS1_24adjacent_difference_implIS3_Lb0ELb0EPiS7_N6thrust23THRUST_200600_302600_NS4plusIiEEEE10hipError_tPvRmT2_T3_mT4_P12ihipStream_tbEUlT_E_NS1_11comp_targetILNS1_3genE4ELNS1_11target_archE910ELNS1_3gpuE8ELNS1_3repE0EEENS1_30default_config_static_selectorELNS0_4arch9wavefront6targetE1EEEvT1_: ; @_ZN7rocprim17ROCPRIM_400000_NS6detail17trampoline_kernelINS0_14default_configENS1_35adjacent_difference_config_selectorILb0EiEEZNS1_24adjacent_difference_implIS3_Lb0ELb0EPiS7_N6thrust23THRUST_200600_302600_NS4plusIiEEEE10hipError_tPvRmT2_T3_mT4_P12ihipStream_tbEUlT_E_NS1_11comp_targetILNS1_3genE4ELNS1_11target_archE910ELNS1_3gpuE8ELNS1_3repE0EEENS1_30default_config_static_selectorELNS0_4arch9wavefront6targetE1EEEvT1_
; %bb.0:
	s_load_dwordx8 s[8:15], s[4:5], 0x0
	s_mov_b32 s2, 0x59999780
	s_movk_i32 s7, 0xa00
	s_load_dwordx2 s[0:1], s[4:5], 0x30
	s_mul_i32 s4, s6, 0xa00
	s_waitcnt lgkmcnt(0)
	s_lshl_b64 s[10:11], s[10:11], 2
	s_add_u32 s20, s8, s10
	s_addc_u32 s21, s9, s11
	s_add_u32 s2, 0xe0, s2
	s_addc_u32 s8, 0, 0
	v_add_co_u32_e64 v1, s[2:3], s2, 2.0
	s_cmp_lg_u64 s[2:3], 0
	s_addc_u32 s2, s8, 0x199999
	v_readfirstlane_b32 s8, v1
	s_mul_hi_u32 s9, s8, 0xfffff600
	s_mul_i32 s3, s2, 0xfffff600
	s_sub_i32 s9, s9, s8
	s_add_i32 s9, s9, s3
	s_mul_i32 s17, s8, 0xfffff600
	s_mul_hi_u32 s3, s8, s9
	s_mul_i32 s16, s8, s9
	s_mul_hi_u32 s8, s8, s17
	s_add_u32 s8, s8, s16
	s_addc_u32 s3, 0, s3
	s_mul_hi_u32 s18, s2, s17
	s_mul_i32 s17, s2, s17
	s_add_u32 s8, s8, s17
	s_mul_hi_u32 s16, s2, s9
	s_addc_u32 s3, s3, s18
	s_addc_u32 s8, s16, 0
	s_mul_i32 s9, s2, s9
	s_add_u32 s3, s3, s9
	s_addc_u32 s8, 0, s8
	v_add_co_u32_e32 v1, vcc, s3, v1
	s_cmp_lg_u64 vcc, 0
	s_addc_u32 s2, s2, s8
	v_readfirstlane_b32 s9, v1
	s_mul_i32 s8, s14, s2
	s_mul_hi_u32 s16, s14, s9
	s_mul_hi_u32 s3, s14, s2
	s_add_u32 s8, s16, s8
	s_addc_u32 s3, 0, s3
	s_mul_hi_u32 s17, s15, s9
	s_mul_i32 s9, s15, s9
	s_add_u32 s8, s8, s9
	s_mul_hi_u32 s16, s15, s2
	s_addc_u32 s3, s3, s17
	s_addc_u32 s8, s16, 0
	s_mul_i32 s2, s15, s2
	s_add_u32 s2, s3, s2
	s_addc_u32 s3, 0, s8
	s_add_u32 s8, s2, 1
	s_addc_u32 s9, s3, 0
	s_add_u32 s16, s2, 2
	s_mul_i32 s18, s3, 0xa00
	s_mul_hi_u32 s19, s2, 0xa00
	s_addc_u32 s17, s3, 0
	s_add_i32 s19, s19, s18
	s_mul_i32 s18, s2, 0xa00
	v_mov_b32_e32 v1, s18
	v_sub_co_u32_e32 v1, vcc, s14, v1
	s_cmp_lg_u64 vcc, 0
	s_subb_u32 s18, s15, s19
	v_subrev_co_u32_e32 v2, vcc, s7, v1
	s_cmp_lg_u64 vcc, 0
	s_subb_u32 s7, s18, 0
	v_readfirstlane_b32 s19, v2
	s_cmpk_gt_u32 s19, 0x9ff
	s_cselect_b32 s19, -1, 0
	s_cmp_eq_u32 s7, 0
	s_cselect_b32 s7, s19, -1
	s_cmp_lg_u32 s7, 0
	s_cselect_b32 s7, s16, s8
	s_cselect_b32 s8, s17, s9
	v_readfirstlane_b32 s9, v1
	s_cmpk_gt_u32 s9, 0x9ff
	s_cselect_b32 s9, -1, 0
	s_cmp_eq_u32 s18, 0
	s_cselect_b32 s9, s9, -1
	s_cmp_lg_u32 s9, 0
	s_cselect_b32 s8, s8, s3
	s_cselect_b32 s7, s7, s2
	s_mul_i32 s2, s8, 0xa00
	s_mul_hi_u32 s3, s7, 0xa00
	s_add_i32 s3, s3, s2
	s_mul_i32 s2, s7, 0xa00
	s_sub_u32 s2, s14, s2
	s_subb_u32 s3, s15, s3
	s_cmp_lg_u64 s[2:3], 0
	s_cselect_b64 s[2:3], -1, 0
	v_cndmask_b32_e64 v1, 0, 1, s[2:3]
	v_readfirstlane_b32 s2, v1
	s_add_u32 s2, s7, s2
	s_addc_u32 s3, s8, 0
	s_add_u32 s6, s0, s6
	s_addc_u32 s7, s1, 0
	s_add_u32 s8, s2, -1
	s_addc_u32 s9, s3, -1
	v_pk_mov_b32 v[2:3], s[8:9], s[8:9] op_sel:[0,1]
	v_cmp_ge_u64_e64 s[0:1], s[6:7], v[2:3]
	s_mov_b32 s5, 0
	s_mov_b64 s[16:17], -1
	s_and_b64 vcc, exec, s[0:1]
	s_mul_i32 s15, s8, 0xfffff600
	s_cbranch_vccz .LBB130_12
; %bb.1:
	s_add_i32 s22, s15, s14
	s_lshl_b64 s[16:17], s[4:5], 2
	s_add_u32 s16, s20, s16
	s_addc_u32 s17, s21, s17
	v_cmp_gt_u32_e32 vcc, s22, v0
                                        ; implicit-def: $vgpr2_vgpr3_vgpr4_vgpr5_vgpr6
	s_and_saveexec_b64 s[18:19], vcc
	s_cbranch_execz .LBB130_3
; %bb.2:
	v_lshlrev_b32_e32 v1, 2, v0
	global_load_dword v2, v1, s[16:17]
.LBB130_3:
	s_or_b64 exec, exec, s[18:19]
	v_or_b32_e32 v1, 0x200, v0
	v_cmp_gt_u32_e32 vcc, s22, v1
	s_and_saveexec_b64 s[18:19], vcc
	s_cbranch_execz .LBB130_5
; %bb.4:
	v_lshlrev_b32_e32 v1, 2, v0
	global_load_dword v3, v1, s[16:17] offset:2048
.LBB130_5:
	s_or_b64 exec, exec, s[18:19]
	v_or_b32_e32 v1, 0x400, v0
	v_cmp_gt_u32_e32 vcc, s22, v1
	s_and_saveexec_b64 s[18:19], vcc
	s_cbranch_execz .LBB130_7
; %bb.6:
	v_lshlrev_b32_e32 v1, 2, v1
	global_load_dword v4, v1, s[16:17]
.LBB130_7:
	s_or_b64 exec, exec, s[18:19]
	v_or_b32_e32 v1, 0x600, v0
	v_cmp_gt_u32_e32 vcc, s22, v1
	s_and_saveexec_b64 s[18:19], vcc
	s_cbranch_execz .LBB130_9
; %bb.8:
	v_lshlrev_b32_e32 v1, 2, v1
	global_load_dword v5, v1, s[16:17]
.LBB130_9:
	;; [unrolled: 9-line block ×3, first 2 shown]
	s_or_b64 exec, exec, s[18:19]
	v_lshlrev_b32_e32 v1, 2, v0
	s_mov_b64 s[16:17], 0
	s_waitcnt vmcnt(0)
	ds_write2st64_b32 v1, v2, v3 offset1:8
	ds_write2st64_b32 v1, v4, v5 offset0:16 offset1:24
	ds_write_b32 v1, v6 offset:8192
	s_waitcnt lgkmcnt(0)
	s_barrier
.LBB130_12:
	s_and_b64 vcc, exec, s[16:17]
	v_lshlrev_b32_e32 v1, 2, v0
	s_cbranch_vccz .LBB130_14
; %bb.13:
	s_lshl_b64 s[16:17], s[4:5], 2
	s_add_u32 s16, s20, s16
	s_addc_u32 s17, s21, s17
	v_mov_b32_e32 v2, s17
	v_add_co_u32_e32 v4, vcc, s16, v1
	v_addc_co_u32_e32 v5, vcc, 0, v2, vcc
	v_add_co_u32_e32 v2, vcc, 0x1000, v4
	v_addc_co_u32_e32 v3, vcc, 0, v5, vcc
	global_load_dword v6, v1, s[16:17]
	global_load_dword v7, v1, s[16:17] offset:2048
	global_load_dword v8, v[2:3], off
	global_load_dword v9, v[2:3], off offset:2048
	v_add_co_u32_e32 v2, vcc, 0x2000, v4
	v_addc_co_u32_e32 v3, vcc, 0, v5, vcc
	global_load_dword v2, v[2:3], off
	s_waitcnt vmcnt(3)
	ds_write2st64_b32 v1, v6, v7 offset1:8
	s_waitcnt vmcnt(1)
	ds_write2st64_b32 v1, v8, v9 offset0:16 offset1:24
	s_waitcnt vmcnt(0)
	ds_write_b32 v1, v2 offset:8192
	s_waitcnt lgkmcnt(0)
	s_barrier
.LBB130_14:
	v_mul_u32_u24_e32 v2, 5, v0
	v_lshlrev_b32_e32 v3, 2, v2
	ds_read_b32 v2, v3
	ds_read2_b32 v[20:21], v3 offset0:1 offset1:2
	ds_read2_b32 v[22:23], v3 offset0:3 offset1:4
	s_cmp_eq_u64 s[6:7], 0
	s_waitcnt lgkmcnt(0)
	s_barrier
	s_cbranch_scc1 .LBB130_19
; %bb.15:
	s_lshl_b64 s[16:17], s[4:5], 2
	s_add_u32 s5, s20, s16
	s_addc_u32 s17, s21, s17
	s_add_u32 s16, s5, -4
	s_addc_u32 s17, s17, -1
	s_load_dword s5, s[16:17], 0x0
	s_cmp_eq_u64 s[6:7], s[8:9]
	s_cbranch_scc1 .LBB130_20
; %bb.16:
	v_cmp_ne_u32_e32 vcc, 0, v0
	s_waitcnt lgkmcnt(0)
	v_mov_b32_e32 v3, s5
	ds_write_b32 v1, v23
	s_waitcnt lgkmcnt(0)
	s_barrier
	s_and_saveexec_b64 s[8:9], vcc
	s_cbranch_execz .LBB130_18
; %bb.17:
	v_add_u32_e32 v3, -4, v1
	ds_read_b32 v3, v3
.LBB130_18:
	s_or_b64 exec, exec, s[8:9]
	v_add_u32_e32 v8, v23, v22
	v_add_u32_e32 v9, v22, v21
	;; [unrolled: 1-line block ×4, first 2 shown]
	s_cbranch_execz .LBB130_21
	s_branch .LBB130_24
.LBB130_19:
                                        ; implicit-def: $vgpr14_vgpr15_vgpr16_vgpr17_vgpr18
                                        ; implicit-def: $vgpr10_vgpr11_vgpr12_vgpr13_vgpr14
	s_mov_b64 s[6:7], 0
                                        ; implicit-def: $vgpr6_vgpr7_vgpr8_vgpr9_vgpr10
                                        ; implicit-def: $vgpr3
                                        ; implicit-def: $vgpr4_vgpr5_vgpr6_vgpr7_vgpr8
	s_branch .LBB130_25
.LBB130_20:
                                        ; implicit-def: $vgpr14_vgpr15_vgpr16_vgpr17_vgpr18
                                        ; implicit-def: $vgpr10_vgpr11_vgpr12_vgpr13_vgpr14
                                        ; implicit-def: $vgpr3
                                        ; implicit-def: $vgpr6_vgpr7_vgpr8_vgpr9_vgpr10
                                        ; implicit-def: $vgpr4_vgpr5_vgpr6_vgpr7_vgpr8
.LBB130_21:
	s_waitcnt lgkmcnt(0)
	v_mul_u32_u24_e32 v3, 5, v0
	v_cmp_ne_u32_e32 vcc, 0, v0
	v_mov_b32_e32 v4, s5
	ds_write_b32 v1, v23
	s_waitcnt lgkmcnt(0)
	s_barrier
	s_and_saveexec_b64 s[8:9], vcc
	s_cbranch_execz .LBB130_23
; %bb.22:
	v_add_u32_e32 v4, -4, v1
	ds_read_b32 v4, v4
.LBB130_23:
	s_or_b64 exec, exec, s[8:9]
	s_mul_i32 s5, s6, 0xfffff600
	s_add_i32 s5, s5, s14
	v_add_u32_e32 v5, 4, v3
	v_add_u32_e32 v6, v23, v22
	v_cmp_gt_u32_e32 vcc, s5, v5
	v_add_u32_e32 v5, 3, v3
	v_cndmask_b32_e32 v8, v23, v6, vcc
	v_add_u32_e32 v6, v22, v21
	v_cmp_gt_u32_e32 vcc, s5, v5
	v_add_u32_e32 v5, 2, v3
	v_cndmask_b32_e32 v9, v22, v6, vcc
	;; [unrolled: 4-line block ×3, first 2 shown]
	v_add_u32_e32 v6, v20, v2
	v_cmp_gt_u32_e32 vcc, s5, v5
	v_cndmask_b32_e32 v15, v20, v6, vcc
	v_cmp_gt_u32_e32 vcc, s5, v3
	s_waitcnt lgkmcnt(0)
	v_cndmask_b32_e32 v3, 0, v4, vcc
.LBB130_24:
	s_mov_b64 s[6:7], -1
	s_cbranch_execnz .LBB130_33
.LBB130_25:
	s_cmp_lg_u64 s[2:3], 1
	v_add_u32_e32 v9, v22, v21
	v_add_u32_e32 v8, v23, v22
	;; [unrolled: 1-line block ×4, first 2 shown]
	v_cmp_ne_u32_e32 vcc, 0, v0
	s_cbranch_scc0 .LBB130_29
; %bb.26:
	ds_write_b32 v1, v23
	s_waitcnt lgkmcnt(0)
	s_barrier
	s_waitcnt lgkmcnt(0)
                                        ; implicit-def: $vgpr3
	s_and_saveexec_b64 s[2:3], vcc
	s_cbranch_execz .LBB130_28
; %bb.27:
	v_add_u32_e32 v3, -4, v1
	ds_read_b32 v3, v3
	s_or_b64 s[6:7], s[6:7], exec
.LBB130_28:
	s_or_b64 exec, exec, s[2:3]
	s_branch .LBB130_33
.LBB130_29:
                                        ; implicit-def: $vgpr3
	s_cbranch_execz .LBB130_33
; %bb.30:
	v_mad_u32_u24 v4, v0, 5, 4
	v_cmp_gt_u32_e32 vcc, s14, v4
	v_mad_u32_u24 v4, v0, 5, 3
	v_cndmask_b32_e32 v8, v23, v8, vcc
	v_cmp_gt_u32_e32 vcc, s14, v4
	v_mad_u32_u24 v4, v0, 5, 2
	v_cndmask_b32_e32 v9, v22, v9, vcc
	v_cmp_gt_u32_e32 vcc, s14, v4
	v_mad_u32_u24 v4, v0, 5, 1
	s_waitcnt lgkmcnt(0)
	v_mul_u32_u24_e32 v3, 5, v0
	v_cndmask_b32_e32 v12, v21, v12, vcc
	v_cmp_gt_u32_e32 vcc, s14, v4
	v_cndmask_b32_e32 v15, v20, v15, vcc
	v_cmp_ne_u32_e32 vcc, 0, v0
	v_cmp_gt_u32_e64 s[2:3], s14, v3
	s_and_b64 s[8:9], vcc, s[2:3]
	ds_write_b32 v1, v23
	s_waitcnt lgkmcnt(0)
	s_barrier
	s_waitcnt lgkmcnt(0)
                                        ; implicit-def: $vgpr3
	s_and_saveexec_b64 s[2:3], s[8:9]
	s_cbranch_execz .LBB130_32
; %bb.31:
	v_add_u32_e32 v3, -4, v1
	ds_read_b32 v3, v3
	s_or_b64 s[6:7], s[6:7], exec
.LBB130_32:
	s_or_b64 exec, exec, s[2:3]
.LBB130_33:
	s_and_saveexec_b64 s[2:3], s[6:7]
	s_cbranch_execz .LBB130_35
; %bb.34:
	s_waitcnt lgkmcnt(0)
	v_add_u32_e32 v2, v3, v2
.LBB130_35:
	s_or_b64 exec, exec, s[2:3]
	s_add_u32 s6, s12, s10
	s_addc_u32 s7, s13, s11
	s_and_b64 vcc, exec, s[0:1]
	s_waitcnt lgkmcnt(0)
	v_mul_u32_u24_e32 v3, 20, v0
	v_lshlrev_b32_e32 v13, 4, v0
	s_barrier
	s_cbranch_vccz .LBB130_45
; %bb.36:
	s_mov_b32 s5, 0
	s_add_i32 s15, s15, s14
	s_lshl_b64 s[0:1], s[4:5], 2
	v_sub_u32_e32 v4, v3, v13
	s_add_u32 s0, s6, s0
	ds_write2_b32 v3, v2, v15 offset1:1
	ds_write2_b32 v3, v12, v9 offset0:2 offset1:3
	ds_write_b32 v3, v8 offset:16
	s_waitcnt lgkmcnt(0)
	s_barrier
	ds_read2st64_b32 v[10:11], v4 offset0:8 offset1:16
	ds_read2st64_b32 v[4:5], v4 offset0:24 offset1:32
	s_addc_u32 s1, s7, s1
	v_mov_b32_e32 v7, s1
	v_add_co_u32_e32 v6, vcc, s0, v1
	v_addc_co_u32_e32 v7, vcc, 0, v7, vcc
	v_cmp_gt_u32_e32 vcc, s15, v0
	s_and_saveexec_b64 s[0:1], vcc
	s_cbranch_execz .LBB130_38
; %bb.37:
	v_sub_u32_e32 v14, 0, v13
	v_add_u32_e32 v14, v3, v14
	ds_read_b32 v14, v14
	s_waitcnt lgkmcnt(0)
	global_store_dword v[6:7], v14, off
.LBB130_38:
	s_or_b64 exec, exec, s[0:1]
	v_or_b32_e32 v14, 0x200, v0
	v_cmp_gt_u32_e32 vcc, s15, v14
	s_and_saveexec_b64 s[0:1], vcc
	s_cbranch_execz .LBB130_40
; %bb.39:
	s_waitcnt lgkmcnt(1)
	global_store_dword v[6:7], v10, off offset:2048
.LBB130_40:
	s_or_b64 exec, exec, s[0:1]
	s_waitcnt lgkmcnt(1)
	v_or_b32_e32 v10, 0x400, v0
	v_cmp_gt_u32_e32 vcc, s15, v10
	s_and_saveexec_b64 s[0:1], vcc
	s_cbranch_execz .LBB130_42
; %bb.41:
	v_add_co_u32_e32 v16, vcc, 0x1000, v6
	v_addc_co_u32_e32 v17, vcc, 0, v7, vcc
	global_store_dword v[16:17], v11, off
.LBB130_42:
	s_or_b64 exec, exec, s[0:1]
	v_or_b32_e32 v10, 0x600, v0
	v_cmp_gt_u32_e32 vcc, s15, v10
	s_and_saveexec_b64 s[0:1], vcc
	s_cbranch_execz .LBB130_44
; %bb.43:
	v_add_co_u32_e32 v10, vcc, 0x1000, v6
	v_addc_co_u32_e32 v11, vcc, 0, v7, vcc
	s_waitcnt lgkmcnt(0)
	global_store_dword v[10:11], v4, off offset:2048
.LBB130_44:
	s_or_b64 exec, exec, s[0:1]
	v_or_b32_e32 v0, 0x800, v0
	v_cmp_gt_u32_e64 s[0:1], s15, v0
	s_branch .LBB130_47
.LBB130_45:
	s_mov_b64 s[0:1], 0
                                        ; implicit-def: $vgpr5
                                        ; implicit-def: $vgpr6_vgpr7
	s_cbranch_execz .LBB130_47
; %bb.46:
	s_mov_b32 s5, 0
	s_lshl_b64 s[2:3], s[4:5], 2
	s_add_u32 s2, s6, s2
	s_addc_u32 s3, s7, s3
	v_sub_u32_e32 v0, v3, v13
	ds_write2_b32 v3, v2, v15 offset1:1
	ds_write2_b32 v3, v12, v9 offset0:2 offset1:3
	ds_write_b32 v3, v8 offset:16
	s_waitcnt lgkmcnt(0)
	s_barrier
	ds_read2st64_b32 v[2:3], v0 offset1:8
	ds_read2st64_b32 v[8:9], v0 offset0:16 offset1:24
	ds_read_b32 v5, v0 offset:8192
	v_mov_b32_e32 v0, s3
	v_add_co_u32_e32 v6, vcc, s2, v1
	v_addc_co_u32_e32 v7, vcc, 0, v0, vcc
	v_add_co_u32_e32 v0, vcc, 0x1000, v6
	s_waitcnt lgkmcnt(2)
	global_store_dword v1, v2, s[2:3]
	global_store_dword v1, v3, s[2:3] offset:2048
	v_addc_co_u32_e32 v1, vcc, 0, v7, vcc
	s_or_b64 s[0:1], s[0:1], exec
	s_waitcnt lgkmcnt(1)
	global_store_dword v[0:1], v8, off
	global_store_dword v[0:1], v9, off offset:2048
.LBB130_47:
	s_and_saveexec_b64 s[2:3], s[0:1]
	s_cbranch_execnz .LBB130_49
; %bb.48:
	s_endpgm
.LBB130_49:
	v_add_co_u32_e32 v0, vcc, 0x2000, v6
	v_addc_co_u32_e32 v1, vcc, 0, v7, vcc
	s_waitcnt lgkmcnt(0)
	global_store_dword v[0:1], v5, off
	s_endpgm
	.section	.rodata,"a",@progbits
	.p2align	6, 0x0
	.amdhsa_kernel _ZN7rocprim17ROCPRIM_400000_NS6detail17trampoline_kernelINS0_14default_configENS1_35adjacent_difference_config_selectorILb0EiEEZNS1_24adjacent_difference_implIS3_Lb0ELb0EPiS7_N6thrust23THRUST_200600_302600_NS4plusIiEEEE10hipError_tPvRmT2_T3_mT4_P12ihipStream_tbEUlT_E_NS1_11comp_targetILNS1_3genE4ELNS1_11target_archE910ELNS1_3gpuE8ELNS1_3repE0EEENS1_30default_config_static_selectorELNS0_4arch9wavefront6targetE1EEEvT1_
		.amdhsa_group_segment_fixed_size 10240
		.amdhsa_private_segment_fixed_size 0
		.amdhsa_kernarg_size 56
		.amdhsa_user_sgpr_count 6
		.amdhsa_user_sgpr_private_segment_buffer 1
		.amdhsa_user_sgpr_dispatch_ptr 0
		.amdhsa_user_sgpr_queue_ptr 0
		.amdhsa_user_sgpr_kernarg_segment_ptr 1
		.amdhsa_user_sgpr_dispatch_id 0
		.amdhsa_user_sgpr_flat_scratch_init 0
		.amdhsa_user_sgpr_kernarg_preload_length 0
		.amdhsa_user_sgpr_kernarg_preload_offset 0
		.amdhsa_user_sgpr_private_segment_size 0
		.amdhsa_uses_dynamic_stack 0
		.amdhsa_system_sgpr_private_segment_wavefront_offset 0
		.amdhsa_system_sgpr_workgroup_id_x 1
		.amdhsa_system_sgpr_workgroup_id_y 0
		.amdhsa_system_sgpr_workgroup_id_z 0
		.amdhsa_system_sgpr_workgroup_info 0
		.amdhsa_system_vgpr_workitem_id 0
		.amdhsa_next_free_vgpr 24
		.amdhsa_next_free_sgpr 23
		.amdhsa_accum_offset 24
		.amdhsa_reserve_vcc 1
		.amdhsa_reserve_flat_scratch 0
		.amdhsa_float_round_mode_32 0
		.amdhsa_float_round_mode_16_64 0
		.amdhsa_float_denorm_mode_32 3
		.amdhsa_float_denorm_mode_16_64 3
		.amdhsa_dx10_clamp 1
		.amdhsa_ieee_mode 1
		.amdhsa_fp16_overflow 0
		.amdhsa_tg_split 0
		.amdhsa_exception_fp_ieee_invalid_op 0
		.amdhsa_exception_fp_denorm_src 0
		.amdhsa_exception_fp_ieee_div_zero 0
		.amdhsa_exception_fp_ieee_overflow 0
		.amdhsa_exception_fp_ieee_underflow 0
		.amdhsa_exception_fp_ieee_inexact 0
		.amdhsa_exception_int_div_zero 0
	.end_amdhsa_kernel
	.section	.text._ZN7rocprim17ROCPRIM_400000_NS6detail17trampoline_kernelINS0_14default_configENS1_35adjacent_difference_config_selectorILb0EiEEZNS1_24adjacent_difference_implIS3_Lb0ELb0EPiS7_N6thrust23THRUST_200600_302600_NS4plusIiEEEE10hipError_tPvRmT2_T3_mT4_P12ihipStream_tbEUlT_E_NS1_11comp_targetILNS1_3genE4ELNS1_11target_archE910ELNS1_3gpuE8ELNS1_3repE0EEENS1_30default_config_static_selectorELNS0_4arch9wavefront6targetE1EEEvT1_,"axG",@progbits,_ZN7rocprim17ROCPRIM_400000_NS6detail17trampoline_kernelINS0_14default_configENS1_35adjacent_difference_config_selectorILb0EiEEZNS1_24adjacent_difference_implIS3_Lb0ELb0EPiS7_N6thrust23THRUST_200600_302600_NS4plusIiEEEE10hipError_tPvRmT2_T3_mT4_P12ihipStream_tbEUlT_E_NS1_11comp_targetILNS1_3genE4ELNS1_11target_archE910ELNS1_3gpuE8ELNS1_3repE0EEENS1_30default_config_static_selectorELNS0_4arch9wavefront6targetE1EEEvT1_,comdat
.Lfunc_end130:
	.size	_ZN7rocprim17ROCPRIM_400000_NS6detail17trampoline_kernelINS0_14default_configENS1_35adjacent_difference_config_selectorILb0EiEEZNS1_24adjacent_difference_implIS3_Lb0ELb0EPiS7_N6thrust23THRUST_200600_302600_NS4plusIiEEEE10hipError_tPvRmT2_T3_mT4_P12ihipStream_tbEUlT_E_NS1_11comp_targetILNS1_3genE4ELNS1_11target_archE910ELNS1_3gpuE8ELNS1_3repE0EEENS1_30default_config_static_selectorELNS0_4arch9wavefront6targetE1EEEvT1_, .Lfunc_end130-_ZN7rocprim17ROCPRIM_400000_NS6detail17trampoline_kernelINS0_14default_configENS1_35adjacent_difference_config_selectorILb0EiEEZNS1_24adjacent_difference_implIS3_Lb0ELb0EPiS7_N6thrust23THRUST_200600_302600_NS4plusIiEEEE10hipError_tPvRmT2_T3_mT4_P12ihipStream_tbEUlT_E_NS1_11comp_targetILNS1_3genE4ELNS1_11target_archE910ELNS1_3gpuE8ELNS1_3repE0EEENS1_30default_config_static_selectorELNS0_4arch9wavefront6targetE1EEEvT1_
                                        ; -- End function
	.section	.AMDGPU.csdata,"",@progbits
; Kernel info:
; codeLenInByte = 1944
; NumSgprs: 27
; NumVgprs: 24
; NumAgprs: 0
; TotalNumVgprs: 24
; ScratchSize: 0
; MemoryBound: 0
; FloatMode: 240
; IeeeMode: 1
; LDSByteSize: 10240 bytes/workgroup (compile time only)
; SGPRBlocks: 3
; VGPRBlocks: 2
; NumSGPRsForWavesPerEU: 27
; NumVGPRsForWavesPerEU: 24
; AccumOffset: 24
; Occupancy: 8
; WaveLimiterHint : 1
; COMPUTE_PGM_RSRC2:SCRATCH_EN: 0
; COMPUTE_PGM_RSRC2:USER_SGPR: 6
; COMPUTE_PGM_RSRC2:TRAP_HANDLER: 0
; COMPUTE_PGM_RSRC2:TGID_X_EN: 1
; COMPUTE_PGM_RSRC2:TGID_Y_EN: 0
; COMPUTE_PGM_RSRC2:TGID_Z_EN: 0
; COMPUTE_PGM_RSRC2:TIDIG_COMP_CNT: 0
; COMPUTE_PGM_RSRC3_GFX90A:ACCUM_OFFSET: 5
; COMPUTE_PGM_RSRC3_GFX90A:TG_SPLIT: 0
	.section	.text._ZN7rocprim17ROCPRIM_400000_NS6detail17trampoline_kernelINS0_14default_configENS1_35adjacent_difference_config_selectorILb0EiEEZNS1_24adjacent_difference_implIS3_Lb0ELb0EPiS7_N6thrust23THRUST_200600_302600_NS4plusIiEEEE10hipError_tPvRmT2_T3_mT4_P12ihipStream_tbEUlT_E_NS1_11comp_targetILNS1_3genE3ELNS1_11target_archE908ELNS1_3gpuE7ELNS1_3repE0EEENS1_30default_config_static_selectorELNS0_4arch9wavefront6targetE1EEEvT1_,"axG",@progbits,_ZN7rocprim17ROCPRIM_400000_NS6detail17trampoline_kernelINS0_14default_configENS1_35adjacent_difference_config_selectorILb0EiEEZNS1_24adjacent_difference_implIS3_Lb0ELb0EPiS7_N6thrust23THRUST_200600_302600_NS4plusIiEEEE10hipError_tPvRmT2_T3_mT4_P12ihipStream_tbEUlT_E_NS1_11comp_targetILNS1_3genE3ELNS1_11target_archE908ELNS1_3gpuE7ELNS1_3repE0EEENS1_30default_config_static_selectorELNS0_4arch9wavefront6targetE1EEEvT1_,comdat
	.protected	_ZN7rocprim17ROCPRIM_400000_NS6detail17trampoline_kernelINS0_14default_configENS1_35adjacent_difference_config_selectorILb0EiEEZNS1_24adjacent_difference_implIS3_Lb0ELb0EPiS7_N6thrust23THRUST_200600_302600_NS4plusIiEEEE10hipError_tPvRmT2_T3_mT4_P12ihipStream_tbEUlT_E_NS1_11comp_targetILNS1_3genE3ELNS1_11target_archE908ELNS1_3gpuE7ELNS1_3repE0EEENS1_30default_config_static_selectorELNS0_4arch9wavefront6targetE1EEEvT1_ ; -- Begin function _ZN7rocprim17ROCPRIM_400000_NS6detail17trampoline_kernelINS0_14default_configENS1_35adjacent_difference_config_selectorILb0EiEEZNS1_24adjacent_difference_implIS3_Lb0ELb0EPiS7_N6thrust23THRUST_200600_302600_NS4plusIiEEEE10hipError_tPvRmT2_T3_mT4_P12ihipStream_tbEUlT_E_NS1_11comp_targetILNS1_3genE3ELNS1_11target_archE908ELNS1_3gpuE7ELNS1_3repE0EEENS1_30default_config_static_selectorELNS0_4arch9wavefront6targetE1EEEvT1_
	.globl	_ZN7rocprim17ROCPRIM_400000_NS6detail17trampoline_kernelINS0_14default_configENS1_35adjacent_difference_config_selectorILb0EiEEZNS1_24adjacent_difference_implIS3_Lb0ELb0EPiS7_N6thrust23THRUST_200600_302600_NS4plusIiEEEE10hipError_tPvRmT2_T3_mT4_P12ihipStream_tbEUlT_E_NS1_11comp_targetILNS1_3genE3ELNS1_11target_archE908ELNS1_3gpuE7ELNS1_3repE0EEENS1_30default_config_static_selectorELNS0_4arch9wavefront6targetE1EEEvT1_
	.p2align	8
	.type	_ZN7rocprim17ROCPRIM_400000_NS6detail17trampoline_kernelINS0_14default_configENS1_35adjacent_difference_config_selectorILb0EiEEZNS1_24adjacent_difference_implIS3_Lb0ELb0EPiS7_N6thrust23THRUST_200600_302600_NS4plusIiEEEE10hipError_tPvRmT2_T3_mT4_P12ihipStream_tbEUlT_E_NS1_11comp_targetILNS1_3genE3ELNS1_11target_archE908ELNS1_3gpuE7ELNS1_3repE0EEENS1_30default_config_static_selectorELNS0_4arch9wavefront6targetE1EEEvT1_,@function
_ZN7rocprim17ROCPRIM_400000_NS6detail17trampoline_kernelINS0_14default_configENS1_35adjacent_difference_config_selectorILb0EiEEZNS1_24adjacent_difference_implIS3_Lb0ELb0EPiS7_N6thrust23THRUST_200600_302600_NS4plusIiEEEE10hipError_tPvRmT2_T3_mT4_P12ihipStream_tbEUlT_E_NS1_11comp_targetILNS1_3genE3ELNS1_11target_archE908ELNS1_3gpuE7ELNS1_3repE0EEENS1_30default_config_static_selectorELNS0_4arch9wavefront6targetE1EEEvT1_: ; @_ZN7rocprim17ROCPRIM_400000_NS6detail17trampoline_kernelINS0_14default_configENS1_35adjacent_difference_config_selectorILb0EiEEZNS1_24adjacent_difference_implIS3_Lb0ELb0EPiS7_N6thrust23THRUST_200600_302600_NS4plusIiEEEE10hipError_tPvRmT2_T3_mT4_P12ihipStream_tbEUlT_E_NS1_11comp_targetILNS1_3genE3ELNS1_11target_archE908ELNS1_3gpuE7ELNS1_3repE0EEENS1_30default_config_static_selectorELNS0_4arch9wavefront6targetE1EEEvT1_
; %bb.0:
	.section	.rodata,"a",@progbits
	.p2align	6, 0x0
	.amdhsa_kernel _ZN7rocprim17ROCPRIM_400000_NS6detail17trampoline_kernelINS0_14default_configENS1_35adjacent_difference_config_selectorILb0EiEEZNS1_24adjacent_difference_implIS3_Lb0ELb0EPiS7_N6thrust23THRUST_200600_302600_NS4plusIiEEEE10hipError_tPvRmT2_T3_mT4_P12ihipStream_tbEUlT_E_NS1_11comp_targetILNS1_3genE3ELNS1_11target_archE908ELNS1_3gpuE7ELNS1_3repE0EEENS1_30default_config_static_selectorELNS0_4arch9wavefront6targetE1EEEvT1_
		.amdhsa_group_segment_fixed_size 0
		.amdhsa_private_segment_fixed_size 0
		.amdhsa_kernarg_size 56
		.amdhsa_user_sgpr_count 6
		.amdhsa_user_sgpr_private_segment_buffer 1
		.amdhsa_user_sgpr_dispatch_ptr 0
		.amdhsa_user_sgpr_queue_ptr 0
		.amdhsa_user_sgpr_kernarg_segment_ptr 1
		.amdhsa_user_sgpr_dispatch_id 0
		.amdhsa_user_sgpr_flat_scratch_init 0
		.amdhsa_user_sgpr_kernarg_preload_length 0
		.amdhsa_user_sgpr_kernarg_preload_offset 0
		.amdhsa_user_sgpr_private_segment_size 0
		.amdhsa_uses_dynamic_stack 0
		.amdhsa_system_sgpr_private_segment_wavefront_offset 0
		.amdhsa_system_sgpr_workgroup_id_x 1
		.amdhsa_system_sgpr_workgroup_id_y 0
		.amdhsa_system_sgpr_workgroup_id_z 0
		.amdhsa_system_sgpr_workgroup_info 0
		.amdhsa_system_vgpr_workitem_id 0
		.amdhsa_next_free_vgpr 1
		.amdhsa_next_free_sgpr 0
		.amdhsa_accum_offset 4
		.amdhsa_reserve_vcc 0
		.amdhsa_reserve_flat_scratch 0
		.amdhsa_float_round_mode_32 0
		.amdhsa_float_round_mode_16_64 0
		.amdhsa_float_denorm_mode_32 3
		.amdhsa_float_denorm_mode_16_64 3
		.amdhsa_dx10_clamp 1
		.amdhsa_ieee_mode 1
		.amdhsa_fp16_overflow 0
		.amdhsa_tg_split 0
		.amdhsa_exception_fp_ieee_invalid_op 0
		.amdhsa_exception_fp_denorm_src 0
		.amdhsa_exception_fp_ieee_div_zero 0
		.amdhsa_exception_fp_ieee_overflow 0
		.amdhsa_exception_fp_ieee_underflow 0
		.amdhsa_exception_fp_ieee_inexact 0
		.amdhsa_exception_int_div_zero 0
	.end_amdhsa_kernel
	.section	.text._ZN7rocprim17ROCPRIM_400000_NS6detail17trampoline_kernelINS0_14default_configENS1_35adjacent_difference_config_selectorILb0EiEEZNS1_24adjacent_difference_implIS3_Lb0ELb0EPiS7_N6thrust23THRUST_200600_302600_NS4plusIiEEEE10hipError_tPvRmT2_T3_mT4_P12ihipStream_tbEUlT_E_NS1_11comp_targetILNS1_3genE3ELNS1_11target_archE908ELNS1_3gpuE7ELNS1_3repE0EEENS1_30default_config_static_selectorELNS0_4arch9wavefront6targetE1EEEvT1_,"axG",@progbits,_ZN7rocprim17ROCPRIM_400000_NS6detail17trampoline_kernelINS0_14default_configENS1_35adjacent_difference_config_selectorILb0EiEEZNS1_24adjacent_difference_implIS3_Lb0ELb0EPiS7_N6thrust23THRUST_200600_302600_NS4plusIiEEEE10hipError_tPvRmT2_T3_mT4_P12ihipStream_tbEUlT_E_NS1_11comp_targetILNS1_3genE3ELNS1_11target_archE908ELNS1_3gpuE7ELNS1_3repE0EEENS1_30default_config_static_selectorELNS0_4arch9wavefront6targetE1EEEvT1_,comdat
.Lfunc_end131:
	.size	_ZN7rocprim17ROCPRIM_400000_NS6detail17trampoline_kernelINS0_14default_configENS1_35adjacent_difference_config_selectorILb0EiEEZNS1_24adjacent_difference_implIS3_Lb0ELb0EPiS7_N6thrust23THRUST_200600_302600_NS4plusIiEEEE10hipError_tPvRmT2_T3_mT4_P12ihipStream_tbEUlT_E_NS1_11comp_targetILNS1_3genE3ELNS1_11target_archE908ELNS1_3gpuE7ELNS1_3repE0EEENS1_30default_config_static_selectorELNS0_4arch9wavefront6targetE1EEEvT1_, .Lfunc_end131-_ZN7rocprim17ROCPRIM_400000_NS6detail17trampoline_kernelINS0_14default_configENS1_35adjacent_difference_config_selectorILb0EiEEZNS1_24adjacent_difference_implIS3_Lb0ELb0EPiS7_N6thrust23THRUST_200600_302600_NS4plusIiEEEE10hipError_tPvRmT2_T3_mT4_P12ihipStream_tbEUlT_E_NS1_11comp_targetILNS1_3genE3ELNS1_11target_archE908ELNS1_3gpuE7ELNS1_3repE0EEENS1_30default_config_static_selectorELNS0_4arch9wavefront6targetE1EEEvT1_
                                        ; -- End function
	.section	.AMDGPU.csdata,"",@progbits
; Kernel info:
; codeLenInByte = 0
; NumSgprs: 4
; NumVgprs: 0
; NumAgprs: 0
; TotalNumVgprs: 0
; ScratchSize: 0
; MemoryBound: 0
; FloatMode: 240
; IeeeMode: 1
; LDSByteSize: 0 bytes/workgroup (compile time only)
; SGPRBlocks: 0
; VGPRBlocks: 0
; NumSGPRsForWavesPerEU: 4
; NumVGPRsForWavesPerEU: 1
; AccumOffset: 4
; Occupancy: 8
; WaveLimiterHint : 0
; COMPUTE_PGM_RSRC2:SCRATCH_EN: 0
; COMPUTE_PGM_RSRC2:USER_SGPR: 6
; COMPUTE_PGM_RSRC2:TRAP_HANDLER: 0
; COMPUTE_PGM_RSRC2:TGID_X_EN: 1
; COMPUTE_PGM_RSRC2:TGID_Y_EN: 0
; COMPUTE_PGM_RSRC2:TGID_Z_EN: 0
; COMPUTE_PGM_RSRC2:TIDIG_COMP_CNT: 0
; COMPUTE_PGM_RSRC3_GFX90A:ACCUM_OFFSET: 0
; COMPUTE_PGM_RSRC3_GFX90A:TG_SPLIT: 0
	.section	.text._ZN7rocprim17ROCPRIM_400000_NS6detail17trampoline_kernelINS0_14default_configENS1_35adjacent_difference_config_selectorILb0EiEEZNS1_24adjacent_difference_implIS3_Lb0ELb0EPiS7_N6thrust23THRUST_200600_302600_NS4plusIiEEEE10hipError_tPvRmT2_T3_mT4_P12ihipStream_tbEUlT_E_NS1_11comp_targetILNS1_3genE2ELNS1_11target_archE906ELNS1_3gpuE6ELNS1_3repE0EEENS1_30default_config_static_selectorELNS0_4arch9wavefront6targetE1EEEvT1_,"axG",@progbits,_ZN7rocprim17ROCPRIM_400000_NS6detail17trampoline_kernelINS0_14default_configENS1_35adjacent_difference_config_selectorILb0EiEEZNS1_24adjacent_difference_implIS3_Lb0ELb0EPiS7_N6thrust23THRUST_200600_302600_NS4plusIiEEEE10hipError_tPvRmT2_T3_mT4_P12ihipStream_tbEUlT_E_NS1_11comp_targetILNS1_3genE2ELNS1_11target_archE906ELNS1_3gpuE6ELNS1_3repE0EEENS1_30default_config_static_selectorELNS0_4arch9wavefront6targetE1EEEvT1_,comdat
	.protected	_ZN7rocprim17ROCPRIM_400000_NS6detail17trampoline_kernelINS0_14default_configENS1_35adjacent_difference_config_selectorILb0EiEEZNS1_24adjacent_difference_implIS3_Lb0ELb0EPiS7_N6thrust23THRUST_200600_302600_NS4plusIiEEEE10hipError_tPvRmT2_T3_mT4_P12ihipStream_tbEUlT_E_NS1_11comp_targetILNS1_3genE2ELNS1_11target_archE906ELNS1_3gpuE6ELNS1_3repE0EEENS1_30default_config_static_selectorELNS0_4arch9wavefront6targetE1EEEvT1_ ; -- Begin function _ZN7rocprim17ROCPRIM_400000_NS6detail17trampoline_kernelINS0_14default_configENS1_35adjacent_difference_config_selectorILb0EiEEZNS1_24adjacent_difference_implIS3_Lb0ELb0EPiS7_N6thrust23THRUST_200600_302600_NS4plusIiEEEE10hipError_tPvRmT2_T3_mT4_P12ihipStream_tbEUlT_E_NS1_11comp_targetILNS1_3genE2ELNS1_11target_archE906ELNS1_3gpuE6ELNS1_3repE0EEENS1_30default_config_static_selectorELNS0_4arch9wavefront6targetE1EEEvT1_
	.globl	_ZN7rocprim17ROCPRIM_400000_NS6detail17trampoline_kernelINS0_14default_configENS1_35adjacent_difference_config_selectorILb0EiEEZNS1_24adjacent_difference_implIS3_Lb0ELb0EPiS7_N6thrust23THRUST_200600_302600_NS4plusIiEEEE10hipError_tPvRmT2_T3_mT4_P12ihipStream_tbEUlT_E_NS1_11comp_targetILNS1_3genE2ELNS1_11target_archE906ELNS1_3gpuE6ELNS1_3repE0EEENS1_30default_config_static_selectorELNS0_4arch9wavefront6targetE1EEEvT1_
	.p2align	8
	.type	_ZN7rocprim17ROCPRIM_400000_NS6detail17trampoline_kernelINS0_14default_configENS1_35adjacent_difference_config_selectorILb0EiEEZNS1_24adjacent_difference_implIS3_Lb0ELb0EPiS7_N6thrust23THRUST_200600_302600_NS4plusIiEEEE10hipError_tPvRmT2_T3_mT4_P12ihipStream_tbEUlT_E_NS1_11comp_targetILNS1_3genE2ELNS1_11target_archE906ELNS1_3gpuE6ELNS1_3repE0EEENS1_30default_config_static_selectorELNS0_4arch9wavefront6targetE1EEEvT1_,@function
_ZN7rocprim17ROCPRIM_400000_NS6detail17trampoline_kernelINS0_14default_configENS1_35adjacent_difference_config_selectorILb0EiEEZNS1_24adjacent_difference_implIS3_Lb0ELb0EPiS7_N6thrust23THRUST_200600_302600_NS4plusIiEEEE10hipError_tPvRmT2_T3_mT4_P12ihipStream_tbEUlT_E_NS1_11comp_targetILNS1_3genE2ELNS1_11target_archE906ELNS1_3gpuE6ELNS1_3repE0EEENS1_30default_config_static_selectorELNS0_4arch9wavefront6targetE1EEEvT1_: ; @_ZN7rocprim17ROCPRIM_400000_NS6detail17trampoline_kernelINS0_14default_configENS1_35adjacent_difference_config_selectorILb0EiEEZNS1_24adjacent_difference_implIS3_Lb0ELb0EPiS7_N6thrust23THRUST_200600_302600_NS4plusIiEEEE10hipError_tPvRmT2_T3_mT4_P12ihipStream_tbEUlT_E_NS1_11comp_targetILNS1_3genE2ELNS1_11target_archE906ELNS1_3gpuE6ELNS1_3repE0EEENS1_30default_config_static_selectorELNS0_4arch9wavefront6targetE1EEEvT1_
; %bb.0:
	.section	.rodata,"a",@progbits
	.p2align	6, 0x0
	.amdhsa_kernel _ZN7rocprim17ROCPRIM_400000_NS6detail17trampoline_kernelINS0_14default_configENS1_35adjacent_difference_config_selectorILb0EiEEZNS1_24adjacent_difference_implIS3_Lb0ELb0EPiS7_N6thrust23THRUST_200600_302600_NS4plusIiEEEE10hipError_tPvRmT2_T3_mT4_P12ihipStream_tbEUlT_E_NS1_11comp_targetILNS1_3genE2ELNS1_11target_archE906ELNS1_3gpuE6ELNS1_3repE0EEENS1_30default_config_static_selectorELNS0_4arch9wavefront6targetE1EEEvT1_
		.amdhsa_group_segment_fixed_size 0
		.amdhsa_private_segment_fixed_size 0
		.amdhsa_kernarg_size 56
		.amdhsa_user_sgpr_count 6
		.amdhsa_user_sgpr_private_segment_buffer 1
		.amdhsa_user_sgpr_dispatch_ptr 0
		.amdhsa_user_sgpr_queue_ptr 0
		.amdhsa_user_sgpr_kernarg_segment_ptr 1
		.amdhsa_user_sgpr_dispatch_id 0
		.amdhsa_user_sgpr_flat_scratch_init 0
		.amdhsa_user_sgpr_kernarg_preload_length 0
		.amdhsa_user_sgpr_kernarg_preload_offset 0
		.amdhsa_user_sgpr_private_segment_size 0
		.amdhsa_uses_dynamic_stack 0
		.amdhsa_system_sgpr_private_segment_wavefront_offset 0
		.amdhsa_system_sgpr_workgroup_id_x 1
		.amdhsa_system_sgpr_workgroup_id_y 0
		.amdhsa_system_sgpr_workgroup_id_z 0
		.amdhsa_system_sgpr_workgroup_info 0
		.amdhsa_system_vgpr_workitem_id 0
		.amdhsa_next_free_vgpr 1
		.amdhsa_next_free_sgpr 0
		.amdhsa_accum_offset 4
		.amdhsa_reserve_vcc 0
		.amdhsa_reserve_flat_scratch 0
		.amdhsa_float_round_mode_32 0
		.amdhsa_float_round_mode_16_64 0
		.amdhsa_float_denorm_mode_32 3
		.amdhsa_float_denorm_mode_16_64 3
		.amdhsa_dx10_clamp 1
		.amdhsa_ieee_mode 1
		.amdhsa_fp16_overflow 0
		.amdhsa_tg_split 0
		.amdhsa_exception_fp_ieee_invalid_op 0
		.amdhsa_exception_fp_denorm_src 0
		.amdhsa_exception_fp_ieee_div_zero 0
		.amdhsa_exception_fp_ieee_overflow 0
		.amdhsa_exception_fp_ieee_underflow 0
		.amdhsa_exception_fp_ieee_inexact 0
		.amdhsa_exception_int_div_zero 0
	.end_amdhsa_kernel
	.section	.text._ZN7rocprim17ROCPRIM_400000_NS6detail17trampoline_kernelINS0_14default_configENS1_35adjacent_difference_config_selectorILb0EiEEZNS1_24adjacent_difference_implIS3_Lb0ELb0EPiS7_N6thrust23THRUST_200600_302600_NS4plusIiEEEE10hipError_tPvRmT2_T3_mT4_P12ihipStream_tbEUlT_E_NS1_11comp_targetILNS1_3genE2ELNS1_11target_archE906ELNS1_3gpuE6ELNS1_3repE0EEENS1_30default_config_static_selectorELNS0_4arch9wavefront6targetE1EEEvT1_,"axG",@progbits,_ZN7rocprim17ROCPRIM_400000_NS6detail17trampoline_kernelINS0_14default_configENS1_35adjacent_difference_config_selectorILb0EiEEZNS1_24adjacent_difference_implIS3_Lb0ELb0EPiS7_N6thrust23THRUST_200600_302600_NS4plusIiEEEE10hipError_tPvRmT2_T3_mT4_P12ihipStream_tbEUlT_E_NS1_11comp_targetILNS1_3genE2ELNS1_11target_archE906ELNS1_3gpuE6ELNS1_3repE0EEENS1_30default_config_static_selectorELNS0_4arch9wavefront6targetE1EEEvT1_,comdat
.Lfunc_end132:
	.size	_ZN7rocprim17ROCPRIM_400000_NS6detail17trampoline_kernelINS0_14default_configENS1_35adjacent_difference_config_selectorILb0EiEEZNS1_24adjacent_difference_implIS3_Lb0ELb0EPiS7_N6thrust23THRUST_200600_302600_NS4plusIiEEEE10hipError_tPvRmT2_T3_mT4_P12ihipStream_tbEUlT_E_NS1_11comp_targetILNS1_3genE2ELNS1_11target_archE906ELNS1_3gpuE6ELNS1_3repE0EEENS1_30default_config_static_selectorELNS0_4arch9wavefront6targetE1EEEvT1_, .Lfunc_end132-_ZN7rocprim17ROCPRIM_400000_NS6detail17trampoline_kernelINS0_14default_configENS1_35adjacent_difference_config_selectorILb0EiEEZNS1_24adjacent_difference_implIS3_Lb0ELb0EPiS7_N6thrust23THRUST_200600_302600_NS4plusIiEEEE10hipError_tPvRmT2_T3_mT4_P12ihipStream_tbEUlT_E_NS1_11comp_targetILNS1_3genE2ELNS1_11target_archE906ELNS1_3gpuE6ELNS1_3repE0EEENS1_30default_config_static_selectorELNS0_4arch9wavefront6targetE1EEEvT1_
                                        ; -- End function
	.section	.AMDGPU.csdata,"",@progbits
; Kernel info:
; codeLenInByte = 0
; NumSgprs: 4
; NumVgprs: 0
; NumAgprs: 0
; TotalNumVgprs: 0
; ScratchSize: 0
; MemoryBound: 0
; FloatMode: 240
; IeeeMode: 1
; LDSByteSize: 0 bytes/workgroup (compile time only)
; SGPRBlocks: 0
; VGPRBlocks: 0
; NumSGPRsForWavesPerEU: 4
; NumVGPRsForWavesPerEU: 1
; AccumOffset: 4
; Occupancy: 8
; WaveLimiterHint : 0
; COMPUTE_PGM_RSRC2:SCRATCH_EN: 0
; COMPUTE_PGM_RSRC2:USER_SGPR: 6
; COMPUTE_PGM_RSRC2:TRAP_HANDLER: 0
; COMPUTE_PGM_RSRC2:TGID_X_EN: 1
; COMPUTE_PGM_RSRC2:TGID_Y_EN: 0
; COMPUTE_PGM_RSRC2:TGID_Z_EN: 0
; COMPUTE_PGM_RSRC2:TIDIG_COMP_CNT: 0
; COMPUTE_PGM_RSRC3_GFX90A:ACCUM_OFFSET: 0
; COMPUTE_PGM_RSRC3_GFX90A:TG_SPLIT: 0
	.section	.text._ZN7rocprim17ROCPRIM_400000_NS6detail17trampoline_kernelINS0_14default_configENS1_35adjacent_difference_config_selectorILb0EiEEZNS1_24adjacent_difference_implIS3_Lb0ELb0EPiS7_N6thrust23THRUST_200600_302600_NS4plusIiEEEE10hipError_tPvRmT2_T3_mT4_P12ihipStream_tbEUlT_E_NS1_11comp_targetILNS1_3genE9ELNS1_11target_archE1100ELNS1_3gpuE3ELNS1_3repE0EEENS1_30default_config_static_selectorELNS0_4arch9wavefront6targetE1EEEvT1_,"axG",@progbits,_ZN7rocprim17ROCPRIM_400000_NS6detail17trampoline_kernelINS0_14default_configENS1_35adjacent_difference_config_selectorILb0EiEEZNS1_24adjacent_difference_implIS3_Lb0ELb0EPiS7_N6thrust23THRUST_200600_302600_NS4plusIiEEEE10hipError_tPvRmT2_T3_mT4_P12ihipStream_tbEUlT_E_NS1_11comp_targetILNS1_3genE9ELNS1_11target_archE1100ELNS1_3gpuE3ELNS1_3repE0EEENS1_30default_config_static_selectorELNS0_4arch9wavefront6targetE1EEEvT1_,comdat
	.protected	_ZN7rocprim17ROCPRIM_400000_NS6detail17trampoline_kernelINS0_14default_configENS1_35adjacent_difference_config_selectorILb0EiEEZNS1_24adjacent_difference_implIS3_Lb0ELb0EPiS7_N6thrust23THRUST_200600_302600_NS4plusIiEEEE10hipError_tPvRmT2_T3_mT4_P12ihipStream_tbEUlT_E_NS1_11comp_targetILNS1_3genE9ELNS1_11target_archE1100ELNS1_3gpuE3ELNS1_3repE0EEENS1_30default_config_static_selectorELNS0_4arch9wavefront6targetE1EEEvT1_ ; -- Begin function _ZN7rocprim17ROCPRIM_400000_NS6detail17trampoline_kernelINS0_14default_configENS1_35adjacent_difference_config_selectorILb0EiEEZNS1_24adjacent_difference_implIS3_Lb0ELb0EPiS7_N6thrust23THRUST_200600_302600_NS4plusIiEEEE10hipError_tPvRmT2_T3_mT4_P12ihipStream_tbEUlT_E_NS1_11comp_targetILNS1_3genE9ELNS1_11target_archE1100ELNS1_3gpuE3ELNS1_3repE0EEENS1_30default_config_static_selectorELNS0_4arch9wavefront6targetE1EEEvT1_
	.globl	_ZN7rocprim17ROCPRIM_400000_NS6detail17trampoline_kernelINS0_14default_configENS1_35adjacent_difference_config_selectorILb0EiEEZNS1_24adjacent_difference_implIS3_Lb0ELb0EPiS7_N6thrust23THRUST_200600_302600_NS4plusIiEEEE10hipError_tPvRmT2_T3_mT4_P12ihipStream_tbEUlT_E_NS1_11comp_targetILNS1_3genE9ELNS1_11target_archE1100ELNS1_3gpuE3ELNS1_3repE0EEENS1_30default_config_static_selectorELNS0_4arch9wavefront6targetE1EEEvT1_
	.p2align	8
	.type	_ZN7rocprim17ROCPRIM_400000_NS6detail17trampoline_kernelINS0_14default_configENS1_35adjacent_difference_config_selectorILb0EiEEZNS1_24adjacent_difference_implIS3_Lb0ELb0EPiS7_N6thrust23THRUST_200600_302600_NS4plusIiEEEE10hipError_tPvRmT2_T3_mT4_P12ihipStream_tbEUlT_E_NS1_11comp_targetILNS1_3genE9ELNS1_11target_archE1100ELNS1_3gpuE3ELNS1_3repE0EEENS1_30default_config_static_selectorELNS0_4arch9wavefront6targetE1EEEvT1_,@function
_ZN7rocprim17ROCPRIM_400000_NS6detail17trampoline_kernelINS0_14default_configENS1_35adjacent_difference_config_selectorILb0EiEEZNS1_24adjacent_difference_implIS3_Lb0ELb0EPiS7_N6thrust23THRUST_200600_302600_NS4plusIiEEEE10hipError_tPvRmT2_T3_mT4_P12ihipStream_tbEUlT_E_NS1_11comp_targetILNS1_3genE9ELNS1_11target_archE1100ELNS1_3gpuE3ELNS1_3repE0EEENS1_30default_config_static_selectorELNS0_4arch9wavefront6targetE1EEEvT1_: ; @_ZN7rocprim17ROCPRIM_400000_NS6detail17trampoline_kernelINS0_14default_configENS1_35adjacent_difference_config_selectorILb0EiEEZNS1_24adjacent_difference_implIS3_Lb0ELb0EPiS7_N6thrust23THRUST_200600_302600_NS4plusIiEEEE10hipError_tPvRmT2_T3_mT4_P12ihipStream_tbEUlT_E_NS1_11comp_targetILNS1_3genE9ELNS1_11target_archE1100ELNS1_3gpuE3ELNS1_3repE0EEENS1_30default_config_static_selectorELNS0_4arch9wavefront6targetE1EEEvT1_
; %bb.0:
	.section	.rodata,"a",@progbits
	.p2align	6, 0x0
	.amdhsa_kernel _ZN7rocprim17ROCPRIM_400000_NS6detail17trampoline_kernelINS0_14default_configENS1_35adjacent_difference_config_selectorILb0EiEEZNS1_24adjacent_difference_implIS3_Lb0ELb0EPiS7_N6thrust23THRUST_200600_302600_NS4plusIiEEEE10hipError_tPvRmT2_T3_mT4_P12ihipStream_tbEUlT_E_NS1_11comp_targetILNS1_3genE9ELNS1_11target_archE1100ELNS1_3gpuE3ELNS1_3repE0EEENS1_30default_config_static_selectorELNS0_4arch9wavefront6targetE1EEEvT1_
		.amdhsa_group_segment_fixed_size 0
		.amdhsa_private_segment_fixed_size 0
		.amdhsa_kernarg_size 56
		.amdhsa_user_sgpr_count 6
		.amdhsa_user_sgpr_private_segment_buffer 1
		.amdhsa_user_sgpr_dispatch_ptr 0
		.amdhsa_user_sgpr_queue_ptr 0
		.amdhsa_user_sgpr_kernarg_segment_ptr 1
		.amdhsa_user_sgpr_dispatch_id 0
		.amdhsa_user_sgpr_flat_scratch_init 0
		.amdhsa_user_sgpr_kernarg_preload_length 0
		.amdhsa_user_sgpr_kernarg_preload_offset 0
		.amdhsa_user_sgpr_private_segment_size 0
		.amdhsa_uses_dynamic_stack 0
		.amdhsa_system_sgpr_private_segment_wavefront_offset 0
		.amdhsa_system_sgpr_workgroup_id_x 1
		.amdhsa_system_sgpr_workgroup_id_y 0
		.amdhsa_system_sgpr_workgroup_id_z 0
		.amdhsa_system_sgpr_workgroup_info 0
		.amdhsa_system_vgpr_workitem_id 0
		.amdhsa_next_free_vgpr 1
		.amdhsa_next_free_sgpr 0
		.amdhsa_accum_offset 4
		.amdhsa_reserve_vcc 0
		.amdhsa_reserve_flat_scratch 0
		.amdhsa_float_round_mode_32 0
		.amdhsa_float_round_mode_16_64 0
		.amdhsa_float_denorm_mode_32 3
		.amdhsa_float_denorm_mode_16_64 3
		.amdhsa_dx10_clamp 1
		.amdhsa_ieee_mode 1
		.amdhsa_fp16_overflow 0
		.amdhsa_tg_split 0
		.amdhsa_exception_fp_ieee_invalid_op 0
		.amdhsa_exception_fp_denorm_src 0
		.amdhsa_exception_fp_ieee_div_zero 0
		.amdhsa_exception_fp_ieee_overflow 0
		.amdhsa_exception_fp_ieee_underflow 0
		.amdhsa_exception_fp_ieee_inexact 0
		.amdhsa_exception_int_div_zero 0
	.end_amdhsa_kernel
	.section	.text._ZN7rocprim17ROCPRIM_400000_NS6detail17trampoline_kernelINS0_14default_configENS1_35adjacent_difference_config_selectorILb0EiEEZNS1_24adjacent_difference_implIS3_Lb0ELb0EPiS7_N6thrust23THRUST_200600_302600_NS4plusIiEEEE10hipError_tPvRmT2_T3_mT4_P12ihipStream_tbEUlT_E_NS1_11comp_targetILNS1_3genE9ELNS1_11target_archE1100ELNS1_3gpuE3ELNS1_3repE0EEENS1_30default_config_static_selectorELNS0_4arch9wavefront6targetE1EEEvT1_,"axG",@progbits,_ZN7rocprim17ROCPRIM_400000_NS6detail17trampoline_kernelINS0_14default_configENS1_35adjacent_difference_config_selectorILb0EiEEZNS1_24adjacent_difference_implIS3_Lb0ELb0EPiS7_N6thrust23THRUST_200600_302600_NS4plusIiEEEE10hipError_tPvRmT2_T3_mT4_P12ihipStream_tbEUlT_E_NS1_11comp_targetILNS1_3genE9ELNS1_11target_archE1100ELNS1_3gpuE3ELNS1_3repE0EEENS1_30default_config_static_selectorELNS0_4arch9wavefront6targetE1EEEvT1_,comdat
.Lfunc_end133:
	.size	_ZN7rocprim17ROCPRIM_400000_NS6detail17trampoline_kernelINS0_14default_configENS1_35adjacent_difference_config_selectorILb0EiEEZNS1_24adjacent_difference_implIS3_Lb0ELb0EPiS7_N6thrust23THRUST_200600_302600_NS4plusIiEEEE10hipError_tPvRmT2_T3_mT4_P12ihipStream_tbEUlT_E_NS1_11comp_targetILNS1_3genE9ELNS1_11target_archE1100ELNS1_3gpuE3ELNS1_3repE0EEENS1_30default_config_static_selectorELNS0_4arch9wavefront6targetE1EEEvT1_, .Lfunc_end133-_ZN7rocprim17ROCPRIM_400000_NS6detail17trampoline_kernelINS0_14default_configENS1_35adjacent_difference_config_selectorILb0EiEEZNS1_24adjacent_difference_implIS3_Lb0ELb0EPiS7_N6thrust23THRUST_200600_302600_NS4plusIiEEEE10hipError_tPvRmT2_T3_mT4_P12ihipStream_tbEUlT_E_NS1_11comp_targetILNS1_3genE9ELNS1_11target_archE1100ELNS1_3gpuE3ELNS1_3repE0EEENS1_30default_config_static_selectorELNS0_4arch9wavefront6targetE1EEEvT1_
                                        ; -- End function
	.section	.AMDGPU.csdata,"",@progbits
; Kernel info:
; codeLenInByte = 0
; NumSgprs: 4
; NumVgprs: 0
; NumAgprs: 0
; TotalNumVgprs: 0
; ScratchSize: 0
; MemoryBound: 0
; FloatMode: 240
; IeeeMode: 1
; LDSByteSize: 0 bytes/workgroup (compile time only)
; SGPRBlocks: 0
; VGPRBlocks: 0
; NumSGPRsForWavesPerEU: 4
; NumVGPRsForWavesPerEU: 1
; AccumOffset: 4
; Occupancy: 8
; WaveLimiterHint : 0
; COMPUTE_PGM_RSRC2:SCRATCH_EN: 0
; COMPUTE_PGM_RSRC2:USER_SGPR: 6
; COMPUTE_PGM_RSRC2:TRAP_HANDLER: 0
; COMPUTE_PGM_RSRC2:TGID_X_EN: 1
; COMPUTE_PGM_RSRC2:TGID_Y_EN: 0
; COMPUTE_PGM_RSRC2:TGID_Z_EN: 0
; COMPUTE_PGM_RSRC2:TIDIG_COMP_CNT: 0
; COMPUTE_PGM_RSRC3_GFX90A:ACCUM_OFFSET: 0
; COMPUTE_PGM_RSRC3_GFX90A:TG_SPLIT: 0
	.section	.text._ZN7rocprim17ROCPRIM_400000_NS6detail17trampoline_kernelINS0_14default_configENS1_35adjacent_difference_config_selectorILb0EiEEZNS1_24adjacent_difference_implIS3_Lb0ELb0EPiS7_N6thrust23THRUST_200600_302600_NS4plusIiEEEE10hipError_tPvRmT2_T3_mT4_P12ihipStream_tbEUlT_E_NS1_11comp_targetILNS1_3genE8ELNS1_11target_archE1030ELNS1_3gpuE2ELNS1_3repE0EEENS1_30default_config_static_selectorELNS0_4arch9wavefront6targetE1EEEvT1_,"axG",@progbits,_ZN7rocprim17ROCPRIM_400000_NS6detail17trampoline_kernelINS0_14default_configENS1_35adjacent_difference_config_selectorILb0EiEEZNS1_24adjacent_difference_implIS3_Lb0ELb0EPiS7_N6thrust23THRUST_200600_302600_NS4plusIiEEEE10hipError_tPvRmT2_T3_mT4_P12ihipStream_tbEUlT_E_NS1_11comp_targetILNS1_3genE8ELNS1_11target_archE1030ELNS1_3gpuE2ELNS1_3repE0EEENS1_30default_config_static_selectorELNS0_4arch9wavefront6targetE1EEEvT1_,comdat
	.protected	_ZN7rocprim17ROCPRIM_400000_NS6detail17trampoline_kernelINS0_14default_configENS1_35adjacent_difference_config_selectorILb0EiEEZNS1_24adjacent_difference_implIS3_Lb0ELb0EPiS7_N6thrust23THRUST_200600_302600_NS4plusIiEEEE10hipError_tPvRmT2_T3_mT4_P12ihipStream_tbEUlT_E_NS1_11comp_targetILNS1_3genE8ELNS1_11target_archE1030ELNS1_3gpuE2ELNS1_3repE0EEENS1_30default_config_static_selectorELNS0_4arch9wavefront6targetE1EEEvT1_ ; -- Begin function _ZN7rocprim17ROCPRIM_400000_NS6detail17trampoline_kernelINS0_14default_configENS1_35adjacent_difference_config_selectorILb0EiEEZNS1_24adjacent_difference_implIS3_Lb0ELb0EPiS7_N6thrust23THRUST_200600_302600_NS4plusIiEEEE10hipError_tPvRmT2_T3_mT4_P12ihipStream_tbEUlT_E_NS1_11comp_targetILNS1_3genE8ELNS1_11target_archE1030ELNS1_3gpuE2ELNS1_3repE0EEENS1_30default_config_static_selectorELNS0_4arch9wavefront6targetE1EEEvT1_
	.globl	_ZN7rocprim17ROCPRIM_400000_NS6detail17trampoline_kernelINS0_14default_configENS1_35adjacent_difference_config_selectorILb0EiEEZNS1_24adjacent_difference_implIS3_Lb0ELb0EPiS7_N6thrust23THRUST_200600_302600_NS4plusIiEEEE10hipError_tPvRmT2_T3_mT4_P12ihipStream_tbEUlT_E_NS1_11comp_targetILNS1_3genE8ELNS1_11target_archE1030ELNS1_3gpuE2ELNS1_3repE0EEENS1_30default_config_static_selectorELNS0_4arch9wavefront6targetE1EEEvT1_
	.p2align	8
	.type	_ZN7rocprim17ROCPRIM_400000_NS6detail17trampoline_kernelINS0_14default_configENS1_35adjacent_difference_config_selectorILb0EiEEZNS1_24adjacent_difference_implIS3_Lb0ELb0EPiS7_N6thrust23THRUST_200600_302600_NS4plusIiEEEE10hipError_tPvRmT2_T3_mT4_P12ihipStream_tbEUlT_E_NS1_11comp_targetILNS1_3genE8ELNS1_11target_archE1030ELNS1_3gpuE2ELNS1_3repE0EEENS1_30default_config_static_selectorELNS0_4arch9wavefront6targetE1EEEvT1_,@function
_ZN7rocprim17ROCPRIM_400000_NS6detail17trampoline_kernelINS0_14default_configENS1_35adjacent_difference_config_selectorILb0EiEEZNS1_24adjacent_difference_implIS3_Lb0ELb0EPiS7_N6thrust23THRUST_200600_302600_NS4plusIiEEEE10hipError_tPvRmT2_T3_mT4_P12ihipStream_tbEUlT_E_NS1_11comp_targetILNS1_3genE8ELNS1_11target_archE1030ELNS1_3gpuE2ELNS1_3repE0EEENS1_30default_config_static_selectorELNS0_4arch9wavefront6targetE1EEEvT1_: ; @_ZN7rocprim17ROCPRIM_400000_NS6detail17trampoline_kernelINS0_14default_configENS1_35adjacent_difference_config_selectorILb0EiEEZNS1_24adjacent_difference_implIS3_Lb0ELb0EPiS7_N6thrust23THRUST_200600_302600_NS4plusIiEEEE10hipError_tPvRmT2_T3_mT4_P12ihipStream_tbEUlT_E_NS1_11comp_targetILNS1_3genE8ELNS1_11target_archE1030ELNS1_3gpuE2ELNS1_3repE0EEENS1_30default_config_static_selectorELNS0_4arch9wavefront6targetE1EEEvT1_
; %bb.0:
	.section	.rodata,"a",@progbits
	.p2align	6, 0x0
	.amdhsa_kernel _ZN7rocprim17ROCPRIM_400000_NS6detail17trampoline_kernelINS0_14default_configENS1_35adjacent_difference_config_selectorILb0EiEEZNS1_24adjacent_difference_implIS3_Lb0ELb0EPiS7_N6thrust23THRUST_200600_302600_NS4plusIiEEEE10hipError_tPvRmT2_T3_mT4_P12ihipStream_tbEUlT_E_NS1_11comp_targetILNS1_3genE8ELNS1_11target_archE1030ELNS1_3gpuE2ELNS1_3repE0EEENS1_30default_config_static_selectorELNS0_4arch9wavefront6targetE1EEEvT1_
		.amdhsa_group_segment_fixed_size 0
		.amdhsa_private_segment_fixed_size 0
		.amdhsa_kernarg_size 56
		.amdhsa_user_sgpr_count 6
		.amdhsa_user_sgpr_private_segment_buffer 1
		.amdhsa_user_sgpr_dispatch_ptr 0
		.amdhsa_user_sgpr_queue_ptr 0
		.amdhsa_user_sgpr_kernarg_segment_ptr 1
		.amdhsa_user_sgpr_dispatch_id 0
		.amdhsa_user_sgpr_flat_scratch_init 0
		.amdhsa_user_sgpr_kernarg_preload_length 0
		.amdhsa_user_sgpr_kernarg_preload_offset 0
		.amdhsa_user_sgpr_private_segment_size 0
		.amdhsa_uses_dynamic_stack 0
		.amdhsa_system_sgpr_private_segment_wavefront_offset 0
		.amdhsa_system_sgpr_workgroup_id_x 1
		.amdhsa_system_sgpr_workgroup_id_y 0
		.amdhsa_system_sgpr_workgroup_id_z 0
		.amdhsa_system_sgpr_workgroup_info 0
		.amdhsa_system_vgpr_workitem_id 0
		.amdhsa_next_free_vgpr 1
		.amdhsa_next_free_sgpr 0
		.amdhsa_accum_offset 4
		.amdhsa_reserve_vcc 0
		.amdhsa_reserve_flat_scratch 0
		.amdhsa_float_round_mode_32 0
		.amdhsa_float_round_mode_16_64 0
		.amdhsa_float_denorm_mode_32 3
		.amdhsa_float_denorm_mode_16_64 3
		.amdhsa_dx10_clamp 1
		.amdhsa_ieee_mode 1
		.amdhsa_fp16_overflow 0
		.amdhsa_tg_split 0
		.amdhsa_exception_fp_ieee_invalid_op 0
		.amdhsa_exception_fp_denorm_src 0
		.amdhsa_exception_fp_ieee_div_zero 0
		.amdhsa_exception_fp_ieee_overflow 0
		.amdhsa_exception_fp_ieee_underflow 0
		.amdhsa_exception_fp_ieee_inexact 0
		.amdhsa_exception_int_div_zero 0
	.end_amdhsa_kernel
	.section	.text._ZN7rocprim17ROCPRIM_400000_NS6detail17trampoline_kernelINS0_14default_configENS1_35adjacent_difference_config_selectorILb0EiEEZNS1_24adjacent_difference_implIS3_Lb0ELb0EPiS7_N6thrust23THRUST_200600_302600_NS4plusIiEEEE10hipError_tPvRmT2_T3_mT4_P12ihipStream_tbEUlT_E_NS1_11comp_targetILNS1_3genE8ELNS1_11target_archE1030ELNS1_3gpuE2ELNS1_3repE0EEENS1_30default_config_static_selectorELNS0_4arch9wavefront6targetE1EEEvT1_,"axG",@progbits,_ZN7rocprim17ROCPRIM_400000_NS6detail17trampoline_kernelINS0_14default_configENS1_35adjacent_difference_config_selectorILb0EiEEZNS1_24adjacent_difference_implIS3_Lb0ELb0EPiS7_N6thrust23THRUST_200600_302600_NS4plusIiEEEE10hipError_tPvRmT2_T3_mT4_P12ihipStream_tbEUlT_E_NS1_11comp_targetILNS1_3genE8ELNS1_11target_archE1030ELNS1_3gpuE2ELNS1_3repE0EEENS1_30default_config_static_selectorELNS0_4arch9wavefront6targetE1EEEvT1_,comdat
.Lfunc_end134:
	.size	_ZN7rocprim17ROCPRIM_400000_NS6detail17trampoline_kernelINS0_14default_configENS1_35adjacent_difference_config_selectorILb0EiEEZNS1_24adjacent_difference_implIS3_Lb0ELb0EPiS7_N6thrust23THRUST_200600_302600_NS4plusIiEEEE10hipError_tPvRmT2_T3_mT4_P12ihipStream_tbEUlT_E_NS1_11comp_targetILNS1_3genE8ELNS1_11target_archE1030ELNS1_3gpuE2ELNS1_3repE0EEENS1_30default_config_static_selectorELNS0_4arch9wavefront6targetE1EEEvT1_, .Lfunc_end134-_ZN7rocprim17ROCPRIM_400000_NS6detail17trampoline_kernelINS0_14default_configENS1_35adjacent_difference_config_selectorILb0EiEEZNS1_24adjacent_difference_implIS3_Lb0ELb0EPiS7_N6thrust23THRUST_200600_302600_NS4plusIiEEEE10hipError_tPvRmT2_T3_mT4_P12ihipStream_tbEUlT_E_NS1_11comp_targetILNS1_3genE8ELNS1_11target_archE1030ELNS1_3gpuE2ELNS1_3repE0EEENS1_30default_config_static_selectorELNS0_4arch9wavefront6targetE1EEEvT1_
                                        ; -- End function
	.section	.AMDGPU.csdata,"",@progbits
; Kernel info:
; codeLenInByte = 0
; NumSgprs: 4
; NumVgprs: 0
; NumAgprs: 0
; TotalNumVgprs: 0
; ScratchSize: 0
; MemoryBound: 0
; FloatMode: 240
; IeeeMode: 1
; LDSByteSize: 0 bytes/workgroup (compile time only)
; SGPRBlocks: 0
; VGPRBlocks: 0
; NumSGPRsForWavesPerEU: 4
; NumVGPRsForWavesPerEU: 1
; AccumOffset: 4
; Occupancy: 8
; WaveLimiterHint : 0
; COMPUTE_PGM_RSRC2:SCRATCH_EN: 0
; COMPUTE_PGM_RSRC2:USER_SGPR: 6
; COMPUTE_PGM_RSRC2:TRAP_HANDLER: 0
; COMPUTE_PGM_RSRC2:TGID_X_EN: 1
; COMPUTE_PGM_RSRC2:TGID_Y_EN: 0
; COMPUTE_PGM_RSRC2:TGID_Z_EN: 0
; COMPUTE_PGM_RSRC2:TIDIG_COMP_CNT: 0
; COMPUTE_PGM_RSRC3_GFX90A:ACCUM_OFFSET: 0
; COMPUTE_PGM_RSRC3_GFX90A:TG_SPLIT: 0
	.section	.text._ZN7rocprim17ROCPRIM_400000_NS6detail17trampoline_kernelINS0_14default_configENS1_25transform_config_selectorIiLb0EEEZNS1_14transform_implILb0ES3_S5_NS0_18transform_iteratorINS0_17counting_iteratorImlEEZNS1_24adjacent_difference_implIS3_Lb1ELb0EPiSB_N6thrust23THRUST_200600_302600_NS4plusIiEEEE10hipError_tPvRmT2_T3_mT4_P12ihipStream_tbEUlmE_iEESB_NS0_8identityIvEEEESG_SJ_SK_mSL_SN_bEUlT_E_NS1_11comp_targetILNS1_3genE0ELNS1_11target_archE4294967295ELNS1_3gpuE0ELNS1_3repE0EEENS1_30default_config_static_selectorELNS0_4arch9wavefront6targetE1EEEvT1_,"axG",@progbits,_ZN7rocprim17ROCPRIM_400000_NS6detail17trampoline_kernelINS0_14default_configENS1_25transform_config_selectorIiLb0EEEZNS1_14transform_implILb0ES3_S5_NS0_18transform_iteratorINS0_17counting_iteratorImlEEZNS1_24adjacent_difference_implIS3_Lb1ELb0EPiSB_N6thrust23THRUST_200600_302600_NS4plusIiEEEE10hipError_tPvRmT2_T3_mT4_P12ihipStream_tbEUlmE_iEESB_NS0_8identityIvEEEESG_SJ_SK_mSL_SN_bEUlT_E_NS1_11comp_targetILNS1_3genE0ELNS1_11target_archE4294967295ELNS1_3gpuE0ELNS1_3repE0EEENS1_30default_config_static_selectorELNS0_4arch9wavefront6targetE1EEEvT1_,comdat
	.protected	_ZN7rocprim17ROCPRIM_400000_NS6detail17trampoline_kernelINS0_14default_configENS1_25transform_config_selectorIiLb0EEEZNS1_14transform_implILb0ES3_S5_NS0_18transform_iteratorINS0_17counting_iteratorImlEEZNS1_24adjacent_difference_implIS3_Lb1ELb0EPiSB_N6thrust23THRUST_200600_302600_NS4plusIiEEEE10hipError_tPvRmT2_T3_mT4_P12ihipStream_tbEUlmE_iEESB_NS0_8identityIvEEEESG_SJ_SK_mSL_SN_bEUlT_E_NS1_11comp_targetILNS1_3genE0ELNS1_11target_archE4294967295ELNS1_3gpuE0ELNS1_3repE0EEENS1_30default_config_static_selectorELNS0_4arch9wavefront6targetE1EEEvT1_ ; -- Begin function _ZN7rocprim17ROCPRIM_400000_NS6detail17trampoline_kernelINS0_14default_configENS1_25transform_config_selectorIiLb0EEEZNS1_14transform_implILb0ES3_S5_NS0_18transform_iteratorINS0_17counting_iteratorImlEEZNS1_24adjacent_difference_implIS3_Lb1ELb0EPiSB_N6thrust23THRUST_200600_302600_NS4plusIiEEEE10hipError_tPvRmT2_T3_mT4_P12ihipStream_tbEUlmE_iEESB_NS0_8identityIvEEEESG_SJ_SK_mSL_SN_bEUlT_E_NS1_11comp_targetILNS1_3genE0ELNS1_11target_archE4294967295ELNS1_3gpuE0ELNS1_3repE0EEENS1_30default_config_static_selectorELNS0_4arch9wavefront6targetE1EEEvT1_
	.globl	_ZN7rocprim17ROCPRIM_400000_NS6detail17trampoline_kernelINS0_14default_configENS1_25transform_config_selectorIiLb0EEEZNS1_14transform_implILb0ES3_S5_NS0_18transform_iteratorINS0_17counting_iteratorImlEEZNS1_24adjacent_difference_implIS3_Lb1ELb0EPiSB_N6thrust23THRUST_200600_302600_NS4plusIiEEEE10hipError_tPvRmT2_T3_mT4_P12ihipStream_tbEUlmE_iEESB_NS0_8identityIvEEEESG_SJ_SK_mSL_SN_bEUlT_E_NS1_11comp_targetILNS1_3genE0ELNS1_11target_archE4294967295ELNS1_3gpuE0ELNS1_3repE0EEENS1_30default_config_static_selectorELNS0_4arch9wavefront6targetE1EEEvT1_
	.p2align	8
	.type	_ZN7rocprim17ROCPRIM_400000_NS6detail17trampoline_kernelINS0_14default_configENS1_25transform_config_selectorIiLb0EEEZNS1_14transform_implILb0ES3_S5_NS0_18transform_iteratorINS0_17counting_iteratorImlEEZNS1_24adjacent_difference_implIS3_Lb1ELb0EPiSB_N6thrust23THRUST_200600_302600_NS4plusIiEEEE10hipError_tPvRmT2_T3_mT4_P12ihipStream_tbEUlmE_iEESB_NS0_8identityIvEEEESG_SJ_SK_mSL_SN_bEUlT_E_NS1_11comp_targetILNS1_3genE0ELNS1_11target_archE4294967295ELNS1_3gpuE0ELNS1_3repE0EEENS1_30default_config_static_selectorELNS0_4arch9wavefront6targetE1EEEvT1_,@function
_ZN7rocprim17ROCPRIM_400000_NS6detail17trampoline_kernelINS0_14default_configENS1_25transform_config_selectorIiLb0EEEZNS1_14transform_implILb0ES3_S5_NS0_18transform_iteratorINS0_17counting_iteratorImlEEZNS1_24adjacent_difference_implIS3_Lb1ELb0EPiSB_N6thrust23THRUST_200600_302600_NS4plusIiEEEE10hipError_tPvRmT2_T3_mT4_P12ihipStream_tbEUlmE_iEESB_NS0_8identityIvEEEESG_SJ_SK_mSL_SN_bEUlT_E_NS1_11comp_targetILNS1_3genE0ELNS1_11target_archE4294967295ELNS1_3gpuE0ELNS1_3repE0EEENS1_30default_config_static_selectorELNS0_4arch9wavefront6targetE1EEEvT1_: ; @_ZN7rocprim17ROCPRIM_400000_NS6detail17trampoline_kernelINS0_14default_configENS1_25transform_config_selectorIiLb0EEEZNS1_14transform_implILb0ES3_S5_NS0_18transform_iteratorINS0_17counting_iteratorImlEEZNS1_24adjacent_difference_implIS3_Lb1ELb0EPiSB_N6thrust23THRUST_200600_302600_NS4plusIiEEEE10hipError_tPvRmT2_T3_mT4_P12ihipStream_tbEUlmE_iEESB_NS0_8identityIvEEEESG_SJ_SK_mSL_SN_bEUlT_E_NS1_11comp_targetILNS1_3genE0ELNS1_11target_archE4294967295ELNS1_3gpuE0ELNS1_3repE0EEENS1_30default_config_static_selectorELNS0_4arch9wavefront6targetE1EEEvT1_
; %bb.0:
	.section	.rodata,"a",@progbits
	.p2align	6, 0x0
	.amdhsa_kernel _ZN7rocprim17ROCPRIM_400000_NS6detail17trampoline_kernelINS0_14default_configENS1_25transform_config_selectorIiLb0EEEZNS1_14transform_implILb0ES3_S5_NS0_18transform_iteratorINS0_17counting_iteratorImlEEZNS1_24adjacent_difference_implIS3_Lb1ELb0EPiSB_N6thrust23THRUST_200600_302600_NS4plusIiEEEE10hipError_tPvRmT2_T3_mT4_P12ihipStream_tbEUlmE_iEESB_NS0_8identityIvEEEESG_SJ_SK_mSL_SN_bEUlT_E_NS1_11comp_targetILNS1_3genE0ELNS1_11target_archE4294967295ELNS1_3gpuE0ELNS1_3repE0EEENS1_30default_config_static_selectorELNS0_4arch9wavefront6targetE1EEEvT1_
		.amdhsa_group_segment_fixed_size 0
		.amdhsa_private_segment_fixed_size 0
		.amdhsa_kernarg_size 56
		.amdhsa_user_sgpr_count 6
		.amdhsa_user_sgpr_private_segment_buffer 1
		.amdhsa_user_sgpr_dispatch_ptr 0
		.amdhsa_user_sgpr_queue_ptr 0
		.amdhsa_user_sgpr_kernarg_segment_ptr 1
		.amdhsa_user_sgpr_dispatch_id 0
		.amdhsa_user_sgpr_flat_scratch_init 0
		.amdhsa_user_sgpr_kernarg_preload_length 0
		.amdhsa_user_sgpr_kernarg_preload_offset 0
		.amdhsa_user_sgpr_private_segment_size 0
		.amdhsa_uses_dynamic_stack 0
		.amdhsa_system_sgpr_private_segment_wavefront_offset 0
		.amdhsa_system_sgpr_workgroup_id_x 1
		.amdhsa_system_sgpr_workgroup_id_y 0
		.amdhsa_system_sgpr_workgroup_id_z 0
		.amdhsa_system_sgpr_workgroup_info 0
		.amdhsa_system_vgpr_workitem_id 0
		.amdhsa_next_free_vgpr 1
		.amdhsa_next_free_sgpr 0
		.amdhsa_accum_offset 4
		.amdhsa_reserve_vcc 0
		.amdhsa_reserve_flat_scratch 0
		.amdhsa_float_round_mode_32 0
		.amdhsa_float_round_mode_16_64 0
		.amdhsa_float_denorm_mode_32 3
		.amdhsa_float_denorm_mode_16_64 3
		.amdhsa_dx10_clamp 1
		.amdhsa_ieee_mode 1
		.amdhsa_fp16_overflow 0
		.amdhsa_tg_split 0
		.amdhsa_exception_fp_ieee_invalid_op 0
		.amdhsa_exception_fp_denorm_src 0
		.amdhsa_exception_fp_ieee_div_zero 0
		.amdhsa_exception_fp_ieee_overflow 0
		.amdhsa_exception_fp_ieee_underflow 0
		.amdhsa_exception_fp_ieee_inexact 0
		.amdhsa_exception_int_div_zero 0
	.end_amdhsa_kernel
	.section	.text._ZN7rocprim17ROCPRIM_400000_NS6detail17trampoline_kernelINS0_14default_configENS1_25transform_config_selectorIiLb0EEEZNS1_14transform_implILb0ES3_S5_NS0_18transform_iteratorINS0_17counting_iteratorImlEEZNS1_24adjacent_difference_implIS3_Lb1ELb0EPiSB_N6thrust23THRUST_200600_302600_NS4plusIiEEEE10hipError_tPvRmT2_T3_mT4_P12ihipStream_tbEUlmE_iEESB_NS0_8identityIvEEEESG_SJ_SK_mSL_SN_bEUlT_E_NS1_11comp_targetILNS1_3genE0ELNS1_11target_archE4294967295ELNS1_3gpuE0ELNS1_3repE0EEENS1_30default_config_static_selectorELNS0_4arch9wavefront6targetE1EEEvT1_,"axG",@progbits,_ZN7rocprim17ROCPRIM_400000_NS6detail17trampoline_kernelINS0_14default_configENS1_25transform_config_selectorIiLb0EEEZNS1_14transform_implILb0ES3_S5_NS0_18transform_iteratorINS0_17counting_iteratorImlEEZNS1_24adjacent_difference_implIS3_Lb1ELb0EPiSB_N6thrust23THRUST_200600_302600_NS4plusIiEEEE10hipError_tPvRmT2_T3_mT4_P12ihipStream_tbEUlmE_iEESB_NS0_8identityIvEEEESG_SJ_SK_mSL_SN_bEUlT_E_NS1_11comp_targetILNS1_3genE0ELNS1_11target_archE4294967295ELNS1_3gpuE0ELNS1_3repE0EEENS1_30default_config_static_selectorELNS0_4arch9wavefront6targetE1EEEvT1_,comdat
.Lfunc_end135:
	.size	_ZN7rocprim17ROCPRIM_400000_NS6detail17trampoline_kernelINS0_14default_configENS1_25transform_config_selectorIiLb0EEEZNS1_14transform_implILb0ES3_S5_NS0_18transform_iteratorINS0_17counting_iteratorImlEEZNS1_24adjacent_difference_implIS3_Lb1ELb0EPiSB_N6thrust23THRUST_200600_302600_NS4plusIiEEEE10hipError_tPvRmT2_T3_mT4_P12ihipStream_tbEUlmE_iEESB_NS0_8identityIvEEEESG_SJ_SK_mSL_SN_bEUlT_E_NS1_11comp_targetILNS1_3genE0ELNS1_11target_archE4294967295ELNS1_3gpuE0ELNS1_3repE0EEENS1_30default_config_static_selectorELNS0_4arch9wavefront6targetE1EEEvT1_, .Lfunc_end135-_ZN7rocprim17ROCPRIM_400000_NS6detail17trampoline_kernelINS0_14default_configENS1_25transform_config_selectorIiLb0EEEZNS1_14transform_implILb0ES3_S5_NS0_18transform_iteratorINS0_17counting_iteratorImlEEZNS1_24adjacent_difference_implIS3_Lb1ELb0EPiSB_N6thrust23THRUST_200600_302600_NS4plusIiEEEE10hipError_tPvRmT2_T3_mT4_P12ihipStream_tbEUlmE_iEESB_NS0_8identityIvEEEESG_SJ_SK_mSL_SN_bEUlT_E_NS1_11comp_targetILNS1_3genE0ELNS1_11target_archE4294967295ELNS1_3gpuE0ELNS1_3repE0EEENS1_30default_config_static_selectorELNS0_4arch9wavefront6targetE1EEEvT1_
                                        ; -- End function
	.section	.AMDGPU.csdata,"",@progbits
; Kernel info:
; codeLenInByte = 0
; NumSgprs: 4
; NumVgprs: 0
; NumAgprs: 0
; TotalNumVgprs: 0
; ScratchSize: 0
; MemoryBound: 0
; FloatMode: 240
; IeeeMode: 1
; LDSByteSize: 0 bytes/workgroup (compile time only)
; SGPRBlocks: 0
; VGPRBlocks: 0
; NumSGPRsForWavesPerEU: 4
; NumVGPRsForWavesPerEU: 1
; AccumOffset: 4
; Occupancy: 8
; WaveLimiterHint : 0
; COMPUTE_PGM_RSRC2:SCRATCH_EN: 0
; COMPUTE_PGM_RSRC2:USER_SGPR: 6
; COMPUTE_PGM_RSRC2:TRAP_HANDLER: 0
; COMPUTE_PGM_RSRC2:TGID_X_EN: 1
; COMPUTE_PGM_RSRC2:TGID_Y_EN: 0
; COMPUTE_PGM_RSRC2:TGID_Z_EN: 0
; COMPUTE_PGM_RSRC2:TIDIG_COMP_CNT: 0
; COMPUTE_PGM_RSRC3_GFX90A:ACCUM_OFFSET: 0
; COMPUTE_PGM_RSRC3_GFX90A:TG_SPLIT: 0
	.section	.text._ZN7rocprim17ROCPRIM_400000_NS6detail17trampoline_kernelINS0_14default_configENS1_25transform_config_selectorIiLb0EEEZNS1_14transform_implILb0ES3_S5_NS0_18transform_iteratorINS0_17counting_iteratorImlEEZNS1_24adjacent_difference_implIS3_Lb1ELb0EPiSB_N6thrust23THRUST_200600_302600_NS4plusIiEEEE10hipError_tPvRmT2_T3_mT4_P12ihipStream_tbEUlmE_iEESB_NS0_8identityIvEEEESG_SJ_SK_mSL_SN_bEUlT_E_NS1_11comp_targetILNS1_3genE5ELNS1_11target_archE942ELNS1_3gpuE9ELNS1_3repE0EEENS1_30default_config_static_selectorELNS0_4arch9wavefront6targetE1EEEvT1_,"axG",@progbits,_ZN7rocprim17ROCPRIM_400000_NS6detail17trampoline_kernelINS0_14default_configENS1_25transform_config_selectorIiLb0EEEZNS1_14transform_implILb0ES3_S5_NS0_18transform_iteratorINS0_17counting_iteratorImlEEZNS1_24adjacent_difference_implIS3_Lb1ELb0EPiSB_N6thrust23THRUST_200600_302600_NS4plusIiEEEE10hipError_tPvRmT2_T3_mT4_P12ihipStream_tbEUlmE_iEESB_NS0_8identityIvEEEESG_SJ_SK_mSL_SN_bEUlT_E_NS1_11comp_targetILNS1_3genE5ELNS1_11target_archE942ELNS1_3gpuE9ELNS1_3repE0EEENS1_30default_config_static_selectorELNS0_4arch9wavefront6targetE1EEEvT1_,comdat
	.protected	_ZN7rocprim17ROCPRIM_400000_NS6detail17trampoline_kernelINS0_14default_configENS1_25transform_config_selectorIiLb0EEEZNS1_14transform_implILb0ES3_S5_NS0_18transform_iteratorINS0_17counting_iteratorImlEEZNS1_24adjacent_difference_implIS3_Lb1ELb0EPiSB_N6thrust23THRUST_200600_302600_NS4plusIiEEEE10hipError_tPvRmT2_T3_mT4_P12ihipStream_tbEUlmE_iEESB_NS0_8identityIvEEEESG_SJ_SK_mSL_SN_bEUlT_E_NS1_11comp_targetILNS1_3genE5ELNS1_11target_archE942ELNS1_3gpuE9ELNS1_3repE0EEENS1_30default_config_static_selectorELNS0_4arch9wavefront6targetE1EEEvT1_ ; -- Begin function _ZN7rocprim17ROCPRIM_400000_NS6detail17trampoline_kernelINS0_14default_configENS1_25transform_config_selectorIiLb0EEEZNS1_14transform_implILb0ES3_S5_NS0_18transform_iteratorINS0_17counting_iteratorImlEEZNS1_24adjacent_difference_implIS3_Lb1ELb0EPiSB_N6thrust23THRUST_200600_302600_NS4plusIiEEEE10hipError_tPvRmT2_T3_mT4_P12ihipStream_tbEUlmE_iEESB_NS0_8identityIvEEEESG_SJ_SK_mSL_SN_bEUlT_E_NS1_11comp_targetILNS1_3genE5ELNS1_11target_archE942ELNS1_3gpuE9ELNS1_3repE0EEENS1_30default_config_static_selectorELNS0_4arch9wavefront6targetE1EEEvT1_
	.globl	_ZN7rocprim17ROCPRIM_400000_NS6detail17trampoline_kernelINS0_14default_configENS1_25transform_config_selectorIiLb0EEEZNS1_14transform_implILb0ES3_S5_NS0_18transform_iteratorINS0_17counting_iteratorImlEEZNS1_24adjacent_difference_implIS3_Lb1ELb0EPiSB_N6thrust23THRUST_200600_302600_NS4plusIiEEEE10hipError_tPvRmT2_T3_mT4_P12ihipStream_tbEUlmE_iEESB_NS0_8identityIvEEEESG_SJ_SK_mSL_SN_bEUlT_E_NS1_11comp_targetILNS1_3genE5ELNS1_11target_archE942ELNS1_3gpuE9ELNS1_3repE0EEENS1_30default_config_static_selectorELNS0_4arch9wavefront6targetE1EEEvT1_
	.p2align	8
	.type	_ZN7rocprim17ROCPRIM_400000_NS6detail17trampoline_kernelINS0_14default_configENS1_25transform_config_selectorIiLb0EEEZNS1_14transform_implILb0ES3_S5_NS0_18transform_iteratorINS0_17counting_iteratorImlEEZNS1_24adjacent_difference_implIS3_Lb1ELb0EPiSB_N6thrust23THRUST_200600_302600_NS4plusIiEEEE10hipError_tPvRmT2_T3_mT4_P12ihipStream_tbEUlmE_iEESB_NS0_8identityIvEEEESG_SJ_SK_mSL_SN_bEUlT_E_NS1_11comp_targetILNS1_3genE5ELNS1_11target_archE942ELNS1_3gpuE9ELNS1_3repE0EEENS1_30default_config_static_selectorELNS0_4arch9wavefront6targetE1EEEvT1_,@function
_ZN7rocprim17ROCPRIM_400000_NS6detail17trampoline_kernelINS0_14default_configENS1_25transform_config_selectorIiLb0EEEZNS1_14transform_implILb0ES3_S5_NS0_18transform_iteratorINS0_17counting_iteratorImlEEZNS1_24adjacent_difference_implIS3_Lb1ELb0EPiSB_N6thrust23THRUST_200600_302600_NS4plusIiEEEE10hipError_tPvRmT2_T3_mT4_P12ihipStream_tbEUlmE_iEESB_NS0_8identityIvEEEESG_SJ_SK_mSL_SN_bEUlT_E_NS1_11comp_targetILNS1_3genE5ELNS1_11target_archE942ELNS1_3gpuE9ELNS1_3repE0EEENS1_30default_config_static_selectorELNS0_4arch9wavefront6targetE1EEEvT1_: ; @_ZN7rocprim17ROCPRIM_400000_NS6detail17trampoline_kernelINS0_14default_configENS1_25transform_config_selectorIiLb0EEEZNS1_14transform_implILb0ES3_S5_NS0_18transform_iteratorINS0_17counting_iteratorImlEEZNS1_24adjacent_difference_implIS3_Lb1ELb0EPiSB_N6thrust23THRUST_200600_302600_NS4plusIiEEEE10hipError_tPvRmT2_T3_mT4_P12ihipStream_tbEUlmE_iEESB_NS0_8identityIvEEEESG_SJ_SK_mSL_SN_bEUlT_E_NS1_11comp_targetILNS1_3genE5ELNS1_11target_archE942ELNS1_3gpuE9ELNS1_3repE0EEENS1_30default_config_static_selectorELNS0_4arch9wavefront6targetE1EEEvT1_
; %bb.0:
	.section	.rodata,"a",@progbits
	.p2align	6, 0x0
	.amdhsa_kernel _ZN7rocprim17ROCPRIM_400000_NS6detail17trampoline_kernelINS0_14default_configENS1_25transform_config_selectorIiLb0EEEZNS1_14transform_implILb0ES3_S5_NS0_18transform_iteratorINS0_17counting_iteratorImlEEZNS1_24adjacent_difference_implIS3_Lb1ELb0EPiSB_N6thrust23THRUST_200600_302600_NS4plusIiEEEE10hipError_tPvRmT2_T3_mT4_P12ihipStream_tbEUlmE_iEESB_NS0_8identityIvEEEESG_SJ_SK_mSL_SN_bEUlT_E_NS1_11comp_targetILNS1_3genE5ELNS1_11target_archE942ELNS1_3gpuE9ELNS1_3repE0EEENS1_30default_config_static_selectorELNS0_4arch9wavefront6targetE1EEEvT1_
		.amdhsa_group_segment_fixed_size 0
		.amdhsa_private_segment_fixed_size 0
		.amdhsa_kernarg_size 56
		.amdhsa_user_sgpr_count 6
		.amdhsa_user_sgpr_private_segment_buffer 1
		.amdhsa_user_sgpr_dispatch_ptr 0
		.amdhsa_user_sgpr_queue_ptr 0
		.amdhsa_user_sgpr_kernarg_segment_ptr 1
		.amdhsa_user_sgpr_dispatch_id 0
		.amdhsa_user_sgpr_flat_scratch_init 0
		.amdhsa_user_sgpr_kernarg_preload_length 0
		.amdhsa_user_sgpr_kernarg_preload_offset 0
		.amdhsa_user_sgpr_private_segment_size 0
		.amdhsa_uses_dynamic_stack 0
		.amdhsa_system_sgpr_private_segment_wavefront_offset 0
		.amdhsa_system_sgpr_workgroup_id_x 1
		.amdhsa_system_sgpr_workgroup_id_y 0
		.amdhsa_system_sgpr_workgroup_id_z 0
		.amdhsa_system_sgpr_workgroup_info 0
		.amdhsa_system_vgpr_workitem_id 0
		.amdhsa_next_free_vgpr 1
		.amdhsa_next_free_sgpr 0
		.amdhsa_accum_offset 4
		.amdhsa_reserve_vcc 0
		.amdhsa_reserve_flat_scratch 0
		.amdhsa_float_round_mode_32 0
		.amdhsa_float_round_mode_16_64 0
		.amdhsa_float_denorm_mode_32 3
		.amdhsa_float_denorm_mode_16_64 3
		.amdhsa_dx10_clamp 1
		.amdhsa_ieee_mode 1
		.amdhsa_fp16_overflow 0
		.amdhsa_tg_split 0
		.amdhsa_exception_fp_ieee_invalid_op 0
		.amdhsa_exception_fp_denorm_src 0
		.amdhsa_exception_fp_ieee_div_zero 0
		.amdhsa_exception_fp_ieee_overflow 0
		.amdhsa_exception_fp_ieee_underflow 0
		.amdhsa_exception_fp_ieee_inexact 0
		.amdhsa_exception_int_div_zero 0
	.end_amdhsa_kernel
	.section	.text._ZN7rocprim17ROCPRIM_400000_NS6detail17trampoline_kernelINS0_14default_configENS1_25transform_config_selectorIiLb0EEEZNS1_14transform_implILb0ES3_S5_NS0_18transform_iteratorINS0_17counting_iteratorImlEEZNS1_24adjacent_difference_implIS3_Lb1ELb0EPiSB_N6thrust23THRUST_200600_302600_NS4plusIiEEEE10hipError_tPvRmT2_T3_mT4_P12ihipStream_tbEUlmE_iEESB_NS0_8identityIvEEEESG_SJ_SK_mSL_SN_bEUlT_E_NS1_11comp_targetILNS1_3genE5ELNS1_11target_archE942ELNS1_3gpuE9ELNS1_3repE0EEENS1_30default_config_static_selectorELNS0_4arch9wavefront6targetE1EEEvT1_,"axG",@progbits,_ZN7rocprim17ROCPRIM_400000_NS6detail17trampoline_kernelINS0_14default_configENS1_25transform_config_selectorIiLb0EEEZNS1_14transform_implILb0ES3_S5_NS0_18transform_iteratorINS0_17counting_iteratorImlEEZNS1_24adjacent_difference_implIS3_Lb1ELb0EPiSB_N6thrust23THRUST_200600_302600_NS4plusIiEEEE10hipError_tPvRmT2_T3_mT4_P12ihipStream_tbEUlmE_iEESB_NS0_8identityIvEEEESG_SJ_SK_mSL_SN_bEUlT_E_NS1_11comp_targetILNS1_3genE5ELNS1_11target_archE942ELNS1_3gpuE9ELNS1_3repE0EEENS1_30default_config_static_selectorELNS0_4arch9wavefront6targetE1EEEvT1_,comdat
.Lfunc_end136:
	.size	_ZN7rocprim17ROCPRIM_400000_NS6detail17trampoline_kernelINS0_14default_configENS1_25transform_config_selectorIiLb0EEEZNS1_14transform_implILb0ES3_S5_NS0_18transform_iteratorINS0_17counting_iteratorImlEEZNS1_24adjacent_difference_implIS3_Lb1ELb0EPiSB_N6thrust23THRUST_200600_302600_NS4plusIiEEEE10hipError_tPvRmT2_T3_mT4_P12ihipStream_tbEUlmE_iEESB_NS0_8identityIvEEEESG_SJ_SK_mSL_SN_bEUlT_E_NS1_11comp_targetILNS1_3genE5ELNS1_11target_archE942ELNS1_3gpuE9ELNS1_3repE0EEENS1_30default_config_static_selectorELNS0_4arch9wavefront6targetE1EEEvT1_, .Lfunc_end136-_ZN7rocprim17ROCPRIM_400000_NS6detail17trampoline_kernelINS0_14default_configENS1_25transform_config_selectorIiLb0EEEZNS1_14transform_implILb0ES3_S5_NS0_18transform_iteratorINS0_17counting_iteratorImlEEZNS1_24adjacent_difference_implIS3_Lb1ELb0EPiSB_N6thrust23THRUST_200600_302600_NS4plusIiEEEE10hipError_tPvRmT2_T3_mT4_P12ihipStream_tbEUlmE_iEESB_NS0_8identityIvEEEESG_SJ_SK_mSL_SN_bEUlT_E_NS1_11comp_targetILNS1_3genE5ELNS1_11target_archE942ELNS1_3gpuE9ELNS1_3repE0EEENS1_30default_config_static_selectorELNS0_4arch9wavefront6targetE1EEEvT1_
                                        ; -- End function
	.section	.AMDGPU.csdata,"",@progbits
; Kernel info:
; codeLenInByte = 0
; NumSgprs: 4
; NumVgprs: 0
; NumAgprs: 0
; TotalNumVgprs: 0
; ScratchSize: 0
; MemoryBound: 0
; FloatMode: 240
; IeeeMode: 1
; LDSByteSize: 0 bytes/workgroup (compile time only)
; SGPRBlocks: 0
; VGPRBlocks: 0
; NumSGPRsForWavesPerEU: 4
; NumVGPRsForWavesPerEU: 1
; AccumOffset: 4
; Occupancy: 8
; WaveLimiterHint : 0
; COMPUTE_PGM_RSRC2:SCRATCH_EN: 0
; COMPUTE_PGM_RSRC2:USER_SGPR: 6
; COMPUTE_PGM_RSRC2:TRAP_HANDLER: 0
; COMPUTE_PGM_RSRC2:TGID_X_EN: 1
; COMPUTE_PGM_RSRC2:TGID_Y_EN: 0
; COMPUTE_PGM_RSRC2:TGID_Z_EN: 0
; COMPUTE_PGM_RSRC2:TIDIG_COMP_CNT: 0
; COMPUTE_PGM_RSRC3_GFX90A:ACCUM_OFFSET: 0
; COMPUTE_PGM_RSRC3_GFX90A:TG_SPLIT: 0
	.section	.text._ZN7rocprim17ROCPRIM_400000_NS6detail17trampoline_kernelINS0_14default_configENS1_25transform_config_selectorIiLb0EEEZNS1_14transform_implILb0ES3_S5_NS0_18transform_iteratorINS0_17counting_iteratorImlEEZNS1_24adjacent_difference_implIS3_Lb1ELb0EPiSB_N6thrust23THRUST_200600_302600_NS4plusIiEEEE10hipError_tPvRmT2_T3_mT4_P12ihipStream_tbEUlmE_iEESB_NS0_8identityIvEEEESG_SJ_SK_mSL_SN_bEUlT_E_NS1_11comp_targetILNS1_3genE4ELNS1_11target_archE910ELNS1_3gpuE8ELNS1_3repE0EEENS1_30default_config_static_selectorELNS0_4arch9wavefront6targetE1EEEvT1_,"axG",@progbits,_ZN7rocprim17ROCPRIM_400000_NS6detail17trampoline_kernelINS0_14default_configENS1_25transform_config_selectorIiLb0EEEZNS1_14transform_implILb0ES3_S5_NS0_18transform_iteratorINS0_17counting_iteratorImlEEZNS1_24adjacent_difference_implIS3_Lb1ELb0EPiSB_N6thrust23THRUST_200600_302600_NS4plusIiEEEE10hipError_tPvRmT2_T3_mT4_P12ihipStream_tbEUlmE_iEESB_NS0_8identityIvEEEESG_SJ_SK_mSL_SN_bEUlT_E_NS1_11comp_targetILNS1_3genE4ELNS1_11target_archE910ELNS1_3gpuE8ELNS1_3repE0EEENS1_30default_config_static_selectorELNS0_4arch9wavefront6targetE1EEEvT1_,comdat
	.protected	_ZN7rocprim17ROCPRIM_400000_NS6detail17trampoline_kernelINS0_14default_configENS1_25transform_config_selectorIiLb0EEEZNS1_14transform_implILb0ES3_S5_NS0_18transform_iteratorINS0_17counting_iteratorImlEEZNS1_24adjacent_difference_implIS3_Lb1ELb0EPiSB_N6thrust23THRUST_200600_302600_NS4plusIiEEEE10hipError_tPvRmT2_T3_mT4_P12ihipStream_tbEUlmE_iEESB_NS0_8identityIvEEEESG_SJ_SK_mSL_SN_bEUlT_E_NS1_11comp_targetILNS1_3genE4ELNS1_11target_archE910ELNS1_3gpuE8ELNS1_3repE0EEENS1_30default_config_static_selectorELNS0_4arch9wavefront6targetE1EEEvT1_ ; -- Begin function _ZN7rocprim17ROCPRIM_400000_NS6detail17trampoline_kernelINS0_14default_configENS1_25transform_config_selectorIiLb0EEEZNS1_14transform_implILb0ES3_S5_NS0_18transform_iteratorINS0_17counting_iteratorImlEEZNS1_24adjacent_difference_implIS3_Lb1ELb0EPiSB_N6thrust23THRUST_200600_302600_NS4plusIiEEEE10hipError_tPvRmT2_T3_mT4_P12ihipStream_tbEUlmE_iEESB_NS0_8identityIvEEEESG_SJ_SK_mSL_SN_bEUlT_E_NS1_11comp_targetILNS1_3genE4ELNS1_11target_archE910ELNS1_3gpuE8ELNS1_3repE0EEENS1_30default_config_static_selectorELNS0_4arch9wavefront6targetE1EEEvT1_
	.globl	_ZN7rocprim17ROCPRIM_400000_NS6detail17trampoline_kernelINS0_14default_configENS1_25transform_config_selectorIiLb0EEEZNS1_14transform_implILb0ES3_S5_NS0_18transform_iteratorINS0_17counting_iteratorImlEEZNS1_24adjacent_difference_implIS3_Lb1ELb0EPiSB_N6thrust23THRUST_200600_302600_NS4plusIiEEEE10hipError_tPvRmT2_T3_mT4_P12ihipStream_tbEUlmE_iEESB_NS0_8identityIvEEEESG_SJ_SK_mSL_SN_bEUlT_E_NS1_11comp_targetILNS1_3genE4ELNS1_11target_archE910ELNS1_3gpuE8ELNS1_3repE0EEENS1_30default_config_static_selectorELNS0_4arch9wavefront6targetE1EEEvT1_
	.p2align	8
	.type	_ZN7rocprim17ROCPRIM_400000_NS6detail17trampoline_kernelINS0_14default_configENS1_25transform_config_selectorIiLb0EEEZNS1_14transform_implILb0ES3_S5_NS0_18transform_iteratorINS0_17counting_iteratorImlEEZNS1_24adjacent_difference_implIS3_Lb1ELb0EPiSB_N6thrust23THRUST_200600_302600_NS4plusIiEEEE10hipError_tPvRmT2_T3_mT4_P12ihipStream_tbEUlmE_iEESB_NS0_8identityIvEEEESG_SJ_SK_mSL_SN_bEUlT_E_NS1_11comp_targetILNS1_3genE4ELNS1_11target_archE910ELNS1_3gpuE8ELNS1_3repE0EEENS1_30default_config_static_selectorELNS0_4arch9wavefront6targetE1EEEvT1_,@function
_ZN7rocprim17ROCPRIM_400000_NS6detail17trampoline_kernelINS0_14default_configENS1_25transform_config_selectorIiLb0EEEZNS1_14transform_implILb0ES3_S5_NS0_18transform_iteratorINS0_17counting_iteratorImlEEZNS1_24adjacent_difference_implIS3_Lb1ELb0EPiSB_N6thrust23THRUST_200600_302600_NS4plusIiEEEE10hipError_tPvRmT2_T3_mT4_P12ihipStream_tbEUlmE_iEESB_NS0_8identityIvEEEESG_SJ_SK_mSL_SN_bEUlT_E_NS1_11comp_targetILNS1_3genE4ELNS1_11target_archE910ELNS1_3gpuE8ELNS1_3repE0EEENS1_30default_config_static_selectorELNS0_4arch9wavefront6targetE1EEEvT1_: ; @_ZN7rocprim17ROCPRIM_400000_NS6detail17trampoline_kernelINS0_14default_configENS1_25transform_config_selectorIiLb0EEEZNS1_14transform_implILb0ES3_S5_NS0_18transform_iteratorINS0_17counting_iteratorImlEEZNS1_24adjacent_difference_implIS3_Lb1ELb0EPiSB_N6thrust23THRUST_200600_302600_NS4plusIiEEEE10hipError_tPvRmT2_T3_mT4_P12ihipStream_tbEUlmE_iEESB_NS0_8identityIvEEEESG_SJ_SK_mSL_SN_bEUlT_E_NS1_11comp_targetILNS1_3genE4ELNS1_11target_archE910ELNS1_3gpuE8ELNS1_3repE0EEENS1_30default_config_static_selectorELNS0_4arch9wavefront6targetE1EEEvT1_
; %bb.0:
	s_load_dwordx4 s[0:3], s[4:5], 0x18
	s_load_dwordx2 s[14:15], s[4:5], 0x28
	s_load_dwordx4 s[8:11], s[4:5], 0x0
	s_load_dword s12, s[4:5], 0x10
	s_waitcnt lgkmcnt(0)
	s_load_dword s3, s[4:5], 0x38
                                        ; kill: killed $sgpr4_sgpr5
	s_lshl_b64 s[4:5], s[0:1], 2
	s_add_u32 s14, s14, s4
	s_addc_u32 s15, s15, s5
	s_lshl_b32 s4, s6, 11
	s_waitcnt lgkmcnt(0)
	s_add_i32 s3, s3, -1
	s_add_u32 s7, s8, s4
	s_addc_u32 s8, s9, 0
	s_add_u32 s16, s7, s0
	s_addc_u32 s17, s8, s1
	s_mov_b32 s5, 0
	s_cmp_lg_u32 s6, s3
	v_lshlrev_b32_e32 v1, 2, v0
	s_cbranch_scc0 .LBB137_2
; %bb.1:
	v_mov_b32_e32 v2, s17
	v_add_co_u32_e32 v3, vcc, s16, v0
	v_addc_co_u32_e32 v5, vcc, 0, v2, vcc
	v_mad_u64_u32 v[2:3], s[0:1], v3, s12, 0
	v_mov_b32_e32 v4, v3
	v_mad_u64_u32 v[4:5], s[0:1], v5, s12, v[4:5]
	v_mov_b32_e32 v3, v4
	v_lshlrev_b64 v[2:3], 2, v[2:3]
	s_mov_b32 s13, s5
	v_mov_b32_e32 v4, s11
	v_add_co_u32_e32 v2, vcc, s10, v2
	v_addc_co_u32_e32 v3, vcc, v4, v3, vcc
	s_lshl_b64 s[0:1], s[12:13], 12
	global_load_dword v6, v[2:3], off
	v_mov_b32_e32 v4, s1
	v_add_co_u32_e32 v2, vcc, s0, v2
	v_addc_co_u32_e32 v3, vcc, v3, v4, vcc
	global_load_dword v3, v[2:3], off
	s_lshl_b64 s[6:7], s[4:5], 2
	s_add_u32 s6, s14, s6
	s_addc_u32 s7, s15, s7
	v_mov_b32_e32 v2, s7
	v_add_co_u32_e32 v4, vcc, s6, v1
	v_addc_co_u32_e32 v5, vcc, 0, v2, vcc
	s_waitcnt vmcnt(1)
	global_store_dword v1, v6, s[6:7]
	s_mov_b64 s[6:7], -1
	s_cbranch_execz .LBB137_3
	s_branch .LBB137_12
.LBB137_2:
	s_mov_b64 s[6:7], 0
                                        ; implicit-def: $vgpr3
                                        ; implicit-def: $vgpr4_vgpr5
.LBB137_3:
	s_sub_i32 s8, s2, s4
	v_cmp_gt_u32_e32 vcc, s8, v0
                                        ; implicit-def: $vgpr2_vgpr3
	s_and_saveexec_b64 s[2:3], vcc
	s_cbranch_execz .LBB137_5
; %bb.4:
	v_mov_b32_e32 v2, s17
	s_waitcnt vmcnt(1)
	v_add_co_u32_e64 v3, s[0:1], s16, v0
	v_addc_co_u32_e64 v5, s[0:1], 0, v2, s[0:1]
	v_mad_u64_u32 v[2:3], s[0:1], v3, s12, 0
	v_mov_b32_e32 v4, v3
	v_mad_u64_u32 v[4:5], s[0:1], v5, s12, v[4:5]
	v_mov_b32_e32 v3, v4
	v_lshlrev_b64 v[2:3], 2, v[2:3]
	v_mov_b32_e32 v4, s11
	v_add_co_u32_e64 v2, s[0:1], s10, v2
	v_addc_co_u32_e64 v3, s[0:1], v4, v3, s[0:1]
	global_load_dword v2, v[2:3], off
.LBB137_5:
	s_or_b64 exec, exec, s[2:3]
	v_or_b32_e32 v0, 0x400, v0
	v_cmp_gt_u32_e64 s[0:1], s8, v0
	s_and_saveexec_b64 s[8:9], s[0:1]
	s_cbranch_execz .LBB137_7
; %bb.6:
	s_waitcnt vmcnt(1)
	v_mov_b32_e32 v3, s17
	v_add_co_u32_e64 v0, s[2:3], s16, v0
	v_addc_co_u32_e64 v3, s[2:3], 0, v3, s[2:3]
	v_mad_u64_u32 v[4:5], s[2:3], v0, s12, 0
	v_mov_b32_e32 v0, v5
	v_mad_u64_u32 v[6:7], s[2:3], v3, s12, v[0:1]
	v_mov_b32_e32 v5, v6
	v_lshlrev_b64 v[4:5], 2, v[4:5]
	v_mov_b32_e32 v0, s11
	v_add_co_u32_e64 v4, s[2:3], s10, v4
	v_addc_co_u32_e64 v5, s[2:3], v0, v5, s[2:3]
	global_load_dword v3, v[4:5], off
.LBB137_7:
	s_or_b64 exec, exec, s[8:9]
	s_lshl_b64 s[2:3], s[4:5], 2
	s_add_u32 s2, s14, s2
	s_addc_u32 s3, s15, s3
	v_mov_b32_e32 v0, s3
	v_add_co_u32_e64 v4, s[2:3], s2, v1
	v_addc_co_u32_e64 v5, s[2:3], 0, v0, s[2:3]
	s_and_saveexec_b64 s[2:3], vcc
	s_cbranch_execz .LBB137_9
; %bb.8:
	s_waitcnt vmcnt(0)
	global_store_dword v[4:5], v2, off
.LBB137_9:
	s_or_b64 exec, exec, s[2:3]
	s_and_saveexec_b64 s[2:3], s[0:1]
; %bb.10:
	s_or_b64 s[6:7], s[6:7], exec
; %bb.11:
	s_or_b64 exec, exec, s[2:3]
.LBB137_12:
	s_and_saveexec_b64 s[0:1], s[6:7]
	s_cbranch_execnz .LBB137_14
; %bb.13:
	s_endpgm
.LBB137_14:
	v_add_co_u32_e32 v0, vcc, 0x1000, v4
	v_addc_co_u32_e32 v1, vcc, 0, v5, vcc
	s_waitcnt vmcnt(0)
	global_store_dword v[0:1], v3, off
	s_endpgm
	.section	.rodata,"a",@progbits
	.p2align	6, 0x0
	.amdhsa_kernel _ZN7rocprim17ROCPRIM_400000_NS6detail17trampoline_kernelINS0_14default_configENS1_25transform_config_selectorIiLb0EEEZNS1_14transform_implILb0ES3_S5_NS0_18transform_iteratorINS0_17counting_iteratorImlEEZNS1_24adjacent_difference_implIS3_Lb1ELb0EPiSB_N6thrust23THRUST_200600_302600_NS4plusIiEEEE10hipError_tPvRmT2_T3_mT4_P12ihipStream_tbEUlmE_iEESB_NS0_8identityIvEEEESG_SJ_SK_mSL_SN_bEUlT_E_NS1_11comp_targetILNS1_3genE4ELNS1_11target_archE910ELNS1_3gpuE8ELNS1_3repE0EEENS1_30default_config_static_selectorELNS0_4arch9wavefront6targetE1EEEvT1_
		.amdhsa_group_segment_fixed_size 0
		.amdhsa_private_segment_fixed_size 0
		.amdhsa_kernarg_size 312
		.amdhsa_user_sgpr_count 6
		.amdhsa_user_sgpr_private_segment_buffer 1
		.amdhsa_user_sgpr_dispatch_ptr 0
		.amdhsa_user_sgpr_queue_ptr 0
		.amdhsa_user_sgpr_kernarg_segment_ptr 1
		.amdhsa_user_sgpr_dispatch_id 0
		.amdhsa_user_sgpr_flat_scratch_init 0
		.amdhsa_user_sgpr_kernarg_preload_length 0
		.amdhsa_user_sgpr_kernarg_preload_offset 0
		.amdhsa_user_sgpr_private_segment_size 0
		.amdhsa_uses_dynamic_stack 0
		.amdhsa_system_sgpr_private_segment_wavefront_offset 0
		.amdhsa_system_sgpr_workgroup_id_x 1
		.amdhsa_system_sgpr_workgroup_id_y 0
		.amdhsa_system_sgpr_workgroup_id_z 0
		.amdhsa_system_sgpr_workgroup_info 0
		.amdhsa_system_vgpr_workitem_id 0
		.amdhsa_next_free_vgpr 8
		.amdhsa_next_free_sgpr 18
		.amdhsa_accum_offset 8
		.amdhsa_reserve_vcc 1
		.amdhsa_reserve_flat_scratch 0
		.amdhsa_float_round_mode_32 0
		.amdhsa_float_round_mode_16_64 0
		.amdhsa_float_denorm_mode_32 3
		.amdhsa_float_denorm_mode_16_64 3
		.amdhsa_dx10_clamp 1
		.amdhsa_ieee_mode 1
		.amdhsa_fp16_overflow 0
		.amdhsa_tg_split 0
		.amdhsa_exception_fp_ieee_invalid_op 0
		.amdhsa_exception_fp_denorm_src 0
		.amdhsa_exception_fp_ieee_div_zero 0
		.amdhsa_exception_fp_ieee_overflow 0
		.amdhsa_exception_fp_ieee_underflow 0
		.amdhsa_exception_fp_ieee_inexact 0
		.amdhsa_exception_int_div_zero 0
	.end_amdhsa_kernel
	.section	.text._ZN7rocprim17ROCPRIM_400000_NS6detail17trampoline_kernelINS0_14default_configENS1_25transform_config_selectorIiLb0EEEZNS1_14transform_implILb0ES3_S5_NS0_18transform_iteratorINS0_17counting_iteratorImlEEZNS1_24adjacent_difference_implIS3_Lb1ELb0EPiSB_N6thrust23THRUST_200600_302600_NS4plusIiEEEE10hipError_tPvRmT2_T3_mT4_P12ihipStream_tbEUlmE_iEESB_NS0_8identityIvEEEESG_SJ_SK_mSL_SN_bEUlT_E_NS1_11comp_targetILNS1_3genE4ELNS1_11target_archE910ELNS1_3gpuE8ELNS1_3repE0EEENS1_30default_config_static_selectorELNS0_4arch9wavefront6targetE1EEEvT1_,"axG",@progbits,_ZN7rocprim17ROCPRIM_400000_NS6detail17trampoline_kernelINS0_14default_configENS1_25transform_config_selectorIiLb0EEEZNS1_14transform_implILb0ES3_S5_NS0_18transform_iteratorINS0_17counting_iteratorImlEEZNS1_24adjacent_difference_implIS3_Lb1ELb0EPiSB_N6thrust23THRUST_200600_302600_NS4plusIiEEEE10hipError_tPvRmT2_T3_mT4_P12ihipStream_tbEUlmE_iEESB_NS0_8identityIvEEEESG_SJ_SK_mSL_SN_bEUlT_E_NS1_11comp_targetILNS1_3genE4ELNS1_11target_archE910ELNS1_3gpuE8ELNS1_3repE0EEENS1_30default_config_static_selectorELNS0_4arch9wavefront6targetE1EEEvT1_,comdat
.Lfunc_end137:
	.size	_ZN7rocprim17ROCPRIM_400000_NS6detail17trampoline_kernelINS0_14default_configENS1_25transform_config_selectorIiLb0EEEZNS1_14transform_implILb0ES3_S5_NS0_18transform_iteratorINS0_17counting_iteratorImlEEZNS1_24adjacent_difference_implIS3_Lb1ELb0EPiSB_N6thrust23THRUST_200600_302600_NS4plusIiEEEE10hipError_tPvRmT2_T3_mT4_P12ihipStream_tbEUlmE_iEESB_NS0_8identityIvEEEESG_SJ_SK_mSL_SN_bEUlT_E_NS1_11comp_targetILNS1_3genE4ELNS1_11target_archE910ELNS1_3gpuE8ELNS1_3repE0EEENS1_30default_config_static_selectorELNS0_4arch9wavefront6targetE1EEEvT1_, .Lfunc_end137-_ZN7rocprim17ROCPRIM_400000_NS6detail17trampoline_kernelINS0_14default_configENS1_25transform_config_selectorIiLb0EEEZNS1_14transform_implILb0ES3_S5_NS0_18transform_iteratorINS0_17counting_iteratorImlEEZNS1_24adjacent_difference_implIS3_Lb1ELb0EPiSB_N6thrust23THRUST_200600_302600_NS4plusIiEEEE10hipError_tPvRmT2_T3_mT4_P12ihipStream_tbEUlmE_iEESB_NS0_8identityIvEEEESG_SJ_SK_mSL_SN_bEUlT_E_NS1_11comp_targetILNS1_3genE4ELNS1_11target_archE910ELNS1_3gpuE8ELNS1_3repE0EEENS1_30default_config_static_selectorELNS0_4arch9wavefront6targetE1EEEvT1_
                                        ; -- End function
	.section	.AMDGPU.csdata,"",@progbits
; Kernel info:
; codeLenInByte = 568
; NumSgprs: 22
; NumVgprs: 8
; NumAgprs: 0
; TotalNumVgprs: 8
; ScratchSize: 0
; MemoryBound: 0
; FloatMode: 240
; IeeeMode: 1
; LDSByteSize: 0 bytes/workgroup (compile time only)
; SGPRBlocks: 2
; VGPRBlocks: 0
; NumSGPRsForWavesPerEU: 22
; NumVGPRsForWavesPerEU: 8
; AccumOffset: 8
; Occupancy: 8
; WaveLimiterHint : 0
; COMPUTE_PGM_RSRC2:SCRATCH_EN: 0
; COMPUTE_PGM_RSRC2:USER_SGPR: 6
; COMPUTE_PGM_RSRC2:TRAP_HANDLER: 0
; COMPUTE_PGM_RSRC2:TGID_X_EN: 1
; COMPUTE_PGM_RSRC2:TGID_Y_EN: 0
; COMPUTE_PGM_RSRC2:TGID_Z_EN: 0
; COMPUTE_PGM_RSRC2:TIDIG_COMP_CNT: 0
; COMPUTE_PGM_RSRC3_GFX90A:ACCUM_OFFSET: 1
; COMPUTE_PGM_RSRC3_GFX90A:TG_SPLIT: 0
	.section	.text._ZN7rocprim17ROCPRIM_400000_NS6detail17trampoline_kernelINS0_14default_configENS1_25transform_config_selectorIiLb0EEEZNS1_14transform_implILb0ES3_S5_NS0_18transform_iteratorINS0_17counting_iteratorImlEEZNS1_24adjacent_difference_implIS3_Lb1ELb0EPiSB_N6thrust23THRUST_200600_302600_NS4plusIiEEEE10hipError_tPvRmT2_T3_mT4_P12ihipStream_tbEUlmE_iEESB_NS0_8identityIvEEEESG_SJ_SK_mSL_SN_bEUlT_E_NS1_11comp_targetILNS1_3genE3ELNS1_11target_archE908ELNS1_3gpuE7ELNS1_3repE0EEENS1_30default_config_static_selectorELNS0_4arch9wavefront6targetE1EEEvT1_,"axG",@progbits,_ZN7rocprim17ROCPRIM_400000_NS6detail17trampoline_kernelINS0_14default_configENS1_25transform_config_selectorIiLb0EEEZNS1_14transform_implILb0ES3_S5_NS0_18transform_iteratorINS0_17counting_iteratorImlEEZNS1_24adjacent_difference_implIS3_Lb1ELb0EPiSB_N6thrust23THRUST_200600_302600_NS4plusIiEEEE10hipError_tPvRmT2_T3_mT4_P12ihipStream_tbEUlmE_iEESB_NS0_8identityIvEEEESG_SJ_SK_mSL_SN_bEUlT_E_NS1_11comp_targetILNS1_3genE3ELNS1_11target_archE908ELNS1_3gpuE7ELNS1_3repE0EEENS1_30default_config_static_selectorELNS0_4arch9wavefront6targetE1EEEvT1_,comdat
	.protected	_ZN7rocprim17ROCPRIM_400000_NS6detail17trampoline_kernelINS0_14default_configENS1_25transform_config_selectorIiLb0EEEZNS1_14transform_implILb0ES3_S5_NS0_18transform_iteratorINS0_17counting_iteratorImlEEZNS1_24adjacent_difference_implIS3_Lb1ELb0EPiSB_N6thrust23THRUST_200600_302600_NS4plusIiEEEE10hipError_tPvRmT2_T3_mT4_P12ihipStream_tbEUlmE_iEESB_NS0_8identityIvEEEESG_SJ_SK_mSL_SN_bEUlT_E_NS1_11comp_targetILNS1_3genE3ELNS1_11target_archE908ELNS1_3gpuE7ELNS1_3repE0EEENS1_30default_config_static_selectorELNS0_4arch9wavefront6targetE1EEEvT1_ ; -- Begin function _ZN7rocprim17ROCPRIM_400000_NS6detail17trampoline_kernelINS0_14default_configENS1_25transform_config_selectorIiLb0EEEZNS1_14transform_implILb0ES3_S5_NS0_18transform_iteratorINS0_17counting_iteratorImlEEZNS1_24adjacent_difference_implIS3_Lb1ELb0EPiSB_N6thrust23THRUST_200600_302600_NS4plusIiEEEE10hipError_tPvRmT2_T3_mT4_P12ihipStream_tbEUlmE_iEESB_NS0_8identityIvEEEESG_SJ_SK_mSL_SN_bEUlT_E_NS1_11comp_targetILNS1_3genE3ELNS1_11target_archE908ELNS1_3gpuE7ELNS1_3repE0EEENS1_30default_config_static_selectorELNS0_4arch9wavefront6targetE1EEEvT1_
	.globl	_ZN7rocprim17ROCPRIM_400000_NS6detail17trampoline_kernelINS0_14default_configENS1_25transform_config_selectorIiLb0EEEZNS1_14transform_implILb0ES3_S5_NS0_18transform_iteratorINS0_17counting_iteratorImlEEZNS1_24adjacent_difference_implIS3_Lb1ELb0EPiSB_N6thrust23THRUST_200600_302600_NS4plusIiEEEE10hipError_tPvRmT2_T3_mT4_P12ihipStream_tbEUlmE_iEESB_NS0_8identityIvEEEESG_SJ_SK_mSL_SN_bEUlT_E_NS1_11comp_targetILNS1_3genE3ELNS1_11target_archE908ELNS1_3gpuE7ELNS1_3repE0EEENS1_30default_config_static_selectorELNS0_4arch9wavefront6targetE1EEEvT1_
	.p2align	8
	.type	_ZN7rocprim17ROCPRIM_400000_NS6detail17trampoline_kernelINS0_14default_configENS1_25transform_config_selectorIiLb0EEEZNS1_14transform_implILb0ES3_S5_NS0_18transform_iteratorINS0_17counting_iteratorImlEEZNS1_24adjacent_difference_implIS3_Lb1ELb0EPiSB_N6thrust23THRUST_200600_302600_NS4plusIiEEEE10hipError_tPvRmT2_T3_mT4_P12ihipStream_tbEUlmE_iEESB_NS0_8identityIvEEEESG_SJ_SK_mSL_SN_bEUlT_E_NS1_11comp_targetILNS1_3genE3ELNS1_11target_archE908ELNS1_3gpuE7ELNS1_3repE0EEENS1_30default_config_static_selectorELNS0_4arch9wavefront6targetE1EEEvT1_,@function
_ZN7rocprim17ROCPRIM_400000_NS6detail17trampoline_kernelINS0_14default_configENS1_25transform_config_selectorIiLb0EEEZNS1_14transform_implILb0ES3_S5_NS0_18transform_iteratorINS0_17counting_iteratorImlEEZNS1_24adjacent_difference_implIS3_Lb1ELb0EPiSB_N6thrust23THRUST_200600_302600_NS4plusIiEEEE10hipError_tPvRmT2_T3_mT4_P12ihipStream_tbEUlmE_iEESB_NS0_8identityIvEEEESG_SJ_SK_mSL_SN_bEUlT_E_NS1_11comp_targetILNS1_3genE3ELNS1_11target_archE908ELNS1_3gpuE7ELNS1_3repE0EEENS1_30default_config_static_selectorELNS0_4arch9wavefront6targetE1EEEvT1_: ; @_ZN7rocprim17ROCPRIM_400000_NS6detail17trampoline_kernelINS0_14default_configENS1_25transform_config_selectorIiLb0EEEZNS1_14transform_implILb0ES3_S5_NS0_18transform_iteratorINS0_17counting_iteratorImlEEZNS1_24adjacent_difference_implIS3_Lb1ELb0EPiSB_N6thrust23THRUST_200600_302600_NS4plusIiEEEE10hipError_tPvRmT2_T3_mT4_P12ihipStream_tbEUlmE_iEESB_NS0_8identityIvEEEESG_SJ_SK_mSL_SN_bEUlT_E_NS1_11comp_targetILNS1_3genE3ELNS1_11target_archE908ELNS1_3gpuE7ELNS1_3repE0EEENS1_30default_config_static_selectorELNS0_4arch9wavefront6targetE1EEEvT1_
; %bb.0:
	.section	.rodata,"a",@progbits
	.p2align	6, 0x0
	.amdhsa_kernel _ZN7rocprim17ROCPRIM_400000_NS6detail17trampoline_kernelINS0_14default_configENS1_25transform_config_selectorIiLb0EEEZNS1_14transform_implILb0ES3_S5_NS0_18transform_iteratorINS0_17counting_iteratorImlEEZNS1_24adjacent_difference_implIS3_Lb1ELb0EPiSB_N6thrust23THRUST_200600_302600_NS4plusIiEEEE10hipError_tPvRmT2_T3_mT4_P12ihipStream_tbEUlmE_iEESB_NS0_8identityIvEEEESG_SJ_SK_mSL_SN_bEUlT_E_NS1_11comp_targetILNS1_3genE3ELNS1_11target_archE908ELNS1_3gpuE7ELNS1_3repE0EEENS1_30default_config_static_selectorELNS0_4arch9wavefront6targetE1EEEvT1_
		.amdhsa_group_segment_fixed_size 0
		.amdhsa_private_segment_fixed_size 0
		.amdhsa_kernarg_size 56
		.amdhsa_user_sgpr_count 6
		.amdhsa_user_sgpr_private_segment_buffer 1
		.amdhsa_user_sgpr_dispatch_ptr 0
		.amdhsa_user_sgpr_queue_ptr 0
		.amdhsa_user_sgpr_kernarg_segment_ptr 1
		.amdhsa_user_sgpr_dispatch_id 0
		.amdhsa_user_sgpr_flat_scratch_init 0
		.amdhsa_user_sgpr_kernarg_preload_length 0
		.amdhsa_user_sgpr_kernarg_preload_offset 0
		.amdhsa_user_sgpr_private_segment_size 0
		.amdhsa_uses_dynamic_stack 0
		.amdhsa_system_sgpr_private_segment_wavefront_offset 0
		.amdhsa_system_sgpr_workgroup_id_x 1
		.amdhsa_system_sgpr_workgroup_id_y 0
		.amdhsa_system_sgpr_workgroup_id_z 0
		.amdhsa_system_sgpr_workgroup_info 0
		.amdhsa_system_vgpr_workitem_id 0
		.amdhsa_next_free_vgpr 1
		.amdhsa_next_free_sgpr 0
		.amdhsa_accum_offset 4
		.amdhsa_reserve_vcc 0
		.amdhsa_reserve_flat_scratch 0
		.amdhsa_float_round_mode_32 0
		.amdhsa_float_round_mode_16_64 0
		.amdhsa_float_denorm_mode_32 3
		.amdhsa_float_denorm_mode_16_64 3
		.amdhsa_dx10_clamp 1
		.amdhsa_ieee_mode 1
		.amdhsa_fp16_overflow 0
		.amdhsa_tg_split 0
		.amdhsa_exception_fp_ieee_invalid_op 0
		.amdhsa_exception_fp_denorm_src 0
		.amdhsa_exception_fp_ieee_div_zero 0
		.amdhsa_exception_fp_ieee_overflow 0
		.amdhsa_exception_fp_ieee_underflow 0
		.amdhsa_exception_fp_ieee_inexact 0
		.amdhsa_exception_int_div_zero 0
	.end_amdhsa_kernel
	.section	.text._ZN7rocprim17ROCPRIM_400000_NS6detail17trampoline_kernelINS0_14default_configENS1_25transform_config_selectorIiLb0EEEZNS1_14transform_implILb0ES3_S5_NS0_18transform_iteratorINS0_17counting_iteratorImlEEZNS1_24adjacent_difference_implIS3_Lb1ELb0EPiSB_N6thrust23THRUST_200600_302600_NS4plusIiEEEE10hipError_tPvRmT2_T3_mT4_P12ihipStream_tbEUlmE_iEESB_NS0_8identityIvEEEESG_SJ_SK_mSL_SN_bEUlT_E_NS1_11comp_targetILNS1_3genE3ELNS1_11target_archE908ELNS1_3gpuE7ELNS1_3repE0EEENS1_30default_config_static_selectorELNS0_4arch9wavefront6targetE1EEEvT1_,"axG",@progbits,_ZN7rocprim17ROCPRIM_400000_NS6detail17trampoline_kernelINS0_14default_configENS1_25transform_config_selectorIiLb0EEEZNS1_14transform_implILb0ES3_S5_NS0_18transform_iteratorINS0_17counting_iteratorImlEEZNS1_24adjacent_difference_implIS3_Lb1ELb0EPiSB_N6thrust23THRUST_200600_302600_NS4plusIiEEEE10hipError_tPvRmT2_T3_mT4_P12ihipStream_tbEUlmE_iEESB_NS0_8identityIvEEEESG_SJ_SK_mSL_SN_bEUlT_E_NS1_11comp_targetILNS1_3genE3ELNS1_11target_archE908ELNS1_3gpuE7ELNS1_3repE0EEENS1_30default_config_static_selectorELNS0_4arch9wavefront6targetE1EEEvT1_,comdat
.Lfunc_end138:
	.size	_ZN7rocprim17ROCPRIM_400000_NS6detail17trampoline_kernelINS0_14default_configENS1_25transform_config_selectorIiLb0EEEZNS1_14transform_implILb0ES3_S5_NS0_18transform_iteratorINS0_17counting_iteratorImlEEZNS1_24adjacent_difference_implIS3_Lb1ELb0EPiSB_N6thrust23THRUST_200600_302600_NS4plusIiEEEE10hipError_tPvRmT2_T3_mT4_P12ihipStream_tbEUlmE_iEESB_NS0_8identityIvEEEESG_SJ_SK_mSL_SN_bEUlT_E_NS1_11comp_targetILNS1_3genE3ELNS1_11target_archE908ELNS1_3gpuE7ELNS1_3repE0EEENS1_30default_config_static_selectorELNS0_4arch9wavefront6targetE1EEEvT1_, .Lfunc_end138-_ZN7rocprim17ROCPRIM_400000_NS6detail17trampoline_kernelINS0_14default_configENS1_25transform_config_selectorIiLb0EEEZNS1_14transform_implILb0ES3_S5_NS0_18transform_iteratorINS0_17counting_iteratorImlEEZNS1_24adjacent_difference_implIS3_Lb1ELb0EPiSB_N6thrust23THRUST_200600_302600_NS4plusIiEEEE10hipError_tPvRmT2_T3_mT4_P12ihipStream_tbEUlmE_iEESB_NS0_8identityIvEEEESG_SJ_SK_mSL_SN_bEUlT_E_NS1_11comp_targetILNS1_3genE3ELNS1_11target_archE908ELNS1_3gpuE7ELNS1_3repE0EEENS1_30default_config_static_selectorELNS0_4arch9wavefront6targetE1EEEvT1_
                                        ; -- End function
	.section	.AMDGPU.csdata,"",@progbits
; Kernel info:
; codeLenInByte = 0
; NumSgprs: 4
; NumVgprs: 0
; NumAgprs: 0
; TotalNumVgprs: 0
; ScratchSize: 0
; MemoryBound: 0
; FloatMode: 240
; IeeeMode: 1
; LDSByteSize: 0 bytes/workgroup (compile time only)
; SGPRBlocks: 0
; VGPRBlocks: 0
; NumSGPRsForWavesPerEU: 4
; NumVGPRsForWavesPerEU: 1
; AccumOffset: 4
; Occupancy: 8
; WaveLimiterHint : 0
; COMPUTE_PGM_RSRC2:SCRATCH_EN: 0
; COMPUTE_PGM_RSRC2:USER_SGPR: 6
; COMPUTE_PGM_RSRC2:TRAP_HANDLER: 0
; COMPUTE_PGM_RSRC2:TGID_X_EN: 1
; COMPUTE_PGM_RSRC2:TGID_Y_EN: 0
; COMPUTE_PGM_RSRC2:TGID_Z_EN: 0
; COMPUTE_PGM_RSRC2:TIDIG_COMP_CNT: 0
; COMPUTE_PGM_RSRC3_GFX90A:ACCUM_OFFSET: 0
; COMPUTE_PGM_RSRC3_GFX90A:TG_SPLIT: 0
	.section	.text._ZN7rocprim17ROCPRIM_400000_NS6detail17trampoline_kernelINS0_14default_configENS1_25transform_config_selectorIiLb0EEEZNS1_14transform_implILb0ES3_S5_NS0_18transform_iteratorINS0_17counting_iteratorImlEEZNS1_24adjacent_difference_implIS3_Lb1ELb0EPiSB_N6thrust23THRUST_200600_302600_NS4plusIiEEEE10hipError_tPvRmT2_T3_mT4_P12ihipStream_tbEUlmE_iEESB_NS0_8identityIvEEEESG_SJ_SK_mSL_SN_bEUlT_E_NS1_11comp_targetILNS1_3genE2ELNS1_11target_archE906ELNS1_3gpuE6ELNS1_3repE0EEENS1_30default_config_static_selectorELNS0_4arch9wavefront6targetE1EEEvT1_,"axG",@progbits,_ZN7rocprim17ROCPRIM_400000_NS6detail17trampoline_kernelINS0_14default_configENS1_25transform_config_selectorIiLb0EEEZNS1_14transform_implILb0ES3_S5_NS0_18transform_iteratorINS0_17counting_iteratorImlEEZNS1_24adjacent_difference_implIS3_Lb1ELb0EPiSB_N6thrust23THRUST_200600_302600_NS4plusIiEEEE10hipError_tPvRmT2_T3_mT4_P12ihipStream_tbEUlmE_iEESB_NS0_8identityIvEEEESG_SJ_SK_mSL_SN_bEUlT_E_NS1_11comp_targetILNS1_3genE2ELNS1_11target_archE906ELNS1_3gpuE6ELNS1_3repE0EEENS1_30default_config_static_selectorELNS0_4arch9wavefront6targetE1EEEvT1_,comdat
	.protected	_ZN7rocprim17ROCPRIM_400000_NS6detail17trampoline_kernelINS0_14default_configENS1_25transform_config_selectorIiLb0EEEZNS1_14transform_implILb0ES3_S5_NS0_18transform_iteratorINS0_17counting_iteratorImlEEZNS1_24adjacent_difference_implIS3_Lb1ELb0EPiSB_N6thrust23THRUST_200600_302600_NS4plusIiEEEE10hipError_tPvRmT2_T3_mT4_P12ihipStream_tbEUlmE_iEESB_NS0_8identityIvEEEESG_SJ_SK_mSL_SN_bEUlT_E_NS1_11comp_targetILNS1_3genE2ELNS1_11target_archE906ELNS1_3gpuE6ELNS1_3repE0EEENS1_30default_config_static_selectorELNS0_4arch9wavefront6targetE1EEEvT1_ ; -- Begin function _ZN7rocprim17ROCPRIM_400000_NS6detail17trampoline_kernelINS0_14default_configENS1_25transform_config_selectorIiLb0EEEZNS1_14transform_implILb0ES3_S5_NS0_18transform_iteratorINS0_17counting_iteratorImlEEZNS1_24adjacent_difference_implIS3_Lb1ELb0EPiSB_N6thrust23THRUST_200600_302600_NS4plusIiEEEE10hipError_tPvRmT2_T3_mT4_P12ihipStream_tbEUlmE_iEESB_NS0_8identityIvEEEESG_SJ_SK_mSL_SN_bEUlT_E_NS1_11comp_targetILNS1_3genE2ELNS1_11target_archE906ELNS1_3gpuE6ELNS1_3repE0EEENS1_30default_config_static_selectorELNS0_4arch9wavefront6targetE1EEEvT1_
	.globl	_ZN7rocprim17ROCPRIM_400000_NS6detail17trampoline_kernelINS0_14default_configENS1_25transform_config_selectorIiLb0EEEZNS1_14transform_implILb0ES3_S5_NS0_18transform_iteratorINS0_17counting_iteratorImlEEZNS1_24adjacent_difference_implIS3_Lb1ELb0EPiSB_N6thrust23THRUST_200600_302600_NS4plusIiEEEE10hipError_tPvRmT2_T3_mT4_P12ihipStream_tbEUlmE_iEESB_NS0_8identityIvEEEESG_SJ_SK_mSL_SN_bEUlT_E_NS1_11comp_targetILNS1_3genE2ELNS1_11target_archE906ELNS1_3gpuE6ELNS1_3repE0EEENS1_30default_config_static_selectorELNS0_4arch9wavefront6targetE1EEEvT1_
	.p2align	8
	.type	_ZN7rocprim17ROCPRIM_400000_NS6detail17trampoline_kernelINS0_14default_configENS1_25transform_config_selectorIiLb0EEEZNS1_14transform_implILb0ES3_S5_NS0_18transform_iteratorINS0_17counting_iteratorImlEEZNS1_24adjacent_difference_implIS3_Lb1ELb0EPiSB_N6thrust23THRUST_200600_302600_NS4plusIiEEEE10hipError_tPvRmT2_T3_mT4_P12ihipStream_tbEUlmE_iEESB_NS0_8identityIvEEEESG_SJ_SK_mSL_SN_bEUlT_E_NS1_11comp_targetILNS1_3genE2ELNS1_11target_archE906ELNS1_3gpuE6ELNS1_3repE0EEENS1_30default_config_static_selectorELNS0_4arch9wavefront6targetE1EEEvT1_,@function
_ZN7rocprim17ROCPRIM_400000_NS6detail17trampoline_kernelINS0_14default_configENS1_25transform_config_selectorIiLb0EEEZNS1_14transform_implILb0ES3_S5_NS0_18transform_iteratorINS0_17counting_iteratorImlEEZNS1_24adjacent_difference_implIS3_Lb1ELb0EPiSB_N6thrust23THRUST_200600_302600_NS4plusIiEEEE10hipError_tPvRmT2_T3_mT4_P12ihipStream_tbEUlmE_iEESB_NS0_8identityIvEEEESG_SJ_SK_mSL_SN_bEUlT_E_NS1_11comp_targetILNS1_3genE2ELNS1_11target_archE906ELNS1_3gpuE6ELNS1_3repE0EEENS1_30default_config_static_selectorELNS0_4arch9wavefront6targetE1EEEvT1_: ; @_ZN7rocprim17ROCPRIM_400000_NS6detail17trampoline_kernelINS0_14default_configENS1_25transform_config_selectorIiLb0EEEZNS1_14transform_implILb0ES3_S5_NS0_18transform_iteratorINS0_17counting_iteratorImlEEZNS1_24adjacent_difference_implIS3_Lb1ELb0EPiSB_N6thrust23THRUST_200600_302600_NS4plusIiEEEE10hipError_tPvRmT2_T3_mT4_P12ihipStream_tbEUlmE_iEESB_NS0_8identityIvEEEESG_SJ_SK_mSL_SN_bEUlT_E_NS1_11comp_targetILNS1_3genE2ELNS1_11target_archE906ELNS1_3gpuE6ELNS1_3repE0EEENS1_30default_config_static_selectorELNS0_4arch9wavefront6targetE1EEEvT1_
; %bb.0:
	.section	.rodata,"a",@progbits
	.p2align	6, 0x0
	.amdhsa_kernel _ZN7rocprim17ROCPRIM_400000_NS6detail17trampoline_kernelINS0_14default_configENS1_25transform_config_selectorIiLb0EEEZNS1_14transform_implILb0ES3_S5_NS0_18transform_iteratorINS0_17counting_iteratorImlEEZNS1_24adjacent_difference_implIS3_Lb1ELb0EPiSB_N6thrust23THRUST_200600_302600_NS4plusIiEEEE10hipError_tPvRmT2_T3_mT4_P12ihipStream_tbEUlmE_iEESB_NS0_8identityIvEEEESG_SJ_SK_mSL_SN_bEUlT_E_NS1_11comp_targetILNS1_3genE2ELNS1_11target_archE906ELNS1_3gpuE6ELNS1_3repE0EEENS1_30default_config_static_selectorELNS0_4arch9wavefront6targetE1EEEvT1_
		.amdhsa_group_segment_fixed_size 0
		.amdhsa_private_segment_fixed_size 0
		.amdhsa_kernarg_size 56
		.amdhsa_user_sgpr_count 6
		.amdhsa_user_sgpr_private_segment_buffer 1
		.amdhsa_user_sgpr_dispatch_ptr 0
		.amdhsa_user_sgpr_queue_ptr 0
		.amdhsa_user_sgpr_kernarg_segment_ptr 1
		.amdhsa_user_sgpr_dispatch_id 0
		.amdhsa_user_sgpr_flat_scratch_init 0
		.amdhsa_user_sgpr_kernarg_preload_length 0
		.amdhsa_user_sgpr_kernarg_preload_offset 0
		.amdhsa_user_sgpr_private_segment_size 0
		.amdhsa_uses_dynamic_stack 0
		.amdhsa_system_sgpr_private_segment_wavefront_offset 0
		.amdhsa_system_sgpr_workgroup_id_x 1
		.amdhsa_system_sgpr_workgroup_id_y 0
		.amdhsa_system_sgpr_workgroup_id_z 0
		.amdhsa_system_sgpr_workgroup_info 0
		.amdhsa_system_vgpr_workitem_id 0
		.amdhsa_next_free_vgpr 1
		.amdhsa_next_free_sgpr 0
		.amdhsa_accum_offset 4
		.amdhsa_reserve_vcc 0
		.amdhsa_reserve_flat_scratch 0
		.amdhsa_float_round_mode_32 0
		.amdhsa_float_round_mode_16_64 0
		.amdhsa_float_denorm_mode_32 3
		.amdhsa_float_denorm_mode_16_64 3
		.amdhsa_dx10_clamp 1
		.amdhsa_ieee_mode 1
		.amdhsa_fp16_overflow 0
		.amdhsa_tg_split 0
		.amdhsa_exception_fp_ieee_invalid_op 0
		.amdhsa_exception_fp_denorm_src 0
		.amdhsa_exception_fp_ieee_div_zero 0
		.amdhsa_exception_fp_ieee_overflow 0
		.amdhsa_exception_fp_ieee_underflow 0
		.amdhsa_exception_fp_ieee_inexact 0
		.amdhsa_exception_int_div_zero 0
	.end_amdhsa_kernel
	.section	.text._ZN7rocprim17ROCPRIM_400000_NS6detail17trampoline_kernelINS0_14default_configENS1_25transform_config_selectorIiLb0EEEZNS1_14transform_implILb0ES3_S5_NS0_18transform_iteratorINS0_17counting_iteratorImlEEZNS1_24adjacent_difference_implIS3_Lb1ELb0EPiSB_N6thrust23THRUST_200600_302600_NS4plusIiEEEE10hipError_tPvRmT2_T3_mT4_P12ihipStream_tbEUlmE_iEESB_NS0_8identityIvEEEESG_SJ_SK_mSL_SN_bEUlT_E_NS1_11comp_targetILNS1_3genE2ELNS1_11target_archE906ELNS1_3gpuE6ELNS1_3repE0EEENS1_30default_config_static_selectorELNS0_4arch9wavefront6targetE1EEEvT1_,"axG",@progbits,_ZN7rocprim17ROCPRIM_400000_NS6detail17trampoline_kernelINS0_14default_configENS1_25transform_config_selectorIiLb0EEEZNS1_14transform_implILb0ES3_S5_NS0_18transform_iteratorINS0_17counting_iteratorImlEEZNS1_24adjacent_difference_implIS3_Lb1ELb0EPiSB_N6thrust23THRUST_200600_302600_NS4plusIiEEEE10hipError_tPvRmT2_T3_mT4_P12ihipStream_tbEUlmE_iEESB_NS0_8identityIvEEEESG_SJ_SK_mSL_SN_bEUlT_E_NS1_11comp_targetILNS1_3genE2ELNS1_11target_archE906ELNS1_3gpuE6ELNS1_3repE0EEENS1_30default_config_static_selectorELNS0_4arch9wavefront6targetE1EEEvT1_,comdat
.Lfunc_end139:
	.size	_ZN7rocprim17ROCPRIM_400000_NS6detail17trampoline_kernelINS0_14default_configENS1_25transform_config_selectorIiLb0EEEZNS1_14transform_implILb0ES3_S5_NS0_18transform_iteratorINS0_17counting_iteratorImlEEZNS1_24adjacent_difference_implIS3_Lb1ELb0EPiSB_N6thrust23THRUST_200600_302600_NS4plusIiEEEE10hipError_tPvRmT2_T3_mT4_P12ihipStream_tbEUlmE_iEESB_NS0_8identityIvEEEESG_SJ_SK_mSL_SN_bEUlT_E_NS1_11comp_targetILNS1_3genE2ELNS1_11target_archE906ELNS1_3gpuE6ELNS1_3repE0EEENS1_30default_config_static_selectorELNS0_4arch9wavefront6targetE1EEEvT1_, .Lfunc_end139-_ZN7rocprim17ROCPRIM_400000_NS6detail17trampoline_kernelINS0_14default_configENS1_25transform_config_selectorIiLb0EEEZNS1_14transform_implILb0ES3_S5_NS0_18transform_iteratorINS0_17counting_iteratorImlEEZNS1_24adjacent_difference_implIS3_Lb1ELb0EPiSB_N6thrust23THRUST_200600_302600_NS4plusIiEEEE10hipError_tPvRmT2_T3_mT4_P12ihipStream_tbEUlmE_iEESB_NS0_8identityIvEEEESG_SJ_SK_mSL_SN_bEUlT_E_NS1_11comp_targetILNS1_3genE2ELNS1_11target_archE906ELNS1_3gpuE6ELNS1_3repE0EEENS1_30default_config_static_selectorELNS0_4arch9wavefront6targetE1EEEvT1_
                                        ; -- End function
	.section	.AMDGPU.csdata,"",@progbits
; Kernel info:
; codeLenInByte = 0
; NumSgprs: 4
; NumVgprs: 0
; NumAgprs: 0
; TotalNumVgprs: 0
; ScratchSize: 0
; MemoryBound: 0
; FloatMode: 240
; IeeeMode: 1
; LDSByteSize: 0 bytes/workgroup (compile time only)
; SGPRBlocks: 0
; VGPRBlocks: 0
; NumSGPRsForWavesPerEU: 4
; NumVGPRsForWavesPerEU: 1
; AccumOffset: 4
; Occupancy: 8
; WaveLimiterHint : 0
; COMPUTE_PGM_RSRC2:SCRATCH_EN: 0
; COMPUTE_PGM_RSRC2:USER_SGPR: 6
; COMPUTE_PGM_RSRC2:TRAP_HANDLER: 0
; COMPUTE_PGM_RSRC2:TGID_X_EN: 1
; COMPUTE_PGM_RSRC2:TGID_Y_EN: 0
; COMPUTE_PGM_RSRC2:TGID_Z_EN: 0
; COMPUTE_PGM_RSRC2:TIDIG_COMP_CNT: 0
; COMPUTE_PGM_RSRC3_GFX90A:ACCUM_OFFSET: 0
; COMPUTE_PGM_RSRC3_GFX90A:TG_SPLIT: 0
	.section	.text._ZN7rocprim17ROCPRIM_400000_NS6detail17trampoline_kernelINS0_14default_configENS1_25transform_config_selectorIiLb0EEEZNS1_14transform_implILb0ES3_S5_NS0_18transform_iteratorINS0_17counting_iteratorImlEEZNS1_24adjacent_difference_implIS3_Lb1ELb0EPiSB_N6thrust23THRUST_200600_302600_NS4plusIiEEEE10hipError_tPvRmT2_T3_mT4_P12ihipStream_tbEUlmE_iEESB_NS0_8identityIvEEEESG_SJ_SK_mSL_SN_bEUlT_E_NS1_11comp_targetILNS1_3genE10ELNS1_11target_archE1201ELNS1_3gpuE5ELNS1_3repE0EEENS1_30default_config_static_selectorELNS0_4arch9wavefront6targetE1EEEvT1_,"axG",@progbits,_ZN7rocprim17ROCPRIM_400000_NS6detail17trampoline_kernelINS0_14default_configENS1_25transform_config_selectorIiLb0EEEZNS1_14transform_implILb0ES3_S5_NS0_18transform_iteratorINS0_17counting_iteratorImlEEZNS1_24adjacent_difference_implIS3_Lb1ELb0EPiSB_N6thrust23THRUST_200600_302600_NS4plusIiEEEE10hipError_tPvRmT2_T3_mT4_P12ihipStream_tbEUlmE_iEESB_NS0_8identityIvEEEESG_SJ_SK_mSL_SN_bEUlT_E_NS1_11comp_targetILNS1_3genE10ELNS1_11target_archE1201ELNS1_3gpuE5ELNS1_3repE0EEENS1_30default_config_static_selectorELNS0_4arch9wavefront6targetE1EEEvT1_,comdat
	.protected	_ZN7rocprim17ROCPRIM_400000_NS6detail17trampoline_kernelINS0_14default_configENS1_25transform_config_selectorIiLb0EEEZNS1_14transform_implILb0ES3_S5_NS0_18transform_iteratorINS0_17counting_iteratorImlEEZNS1_24adjacent_difference_implIS3_Lb1ELb0EPiSB_N6thrust23THRUST_200600_302600_NS4plusIiEEEE10hipError_tPvRmT2_T3_mT4_P12ihipStream_tbEUlmE_iEESB_NS0_8identityIvEEEESG_SJ_SK_mSL_SN_bEUlT_E_NS1_11comp_targetILNS1_3genE10ELNS1_11target_archE1201ELNS1_3gpuE5ELNS1_3repE0EEENS1_30default_config_static_selectorELNS0_4arch9wavefront6targetE1EEEvT1_ ; -- Begin function _ZN7rocprim17ROCPRIM_400000_NS6detail17trampoline_kernelINS0_14default_configENS1_25transform_config_selectorIiLb0EEEZNS1_14transform_implILb0ES3_S5_NS0_18transform_iteratorINS0_17counting_iteratorImlEEZNS1_24adjacent_difference_implIS3_Lb1ELb0EPiSB_N6thrust23THRUST_200600_302600_NS4plusIiEEEE10hipError_tPvRmT2_T3_mT4_P12ihipStream_tbEUlmE_iEESB_NS0_8identityIvEEEESG_SJ_SK_mSL_SN_bEUlT_E_NS1_11comp_targetILNS1_3genE10ELNS1_11target_archE1201ELNS1_3gpuE5ELNS1_3repE0EEENS1_30default_config_static_selectorELNS0_4arch9wavefront6targetE1EEEvT1_
	.globl	_ZN7rocprim17ROCPRIM_400000_NS6detail17trampoline_kernelINS0_14default_configENS1_25transform_config_selectorIiLb0EEEZNS1_14transform_implILb0ES3_S5_NS0_18transform_iteratorINS0_17counting_iteratorImlEEZNS1_24adjacent_difference_implIS3_Lb1ELb0EPiSB_N6thrust23THRUST_200600_302600_NS4plusIiEEEE10hipError_tPvRmT2_T3_mT4_P12ihipStream_tbEUlmE_iEESB_NS0_8identityIvEEEESG_SJ_SK_mSL_SN_bEUlT_E_NS1_11comp_targetILNS1_3genE10ELNS1_11target_archE1201ELNS1_3gpuE5ELNS1_3repE0EEENS1_30default_config_static_selectorELNS0_4arch9wavefront6targetE1EEEvT1_
	.p2align	8
	.type	_ZN7rocprim17ROCPRIM_400000_NS6detail17trampoline_kernelINS0_14default_configENS1_25transform_config_selectorIiLb0EEEZNS1_14transform_implILb0ES3_S5_NS0_18transform_iteratorINS0_17counting_iteratorImlEEZNS1_24adjacent_difference_implIS3_Lb1ELb0EPiSB_N6thrust23THRUST_200600_302600_NS4plusIiEEEE10hipError_tPvRmT2_T3_mT4_P12ihipStream_tbEUlmE_iEESB_NS0_8identityIvEEEESG_SJ_SK_mSL_SN_bEUlT_E_NS1_11comp_targetILNS1_3genE10ELNS1_11target_archE1201ELNS1_3gpuE5ELNS1_3repE0EEENS1_30default_config_static_selectorELNS0_4arch9wavefront6targetE1EEEvT1_,@function
_ZN7rocprim17ROCPRIM_400000_NS6detail17trampoline_kernelINS0_14default_configENS1_25transform_config_selectorIiLb0EEEZNS1_14transform_implILb0ES3_S5_NS0_18transform_iteratorINS0_17counting_iteratorImlEEZNS1_24adjacent_difference_implIS3_Lb1ELb0EPiSB_N6thrust23THRUST_200600_302600_NS4plusIiEEEE10hipError_tPvRmT2_T3_mT4_P12ihipStream_tbEUlmE_iEESB_NS0_8identityIvEEEESG_SJ_SK_mSL_SN_bEUlT_E_NS1_11comp_targetILNS1_3genE10ELNS1_11target_archE1201ELNS1_3gpuE5ELNS1_3repE0EEENS1_30default_config_static_selectorELNS0_4arch9wavefront6targetE1EEEvT1_: ; @_ZN7rocprim17ROCPRIM_400000_NS6detail17trampoline_kernelINS0_14default_configENS1_25transform_config_selectorIiLb0EEEZNS1_14transform_implILb0ES3_S5_NS0_18transform_iteratorINS0_17counting_iteratorImlEEZNS1_24adjacent_difference_implIS3_Lb1ELb0EPiSB_N6thrust23THRUST_200600_302600_NS4plusIiEEEE10hipError_tPvRmT2_T3_mT4_P12ihipStream_tbEUlmE_iEESB_NS0_8identityIvEEEESG_SJ_SK_mSL_SN_bEUlT_E_NS1_11comp_targetILNS1_3genE10ELNS1_11target_archE1201ELNS1_3gpuE5ELNS1_3repE0EEENS1_30default_config_static_selectorELNS0_4arch9wavefront6targetE1EEEvT1_
; %bb.0:
	.section	.rodata,"a",@progbits
	.p2align	6, 0x0
	.amdhsa_kernel _ZN7rocprim17ROCPRIM_400000_NS6detail17trampoline_kernelINS0_14default_configENS1_25transform_config_selectorIiLb0EEEZNS1_14transform_implILb0ES3_S5_NS0_18transform_iteratorINS0_17counting_iteratorImlEEZNS1_24adjacent_difference_implIS3_Lb1ELb0EPiSB_N6thrust23THRUST_200600_302600_NS4plusIiEEEE10hipError_tPvRmT2_T3_mT4_P12ihipStream_tbEUlmE_iEESB_NS0_8identityIvEEEESG_SJ_SK_mSL_SN_bEUlT_E_NS1_11comp_targetILNS1_3genE10ELNS1_11target_archE1201ELNS1_3gpuE5ELNS1_3repE0EEENS1_30default_config_static_selectorELNS0_4arch9wavefront6targetE1EEEvT1_
		.amdhsa_group_segment_fixed_size 0
		.amdhsa_private_segment_fixed_size 0
		.amdhsa_kernarg_size 56
		.amdhsa_user_sgpr_count 6
		.amdhsa_user_sgpr_private_segment_buffer 1
		.amdhsa_user_sgpr_dispatch_ptr 0
		.amdhsa_user_sgpr_queue_ptr 0
		.amdhsa_user_sgpr_kernarg_segment_ptr 1
		.amdhsa_user_sgpr_dispatch_id 0
		.amdhsa_user_sgpr_flat_scratch_init 0
		.amdhsa_user_sgpr_kernarg_preload_length 0
		.amdhsa_user_sgpr_kernarg_preload_offset 0
		.amdhsa_user_sgpr_private_segment_size 0
		.amdhsa_uses_dynamic_stack 0
		.amdhsa_system_sgpr_private_segment_wavefront_offset 0
		.amdhsa_system_sgpr_workgroup_id_x 1
		.amdhsa_system_sgpr_workgroup_id_y 0
		.amdhsa_system_sgpr_workgroup_id_z 0
		.amdhsa_system_sgpr_workgroup_info 0
		.amdhsa_system_vgpr_workitem_id 0
		.amdhsa_next_free_vgpr 1
		.amdhsa_next_free_sgpr 0
		.amdhsa_accum_offset 4
		.amdhsa_reserve_vcc 0
		.amdhsa_reserve_flat_scratch 0
		.amdhsa_float_round_mode_32 0
		.amdhsa_float_round_mode_16_64 0
		.amdhsa_float_denorm_mode_32 3
		.amdhsa_float_denorm_mode_16_64 3
		.amdhsa_dx10_clamp 1
		.amdhsa_ieee_mode 1
		.amdhsa_fp16_overflow 0
		.amdhsa_tg_split 0
		.amdhsa_exception_fp_ieee_invalid_op 0
		.amdhsa_exception_fp_denorm_src 0
		.amdhsa_exception_fp_ieee_div_zero 0
		.amdhsa_exception_fp_ieee_overflow 0
		.amdhsa_exception_fp_ieee_underflow 0
		.amdhsa_exception_fp_ieee_inexact 0
		.amdhsa_exception_int_div_zero 0
	.end_amdhsa_kernel
	.section	.text._ZN7rocprim17ROCPRIM_400000_NS6detail17trampoline_kernelINS0_14default_configENS1_25transform_config_selectorIiLb0EEEZNS1_14transform_implILb0ES3_S5_NS0_18transform_iteratorINS0_17counting_iteratorImlEEZNS1_24adjacent_difference_implIS3_Lb1ELb0EPiSB_N6thrust23THRUST_200600_302600_NS4plusIiEEEE10hipError_tPvRmT2_T3_mT4_P12ihipStream_tbEUlmE_iEESB_NS0_8identityIvEEEESG_SJ_SK_mSL_SN_bEUlT_E_NS1_11comp_targetILNS1_3genE10ELNS1_11target_archE1201ELNS1_3gpuE5ELNS1_3repE0EEENS1_30default_config_static_selectorELNS0_4arch9wavefront6targetE1EEEvT1_,"axG",@progbits,_ZN7rocprim17ROCPRIM_400000_NS6detail17trampoline_kernelINS0_14default_configENS1_25transform_config_selectorIiLb0EEEZNS1_14transform_implILb0ES3_S5_NS0_18transform_iteratorINS0_17counting_iteratorImlEEZNS1_24adjacent_difference_implIS3_Lb1ELb0EPiSB_N6thrust23THRUST_200600_302600_NS4plusIiEEEE10hipError_tPvRmT2_T3_mT4_P12ihipStream_tbEUlmE_iEESB_NS0_8identityIvEEEESG_SJ_SK_mSL_SN_bEUlT_E_NS1_11comp_targetILNS1_3genE10ELNS1_11target_archE1201ELNS1_3gpuE5ELNS1_3repE0EEENS1_30default_config_static_selectorELNS0_4arch9wavefront6targetE1EEEvT1_,comdat
.Lfunc_end140:
	.size	_ZN7rocprim17ROCPRIM_400000_NS6detail17trampoline_kernelINS0_14default_configENS1_25transform_config_selectorIiLb0EEEZNS1_14transform_implILb0ES3_S5_NS0_18transform_iteratorINS0_17counting_iteratorImlEEZNS1_24adjacent_difference_implIS3_Lb1ELb0EPiSB_N6thrust23THRUST_200600_302600_NS4plusIiEEEE10hipError_tPvRmT2_T3_mT4_P12ihipStream_tbEUlmE_iEESB_NS0_8identityIvEEEESG_SJ_SK_mSL_SN_bEUlT_E_NS1_11comp_targetILNS1_3genE10ELNS1_11target_archE1201ELNS1_3gpuE5ELNS1_3repE0EEENS1_30default_config_static_selectorELNS0_4arch9wavefront6targetE1EEEvT1_, .Lfunc_end140-_ZN7rocprim17ROCPRIM_400000_NS6detail17trampoline_kernelINS0_14default_configENS1_25transform_config_selectorIiLb0EEEZNS1_14transform_implILb0ES3_S5_NS0_18transform_iteratorINS0_17counting_iteratorImlEEZNS1_24adjacent_difference_implIS3_Lb1ELb0EPiSB_N6thrust23THRUST_200600_302600_NS4plusIiEEEE10hipError_tPvRmT2_T3_mT4_P12ihipStream_tbEUlmE_iEESB_NS0_8identityIvEEEESG_SJ_SK_mSL_SN_bEUlT_E_NS1_11comp_targetILNS1_3genE10ELNS1_11target_archE1201ELNS1_3gpuE5ELNS1_3repE0EEENS1_30default_config_static_selectorELNS0_4arch9wavefront6targetE1EEEvT1_
                                        ; -- End function
	.section	.AMDGPU.csdata,"",@progbits
; Kernel info:
; codeLenInByte = 0
; NumSgprs: 4
; NumVgprs: 0
; NumAgprs: 0
; TotalNumVgprs: 0
; ScratchSize: 0
; MemoryBound: 0
; FloatMode: 240
; IeeeMode: 1
; LDSByteSize: 0 bytes/workgroup (compile time only)
; SGPRBlocks: 0
; VGPRBlocks: 0
; NumSGPRsForWavesPerEU: 4
; NumVGPRsForWavesPerEU: 1
; AccumOffset: 4
; Occupancy: 8
; WaveLimiterHint : 0
; COMPUTE_PGM_RSRC2:SCRATCH_EN: 0
; COMPUTE_PGM_RSRC2:USER_SGPR: 6
; COMPUTE_PGM_RSRC2:TRAP_HANDLER: 0
; COMPUTE_PGM_RSRC2:TGID_X_EN: 1
; COMPUTE_PGM_RSRC2:TGID_Y_EN: 0
; COMPUTE_PGM_RSRC2:TGID_Z_EN: 0
; COMPUTE_PGM_RSRC2:TIDIG_COMP_CNT: 0
; COMPUTE_PGM_RSRC3_GFX90A:ACCUM_OFFSET: 0
; COMPUTE_PGM_RSRC3_GFX90A:TG_SPLIT: 0
	.section	.text._ZN7rocprim17ROCPRIM_400000_NS6detail17trampoline_kernelINS0_14default_configENS1_25transform_config_selectorIiLb0EEEZNS1_14transform_implILb0ES3_S5_NS0_18transform_iteratorINS0_17counting_iteratorImlEEZNS1_24adjacent_difference_implIS3_Lb1ELb0EPiSB_N6thrust23THRUST_200600_302600_NS4plusIiEEEE10hipError_tPvRmT2_T3_mT4_P12ihipStream_tbEUlmE_iEESB_NS0_8identityIvEEEESG_SJ_SK_mSL_SN_bEUlT_E_NS1_11comp_targetILNS1_3genE10ELNS1_11target_archE1200ELNS1_3gpuE4ELNS1_3repE0EEENS1_30default_config_static_selectorELNS0_4arch9wavefront6targetE1EEEvT1_,"axG",@progbits,_ZN7rocprim17ROCPRIM_400000_NS6detail17trampoline_kernelINS0_14default_configENS1_25transform_config_selectorIiLb0EEEZNS1_14transform_implILb0ES3_S5_NS0_18transform_iteratorINS0_17counting_iteratorImlEEZNS1_24adjacent_difference_implIS3_Lb1ELb0EPiSB_N6thrust23THRUST_200600_302600_NS4plusIiEEEE10hipError_tPvRmT2_T3_mT4_P12ihipStream_tbEUlmE_iEESB_NS0_8identityIvEEEESG_SJ_SK_mSL_SN_bEUlT_E_NS1_11comp_targetILNS1_3genE10ELNS1_11target_archE1200ELNS1_3gpuE4ELNS1_3repE0EEENS1_30default_config_static_selectorELNS0_4arch9wavefront6targetE1EEEvT1_,comdat
	.protected	_ZN7rocprim17ROCPRIM_400000_NS6detail17trampoline_kernelINS0_14default_configENS1_25transform_config_selectorIiLb0EEEZNS1_14transform_implILb0ES3_S5_NS0_18transform_iteratorINS0_17counting_iteratorImlEEZNS1_24adjacent_difference_implIS3_Lb1ELb0EPiSB_N6thrust23THRUST_200600_302600_NS4plusIiEEEE10hipError_tPvRmT2_T3_mT4_P12ihipStream_tbEUlmE_iEESB_NS0_8identityIvEEEESG_SJ_SK_mSL_SN_bEUlT_E_NS1_11comp_targetILNS1_3genE10ELNS1_11target_archE1200ELNS1_3gpuE4ELNS1_3repE0EEENS1_30default_config_static_selectorELNS0_4arch9wavefront6targetE1EEEvT1_ ; -- Begin function _ZN7rocprim17ROCPRIM_400000_NS6detail17trampoline_kernelINS0_14default_configENS1_25transform_config_selectorIiLb0EEEZNS1_14transform_implILb0ES3_S5_NS0_18transform_iteratorINS0_17counting_iteratorImlEEZNS1_24adjacent_difference_implIS3_Lb1ELb0EPiSB_N6thrust23THRUST_200600_302600_NS4plusIiEEEE10hipError_tPvRmT2_T3_mT4_P12ihipStream_tbEUlmE_iEESB_NS0_8identityIvEEEESG_SJ_SK_mSL_SN_bEUlT_E_NS1_11comp_targetILNS1_3genE10ELNS1_11target_archE1200ELNS1_3gpuE4ELNS1_3repE0EEENS1_30default_config_static_selectorELNS0_4arch9wavefront6targetE1EEEvT1_
	.globl	_ZN7rocprim17ROCPRIM_400000_NS6detail17trampoline_kernelINS0_14default_configENS1_25transform_config_selectorIiLb0EEEZNS1_14transform_implILb0ES3_S5_NS0_18transform_iteratorINS0_17counting_iteratorImlEEZNS1_24adjacent_difference_implIS3_Lb1ELb0EPiSB_N6thrust23THRUST_200600_302600_NS4plusIiEEEE10hipError_tPvRmT2_T3_mT4_P12ihipStream_tbEUlmE_iEESB_NS0_8identityIvEEEESG_SJ_SK_mSL_SN_bEUlT_E_NS1_11comp_targetILNS1_3genE10ELNS1_11target_archE1200ELNS1_3gpuE4ELNS1_3repE0EEENS1_30default_config_static_selectorELNS0_4arch9wavefront6targetE1EEEvT1_
	.p2align	8
	.type	_ZN7rocprim17ROCPRIM_400000_NS6detail17trampoline_kernelINS0_14default_configENS1_25transform_config_selectorIiLb0EEEZNS1_14transform_implILb0ES3_S5_NS0_18transform_iteratorINS0_17counting_iteratorImlEEZNS1_24adjacent_difference_implIS3_Lb1ELb0EPiSB_N6thrust23THRUST_200600_302600_NS4plusIiEEEE10hipError_tPvRmT2_T3_mT4_P12ihipStream_tbEUlmE_iEESB_NS0_8identityIvEEEESG_SJ_SK_mSL_SN_bEUlT_E_NS1_11comp_targetILNS1_3genE10ELNS1_11target_archE1200ELNS1_3gpuE4ELNS1_3repE0EEENS1_30default_config_static_selectorELNS0_4arch9wavefront6targetE1EEEvT1_,@function
_ZN7rocprim17ROCPRIM_400000_NS6detail17trampoline_kernelINS0_14default_configENS1_25transform_config_selectorIiLb0EEEZNS1_14transform_implILb0ES3_S5_NS0_18transform_iteratorINS0_17counting_iteratorImlEEZNS1_24adjacent_difference_implIS3_Lb1ELb0EPiSB_N6thrust23THRUST_200600_302600_NS4plusIiEEEE10hipError_tPvRmT2_T3_mT4_P12ihipStream_tbEUlmE_iEESB_NS0_8identityIvEEEESG_SJ_SK_mSL_SN_bEUlT_E_NS1_11comp_targetILNS1_3genE10ELNS1_11target_archE1200ELNS1_3gpuE4ELNS1_3repE0EEENS1_30default_config_static_selectorELNS0_4arch9wavefront6targetE1EEEvT1_: ; @_ZN7rocprim17ROCPRIM_400000_NS6detail17trampoline_kernelINS0_14default_configENS1_25transform_config_selectorIiLb0EEEZNS1_14transform_implILb0ES3_S5_NS0_18transform_iteratorINS0_17counting_iteratorImlEEZNS1_24adjacent_difference_implIS3_Lb1ELb0EPiSB_N6thrust23THRUST_200600_302600_NS4plusIiEEEE10hipError_tPvRmT2_T3_mT4_P12ihipStream_tbEUlmE_iEESB_NS0_8identityIvEEEESG_SJ_SK_mSL_SN_bEUlT_E_NS1_11comp_targetILNS1_3genE10ELNS1_11target_archE1200ELNS1_3gpuE4ELNS1_3repE0EEENS1_30default_config_static_selectorELNS0_4arch9wavefront6targetE1EEEvT1_
; %bb.0:
	.section	.rodata,"a",@progbits
	.p2align	6, 0x0
	.amdhsa_kernel _ZN7rocprim17ROCPRIM_400000_NS6detail17trampoline_kernelINS0_14default_configENS1_25transform_config_selectorIiLb0EEEZNS1_14transform_implILb0ES3_S5_NS0_18transform_iteratorINS0_17counting_iteratorImlEEZNS1_24adjacent_difference_implIS3_Lb1ELb0EPiSB_N6thrust23THRUST_200600_302600_NS4plusIiEEEE10hipError_tPvRmT2_T3_mT4_P12ihipStream_tbEUlmE_iEESB_NS0_8identityIvEEEESG_SJ_SK_mSL_SN_bEUlT_E_NS1_11comp_targetILNS1_3genE10ELNS1_11target_archE1200ELNS1_3gpuE4ELNS1_3repE0EEENS1_30default_config_static_selectorELNS0_4arch9wavefront6targetE1EEEvT1_
		.amdhsa_group_segment_fixed_size 0
		.amdhsa_private_segment_fixed_size 0
		.amdhsa_kernarg_size 56
		.amdhsa_user_sgpr_count 6
		.amdhsa_user_sgpr_private_segment_buffer 1
		.amdhsa_user_sgpr_dispatch_ptr 0
		.amdhsa_user_sgpr_queue_ptr 0
		.amdhsa_user_sgpr_kernarg_segment_ptr 1
		.amdhsa_user_sgpr_dispatch_id 0
		.amdhsa_user_sgpr_flat_scratch_init 0
		.amdhsa_user_sgpr_kernarg_preload_length 0
		.amdhsa_user_sgpr_kernarg_preload_offset 0
		.amdhsa_user_sgpr_private_segment_size 0
		.amdhsa_uses_dynamic_stack 0
		.amdhsa_system_sgpr_private_segment_wavefront_offset 0
		.amdhsa_system_sgpr_workgroup_id_x 1
		.amdhsa_system_sgpr_workgroup_id_y 0
		.amdhsa_system_sgpr_workgroup_id_z 0
		.amdhsa_system_sgpr_workgroup_info 0
		.amdhsa_system_vgpr_workitem_id 0
		.amdhsa_next_free_vgpr 1
		.amdhsa_next_free_sgpr 0
		.amdhsa_accum_offset 4
		.amdhsa_reserve_vcc 0
		.amdhsa_reserve_flat_scratch 0
		.amdhsa_float_round_mode_32 0
		.amdhsa_float_round_mode_16_64 0
		.amdhsa_float_denorm_mode_32 3
		.amdhsa_float_denorm_mode_16_64 3
		.amdhsa_dx10_clamp 1
		.amdhsa_ieee_mode 1
		.amdhsa_fp16_overflow 0
		.amdhsa_tg_split 0
		.amdhsa_exception_fp_ieee_invalid_op 0
		.amdhsa_exception_fp_denorm_src 0
		.amdhsa_exception_fp_ieee_div_zero 0
		.amdhsa_exception_fp_ieee_overflow 0
		.amdhsa_exception_fp_ieee_underflow 0
		.amdhsa_exception_fp_ieee_inexact 0
		.amdhsa_exception_int_div_zero 0
	.end_amdhsa_kernel
	.section	.text._ZN7rocprim17ROCPRIM_400000_NS6detail17trampoline_kernelINS0_14default_configENS1_25transform_config_selectorIiLb0EEEZNS1_14transform_implILb0ES3_S5_NS0_18transform_iteratorINS0_17counting_iteratorImlEEZNS1_24adjacent_difference_implIS3_Lb1ELb0EPiSB_N6thrust23THRUST_200600_302600_NS4plusIiEEEE10hipError_tPvRmT2_T3_mT4_P12ihipStream_tbEUlmE_iEESB_NS0_8identityIvEEEESG_SJ_SK_mSL_SN_bEUlT_E_NS1_11comp_targetILNS1_3genE10ELNS1_11target_archE1200ELNS1_3gpuE4ELNS1_3repE0EEENS1_30default_config_static_selectorELNS0_4arch9wavefront6targetE1EEEvT1_,"axG",@progbits,_ZN7rocprim17ROCPRIM_400000_NS6detail17trampoline_kernelINS0_14default_configENS1_25transform_config_selectorIiLb0EEEZNS1_14transform_implILb0ES3_S5_NS0_18transform_iteratorINS0_17counting_iteratorImlEEZNS1_24adjacent_difference_implIS3_Lb1ELb0EPiSB_N6thrust23THRUST_200600_302600_NS4plusIiEEEE10hipError_tPvRmT2_T3_mT4_P12ihipStream_tbEUlmE_iEESB_NS0_8identityIvEEEESG_SJ_SK_mSL_SN_bEUlT_E_NS1_11comp_targetILNS1_3genE10ELNS1_11target_archE1200ELNS1_3gpuE4ELNS1_3repE0EEENS1_30default_config_static_selectorELNS0_4arch9wavefront6targetE1EEEvT1_,comdat
.Lfunc_end141:
	.size	_ZN7rocprim17ROCPRIM_400000_NS6detail17trampoline_kernelINS0_14default_configENS1_25transform_config_selectorIiLb0EEEZNS1_14transform_implILb0ES3_S5_NS0_18transform_iteratorINS0_17counting_iteratorImlEEZNS1_24adjacent_difference_implIS3_Lb1ELb0EPiSB_N6thrust23THRUST_200600_302600_NS4plusIiEEEE10hipError_tPvRmT2_T3_mT4_P12ihipStream_tbEUlmE_iEESB_NS0_8identityIvEEEESG_SJ_SK_mSL_SN_bEUlT_E_NS1_11comp_targetILNS1_3genE10ELNS1_11target_archE1200ELNS1_3gpuE4ELNS1_3repE0EEENS1_30default_config_static_selectorELNS0_4arch9wavefront6targetE1EEEvT1_, .Lfunc_end141-_ZN7rocprim17ROCPRIM_400000_NS6detail17trampoline_kernelINS0_14default_configENS1_25transform_config_selectorIiLb0EEEZNS1_14transform_implILb0ES3_S5_NS0_18transform_iteratorINS0_17counting_iteratorImlEEZNS1_24adjacent_difference_implIS3_Lb1ELb0EPiSB_N6thrust23THRUST_200600_302600_NS4plusIiEEEE10hipError_tPvRmT2_T3_mT4_P12ihipStream_tbEUlmE_iEESB_NS0_8identityIvEEEESG_SJ_SK_mSL_SN_bEUlT_E_NS1_11comp_targetILNS1_3genE10ELNS1_11target_archE1200ELNS1_3gpuE4ELNS1_3repE0EEENS1_30default_config_static_selectorELNS0_4arch9wavefront6targetE1EEEvT1_
                                        ; -- End function
	.section	.AMDGPU.csdata,"",@progbits
; Kernel info:
; codeLenInByte = 0
; NumSgprs: 4
; NumVgprs: 0
; NumAgprs: 0
; TotalNumVgprs: 0
; ScratchSize: 0
; MemoryBound: 0
; FloatMode: 240
; IeeeMode: 1
; LDSByteSize: 0 bytes/workgroup (compile time only)
; SGPRBlocks: 0
; VGPRBlocks: 0
; NumSGPRsForWavesPerEU: 4
; NumVGPRsForWavesPerEU: 1
; AccumOffset: 4
; Occupancy: 8
; WaveLimiterHint : 0
; COMPUTE_PGM_RSRC2:SCRATCH_EN: 0
; COMPUTE_PGM_RSRC2:USER_SGPR: 6
; COMPUTE_PGM_RSRC2:TRAP_HANDLER: 0
; COMPUTE_PGM_RSRC2:TGID_X_EN: 1
; COMPUTE_PGM_RSRC2:TGID_Y_EN: 0
; COMPUTE_PGM_RSRC2:TGID_Z_EN: 0
; COMPUTE_PGM_RSRC2:TIDIG_COMP_CNT: 0
; COMPUTE_PGM_RSRC3_GFX90A:ACCUM_OFFSET: 0
; COMPUTE_PGM_RSRC3_GFX90A:TG_SPLIT: 0
	.section	.text._ZN7rocprim17ROCPRIM_400000_NS6detail17trampoline_kernelINS0_14default_configENS1_25transform_config_selectorIiLb0EEEZNS1_14transform_implILb0ES3_S5_NS0_18transform_iteratorINS0_17counting_iteratorImlEEZNS1_24adjacent_difference_implIS3_Lb1ELb0EPiSB_N6thrust23THRUST_200600_302600_NS4plusIiEEEE10hipError_tPvRmT2_T3_mT4_P12ihipStream_tbEUlmE_iEESB_NS0_8identityIvEEEESG_SJ_SK_mSL_SN_bEUlT_E_NS1_11comp_targetILNS1_3genE9ELNS1_11target_archE1100ELNS1_3gpuE3ELNS1_3repE0EEENS1_30default_config_static_selectorELNS0_4arch9wavefront6targetE1EEEvT1_,"axG",@progbits,_ZN7rocprim17ROCPRIM_400000_NS6detail17trampoline_kernelINS0_14default_configENS1_25transform_config_selectorIiLb0EEEZNS1_14transform_implILb0ES3_S5_NS0_18transform_iteratorINS0_17counting_iteratorImlEEZNS1_24adjacent_difference_implIS3_Lb1ELb0EPiSB_N6thrust23THRUST_200600_302600_NS4plusIiEEEE10hipError_tPvRmT2_T3_mT4_P12ihipStream_tbEUlmE_iEESB_NS0_8identityIvEEEESG_SJ_SK_mSL_SN_bEUlT_E_NS1_11comp_targetILNS1_3genE9ELNS1_11target_archE1100ELNS1_3gpuE3ELNS1_3repE0EEENS1_30default_config_static_selectorELNS0_4arch9wavefront6targetE1EEEvT1_,comdat
	.protected	_ZN7rocprim17ROCPRIM_400000_NS6detail17trampoline_kernelINS0_14default_configENS1_25transform_config_selectorIiLb0EEEZNS1_14transform_implILb0ES3_S5_NS0_18transform_iteratorINS0_17counting_iteratorImlEEZNS1_24adjacent_difference_implIS3_Lb1ELb0EPiSB_N6thrust23THRUST_200600_302600_NS4plusIiEEEE10hipError_tPvRmT2_T3_mT4_P12ihipStream_tbEUlmE_iEESB_NS0_8identityIvEEEESG_SJ_SK_mSL_SN_bEUlT_E_NS1_11comp_targetILNS1_3genE9ELNS1_11target_archE1100ELNS1_3gpuE3ELNS1_3repE0EEENS1_30default_config_static_selectorELNS0_4arch9wavefront6targetE1EEEvT1_ ; -- Begin function _ZN7rocprim17ROCPRIM_400000_NS6detail17trampoline_kernelINS0_14default_configENS1_25transform_config_selectorIiLb0EEEZNS1_14transform_implILb0ES3_S5_NS0_18transform_iteratorINS0_17counting_iteratorImlEEZNS1_24adjacent_difference_implIS3_Lb1ELb0EPiSB_N6thrust23THRUST_200600_302600_NS4plusIiEEEE10hipError_tPvRmT2_T3_mT4_P12ihipStream_tbEUlmE_iEESB_NS0_8identityIvEEEESG_SJ_SK_mSL_SN_bEUlT_E_NS1_11comp_targetILNS1_3genE9ELNS1_11target_archE1100ELNS1_3gpuE3ELNS1_3repE0EEENS1_30default_config_static_selectorELNS0_4arch9wavefront6targetE1EEEvT1_
	.globl	_ZN7rocprim17ROCPRIM_400000_NS6detail17trampoline_kernelINS0_14default_configENS1_25transform_config_selectorIiLb0EEEZNS1_14transform_implILb0ES3_S5_NS0_18transform_iteratorINS0_17counting_iteratorImlEEZNS1_24adjacent_difference_implIS3_Lb1ELb0EPiSB_N6thrust23THRUST_200600_302600_NS4plusIiEEEE10hipError_tPvRmT2_T3_mT4_P12ihipStream_tbEUlmE_iEESB_NS0_8identityIvEEEESG_SJ_SK_mSL_SN_bEUlT_E_NS1_11comp_targetILNS1_3genE9ELNS1_11target_archE1100ELNS1_3gpuE3ELNS1_3repE0EEENS1_30default_config_static_selectorELNS0_4arch9wavefront6targetE1EEEvT1_
	.p2align	8
	.type	_ZN7rocprim17ROCPRIM_400000_NS6detail17trampoline_kernelINS0_14default_configENS1_25transform_config_selectorIiLb0EEEZNS1_14transform_implILb0ES3_S5_NS0_18transform_iteratorINS0_17counting_iteratorImlEEZNS1_24adjacent_difference_implIS3_Lb1ELb0EPiSB_N6thrust23THRUST_200600_302600_NS4plusIiEEEE10hipError_tPvRmT2_T3_mT4_P12ihipStream_tbEUlmE_iEESB_NS0_8identityIvEEEESG_SJ_SK_mSL_SN_bEUlT_E_NS1_11comp_targetILNS1_3genE9ELNS1_11target_archE1100ELNS1_3gpuE3ELNS1_3repE0EEENS1_30default_config_static_selectorELNS0_4arch9wavefront6targetE1EEEvT1_,@function
_ZN7rocprim17ROCPRIM_400000_NS6detail17trampoline_kernelINS0_14default_configENS1_25transform_config_selectorIiLb0EEEZNS1_14transform_implILb0ES3_S5_NS0_18transform_iteratorINS0_17counting_iteratorImlEEZNS1_24adjacent_difference_implIS3_Lb1ELb0EPiSB_N6thrust23THRUST_200600_302600_NS4plusIiEEEE10hipError_tPvRmT2_T3_mT4_P12ihipStream_tbEUlmE_iEESB_NS0_8identityIvEEEESG_SJ_SK_mSL_SN_bEUlT_E_NS1_11comp_targetILNS1_3genE9ELNS1_11target_archE1100ELNS1_3gpuE3ELNS1_3repE0EEENS1_30default_config_static_selectorELNS0_4arch9wavefront6targetE1EEEvT1_: ; @_ZN7rocprim17ROCPRIM_400000_NS6detail17trampoline_kernelINS0_14default_configENS1_25transform_config_selectorIiLb0EEEZNS1_14transform_implILb0ES3_S5_NS0_18transform_iteratorINS0_17counting_iteratorImlEEZNS1_24adjacent_difference_implIS3_Lb1ELb0EPiSB_N6thrust23THRUST_200600_302600_NS4plusIiEEEE10hipError_tPvRmT2_T3_mT4_P12ihipStream_tbEUlmE_iEESB_NS0_8identityIvEEEESG_SJ_SK_mSL_SN_bEUlT_E_NS1_11comp_targetILNS1_3genE9ELNS1_11target_archE1100ELNS1_3gpuE3ELNS1_3repE0EEENS1_30default_config_static_selectorELNS0_4arch9wavefront6targetE1EEEvT1_
; %bb.0:
	.section	.rodata,"a",@progbits
	.p2align	6, 0x0
	.amdhsa_kernel _ZN7rocprim17ROCPRIM_400000_NS6detail17trampoline_kernelINS0_14default_configENS1_25transform_config_selectorIiLb0EEEZNS1_14transform_implILb0ES3_S5_NS0_18transform_iteratorINS0_17counting_iteratorImlEEZNS1_24adjacent_difference_implIS3_Lb1ELb0EPiSB_N6thrust23THRUST_200600_302600_NS4plusIiEEEE10hipError_tPvRmT2_T3_mT4_P12ihipStream_tbEUlmE_iEESB_NS0_8identityIvEEEESG_SJ_SK_mSL_SN_bEUlT_E_NS1_11comp_targetILNS1_3genE9ELNS1_11target_archE1100ELNS1_3gpuE3ELNS1_3repE0EEENS1_30default_config_static_selectorELNS0_4arch9wavefront6targetE1EEEvT1_
		.amdhsa_group_segment_fixed_size 0
		.amdhsa_private_segment_fixed_size 0
		.amdhsa_kernarg_size 56
		.amdhsa_user_sgpr_count 6
		.amdhsa_user_sgpr_private_segment_buffer 1
		.amdhsa_user_sgpr_dispatch_ptr 0
		.amdhsa_user_sgpr_queue_ptr 0
		.amdhsa_user_sgpr_kernarg_segment_ptr 1
		.amdhsa_user_sgpr_dispatch_id 0
		.amdhsa_user_sgpr_flat_scratch_init 0
		.amdhsa_user_sgpr_kernarg_preload_length 0
		.amdhsa_user_sgpr_kernarg_preload_offset 0
		.amdhsa_user_sgpr_private_segment_size 0
		.amdhsa_uses_dynamic_stack 0
		.amdhsa_system_sgpr_private_segment_wavefront_offset 0
		.amdhsa_system_sgpr_workgroup_id_x 1
		.amdhsa_system_sgpr_workgroup_id_y 0
		.amdhsa_system_sgpr_workgroup_id_z 0
		.amdhsa_system_sgpr_workgroup_info 0
		.amdhsa_system_vgpr_workitem_id 0
		.amdhsa_next_free_vgpr 1
		.amdhsa_next_free_sgpr 0
		.amdhsa_accum_offset 4
		.amdhsa_reserve_vcc 0
		.amdhsa_reserve_flat_scratch 0
		.amdhsa_float_round_mode_32 0
		.amdhsa_float_round_mode_16_64 0
		.amdhsa_float_denorm_mode_32 3
		.amdhsa_float_denorm_mode_16_64 3
		.amdhsa_dx10_clamp 1
		.amdhsa_ieee_mode 1
		.amdhsa_fp16_overflow 0
		.amdhsa_tg_split 0
		.amdhsa_exception_fp_ieee_invalid_op 0
		.amdhsa_exception_fp_denorm_src 0
		.amdhsa_exception_fp_ieee_div_zero 0
		.amdhsa_exception_fp_ieee_overflow 0
		.amdhsa_exception_fp_ieee_underflow 0
		.amdhsa_exception_fp_ieee_inexact 0
		.amdhsa_exception_int_div_zero 0
	.end_amdhsa_kernel
	.section	.text._ZN7rocprim17ROCPRIM_400000_NS6detail17trampoline_kernelINS0_14default_configENS1_25transform_config_selectorIiLb0EEEZNS1_14transform_implILb0ES3_S5_NS0_18transform_iteratorINS0_17counting_iteratorImlEEZNS1_24adjacent_difference_implIS3_Lb1ELb0EPiSB_N6thrust23THRUST_200600_302600_NS4plusIiEEEE10hipError_tPvRmT2_T3_mT4_P12ihipStream_tbEUlmE_iEESB_NS0_8identityIvEEEESG_SJ_SK_mSL_SN_bEUlT_E_NS1_11comp_targetILNS1_3genE9ELNS1_11target_archE1100ELNS1_3gpuE3ELNS1_3repE0EEENS1_30default_config_static_selectorELNS0_4arch9wavefront6targetE1EEEvT1_,"axG",@progbits,_ZN7rocprim17ROCPRIM_400000_NS6detail17trampoline_kernelINS0_14default_configENS1_25transform_config_selectorIiLb0EEEZNS1_14transform_implILb0ES3_S5_NS0_18transform_iteratorINS0_17counting_iteratorImlEEZNS1_24adjacent_difference_implIS3_Lb1ELb0EPiSB_N6thrust23THRUST_200600_302600_NS4plusIiEEEE10hipError_tPvRmT2_T3_mT4_P12ihipStream_tbEUlmE_iEESB_NS0_8identityIvEEEESG_SJ_SK_mSL_SN_bEUlT_E_NS1_11comp_targetILNS1_3genE9ELNS1_11target_archE1100ELNS1_3gpuE3ELNS1_3repE0EEENS1_30default_config_static_selectorELNS0_4arch9wavefront6targetE1EEEvT1_,comdat
.Lfunc_end142:
	.size	_ZN7rocprim17ROCPRIM_400000_NS6detail17trampoline_kernelINS0_14default_configENS1_25transform_config_selectorIiLb0EEEZNS1_14transform_implILb0ES3_S5_NS0_18transform_iteratorINS0_17counting_iteratorImlEEZNS1_24adjacent_difference_implIS3_Lb1ELb0EPiSB_N6thrust23THRUST_200600_302600_NS4plusIiEEEE10hipError_tPvRmT2_T3_mT4_P12ihipStream_tbEUlmE_iEESB_NS0_8identityIvEEEESG_SJ_SK_mSL_SN_bEUlT_E_NS1_11comp_targetILNS1_3genE9ELNS1_11target_archE1100ELNS1_3gpuE3ELNS1_3repE0EEENS1_30default_config_static_selectorELNS0_4arch9wavefront6targetE1EEEvT1_, .Lfunc_end142-_ZN7rocprim17ROCPRIM_400000_NS6detail17trampoline_kernelINS0_14default_configENS1_25transform_config_selectorIiLb0EEEZNS1_14transform_implILb0ES3_S5_NS0_18transform_iteratorINS0_17counting_iteratorImlEEZNS1_24adjacent_difference_implIS3_Lb1ELb0EPiSB_N6thrust23THRUST_200600_302600_NS4plusIiEEEE10hipError_tPvRmT2_T3_mT4_P12ihipStream_tbEUlmE_iEESB_NS0_8identityIvEEEESG_SJ_SK_mSL_SN_bEUlT_E_NS1_11comp_targetILNS1_3genE9ELNS1_11target_archE1100ELNS1_3gpuE3ELNS1_3repE0EEENS1_30default_config_static_selectorELNS0_4arch9wavefront6targetE1EEEvT1_
                                        ; -- End function
	.section	.AMDGPU.csdata,"",@progbits
; Kernel info:
; codeLenInByte = 0
; NumSgprs: 4
; NumVgprs: 0
; NumAgprs: 0
; TotalNumVgprs: 0
; ScratchSize: 0
; MemoryBound: 0
; FloatMode: 240
; IeeeMode: 1
; LDSByteSize: 0 bytes/workgroup (compile time only)
; SGPRBlocks: 0
; VGPRBlocks: 0
; NumSGPRsForWavesPerEU: 4
; NumVGPRsForWavesPerEU: 1
; AccumOffset: 4
; Occupancy: 8
; WaveLimiterHint : 0
; COMPUTE_PGM_RSRC2:SCRATCH_EN: 0
; COMPUTE_PGM_RSRC2:USER_SGPR: 6
; COMPUTE_PGM_RSRC2:TRAP_HANDLER: 0
; COMPUTE_PGM_RSRC2:TGID_X_EN: 1
; COMPUTE_PGM_RSRC2:TGID_Y_EN: 0
; COMPUTE_PGM_RSRC2:TGID_Z_EN: 0
; COMPUTE_PGM_RSRC2:TIDIG_COMP_CNT: 0
; COMPUTE_PGM_RSRC3_GFX90A:ACCUM_OFFSET: 0
; COMPUTE_PGM_RSRC3_GFX90A:TG_SPLIT: 0
	.section	.text._ZN7rocprim17ROCPRIM_400000_NS6detail17trampoline_kernelINS0_14default_configENS1_25transform_config_selectorIiLb0EEEZNS1_14transform_implILb0ES3_S5_NS0_18transform_iteratorINS0_17counting_iteratorImlEEZNS1_24adjacent_difference_implIS3_Lb1ELb0EPiSB_N6thrust23THRUST_200600_302600_NS4plusIiEEEE10hipError_tPvRmT2_T3_mT4_P12ihipStream_tbEUlmE_iEESB_NS0_8identityIvEEEESG_SJ_SK_mSL_SN_bEUlT_E_NS1_11comp_targetILNS1_3genE8ELNS1_11target_archE1030ELNS1_3gpuE2ELNS1_3repE0EEENS1_30default_config_static_selectorELNS0_4arch9wavefront6targetE1EEEvT1_,"axG",@progbits,_ZN7rocprim17ROCPRIM_400000_NS6detail17trampoline_kernelINS0_14default_configENS1_25transform_config_selectorIiLb0EEEZNS1_14transform_implILb0ES3_S5_NS0_18transform_iteratorINS0_17counting_iteratorImlEEZNS1_24adjacent_difference_implIS3_Lb1ELb0EPiSB_N6thrust23THRUST_200600_302600_NS4plusIiEEEE10hipError_tPvRmT2_T3_mT4_P12ihipStream_tbEUlmE_iEESB_NS0_8identityIvEEEESG_SJ_SK_mSL_SN_bEUlT_E_NS1_11comp_targetILNS1_3genE8ELNS1_11target_archE1030ELNS1_3gpuE2ELNS1_3repE0EEENS1_30default_config_static_selectorELNS0_4arch9wavefront6targetE1EEEvT1_,comdat
	.protected	_ZN7rocprim17ROCPRIM_400000_NS6detail17trampoline_kernelINS0_14default_configENS1_25transform_config_selectorIiLb0EEEZNS1_14transform_implILb0ES3_S5_NS0_18transform_iteratorINS0_17counting_iteratorImlEEZNS1_24adjacent_difference_implIS3_Lb1ELb0EPiSB_N6thrust23THRUST_200600_302600_NS4plusIiEEEE10hipError_tPvRmT2_T3_mT4_P12ihipStream_tbEUlmE_iEESB_NS0_8identityIvEEEESG_SJ_SK_mSL_SN_bEUlT_E_NS1_11comp_targetILNS1_3genE8ELNS1_11target_archE1030ELNS1_3gpuE2ELNS1_3repE0EEENS1_30default_config_static_selectorELNS0_4arch9wavefront6targetE1EEEvT1_ ; -- Begin function _ZN7rocprim17ROCPRIM_400000_NS6detail17trampoline_kernelINS0_14default_configENS1_25transform_config_selectorIiLb0EEEZNS1_14transform_implILb0ES3_S5_NS0_18transform_iteratorINS0_17counting_iteratorImlEEZNS1_24adjacent_difference_implIS3_Lb1ELb0EPiSB_N6thrust23THRUST_200600_302600_NS4plusIiEEEE10hipError_tPvRmT2_T3_mT4_P12ihipStream_tbEUlmE_iEESB_NS0_8identityIvEEEESG_SJ_SK_mSL_SN_bEUlT_E_NS1_11comp_targetILNS1_3genE8ELNS1_11target_archE1030ELNS1_3gpuE2ELNS1_3repE0EEENS1_30default_config_static_selectorELNS0_4arch9wavefront6targetE1EEEvT1_
	.globl	_ZN7rocprim17ROCPRIM_400000_NS6detail17trampoline_kernelINS0_14default_configENS1_25transform_config_selectorIiLb0EEEZNS1_14transform_implILb0ES3_S5_NS0_18transform_iteratorINS0_17counting_iteratorImlEEZNS1_24adjacent_difference_implIS3_Lb1ELb0EPiSB_N6thrust23THRUST_200600_302600_NS4plusIiEEEE10hipError_tPvRmT2_T3_mT4_P12ihipStream_tbEUlmE_iEESB_NS0_8identityIvEEEESG_SJ_SK_mSL_SN_bEUlT_E_NS1_11comp_targetILNS1_3genE8ELNS1_11target_archE1030ELNS1_3gpuE2ELNS1_3repE0EEENS1_30default_config_static_selectorELNS0_4arch9wavefront6targetE1EEEvT1_
	.p2align	8
	.type	_ZN7rocprim17ROCPRIM_400000_NS6detail17trampoline_kernelINS0_14default_configENS1_25transform_config_selectorIiLb0EEEZNS1_14transform_implILb0ES3_S5_NS0_18transform_iteratorINS0_17counting_iteratorImlEEZNS1_24adjacent_difference_implIS3_Lb1ELb0EPiSB_N6thrust23THRUST_200600_302600_NS4plusIiEEEE10hipError_tPvRmT2_T3_mT4_P12ihipStream_tbEUlmE_iEESB_NS0_8identityIvEEEESG_SJ_SK_mSL_SN_bEUlT_E_NS1_11comp_targetILNS1_3genE8ELNS1_11target_archE1030ELNS1_3gpuE2ELNS1_3repE0EEENS1_30default_config_static_selectorELNS0_4arch9wavefront6targetE1EEEvT1_,@function
_ZN7rocprim17ROCPRIM_400000_NS6detail17trampoline_kernelINS0_14default_configENS1_25transform_config_selectorIiLb0EEEZNS1_14transform_implILb0ES3_S5_NS0_18transform_iteratorINS0_17counting_iteratorImlEEZNS1_24adjacent_difference_implIS3_Lb1ELb0EPiSB_N6thrust23THRUST_200600_302600_NS4plusIiEEEE10hipError_tPvRmT2_T3_mT4_P12ihipStream_tbEUlmE_iEESB_NS0_8identityIvEEEESG_SJ_SK_mSL_SN_bEUlT_E_NS1_11comp_targetILNS1_3genE8ELNS1_11target_archE1030ELNS1_3gpuE2ELNS1_3repE0EEENS1_30default_config_static_selectorELNS0_4arch9wavefront6targetE1EEEvT1_: ; @_ZN7rocprim17ROCPRIM_400000_NS6detail17trampoline_kernelINS0_14default_configENS1_25transform_config_selectorIiLb0EEEZNS1_14transform_implILb0ES3_S5_NS0_18transform_iteratorINS0_17counting_iteratorImlEEZNS1_24adjacent_difference_implIS3_Lb1ELb0EPiSB_N6thrust23THRUST_200600_302600_NS4plusIiEEEE10hipError_tPvRmT2_T3_mT4_P12ihipStream_tbEUlmE_iEESB_NS0_8identityIvEEEESG_SJ_SK_mSL_SN_bEUlT_E_NS1_11comp_targetILNS1_3genE8ELNS1_11target_archE1030ELNS1_3gpuE2ELNS1_3repE0EEENS1_30default_config_static_selectorELNS0_4arch9wavefront6targetE1EEEvT1_
; %bb.0:
	.section	.rodata,"a",@progbits
	.p2align	6, 0x0
	.amdhsa_kernel _ZN7rocprim17ROCPRIM_400000_NS6detail17trampoline_kernelINS0_14default_configENS1_25transform_config_selectorIiLb0EEEZNS1_14transform_implILb0ES3_S5_NS0_18transform_iteratorINS0_17counting_iteratorImlEEZNS1_24adjacent_difference_implIS3_Lb1ELb0EPiSB_N6thrust23THRUST_200600_302600_NS4plusIiEEEE10hipError_tPvRmT2_T3_mT4_P12ihipStream_tbEUlmE_iEESB_NS0_8identityIvEEEESG_SJ_SK_mSL_SN_bEUlT_E_NS1_11comp_targetILNS1_3genE8ELNS1_11target_archE1030ELNS1_3gpuE2ELNS1_3repE0EEENS1_30default_config_static_selectorELNS0_4arch9wavefront6targetE1EEEvT1_
		.amdhsa_group_segment_fixed_size 0
		.amdhsa_private_segment_fixed_size 0
		.amdhsa_kernarg_size 56
		.amdhsa_user_sgpr_count 6
		.amdhsa_user_sgpr_private_segment_buffer 1
		.amdhsa_user_sgpr_dispatch_ptr 0
		.amdhsa_user_sgpr_queue_ptr 0
		.amdhsa_user_sgpr_kernarg_segment_ptr 1
		.amdhsa_user_sgpr_dispatch_id 0
		.amdhsa_user_sgpr_flat_scratch_init 0
		.amdhsa_user_sgpr_kernarg_preload_length 0
		.amdhsa_user_sgpr_kernarg_preload_offset 0
		.amdhsa_user_sgpr_private_segment_size 0
		.amdhsa_uses_dynamic_stack 0
		.amdhsa_system_sgpr_private_segment_wavefront_offset 0
		.amdhsa_system_sgpr_workgroup_id_x 1
		.amdhsa_system_sgpr_workgroup_id_y 0
		.amdhsa_system_sgpr_workgroup_id_z 0
		.amdhsa_system_sgpr_workgroup_info 0
		.amdhsa_system_vgpr_workitem_id 0
		.amdhsa_next_free_vgpr 1
		.amdhsa_next_free_sgpr 0
		.amdhsa_accum_offset 4
		.amdhsa_reserve_vcc 0
		.amdhsa_reserve_flat_scratch 0
		.amdhsa_float_round_mode_32 0
		.amdhsa_float_round_mode_16_64 0
		.amdhsa_float_denorm_mode_32 3
		.amdhsa_float_denorm_mode_16_64 3
		.amdhsa_dx10_clamp 1
		.amdhsa_ieee_mode 1
		.amdhsa_fp16_overflow 0
		.amdhsa_tg_split 0
		.amdhsa_exception_fp_ieee_invalid_op 0
		.amdhsa_exception_fp_denorm_src 0
		.amdhsa_exception_fp_ieee_div_zero 0
		.amdhsa_exception_fp_ieee_overflow 0
		.amdhsa_exception_fp_ieee_underflow 0
		.amdhsa_exception_fp_ieee_inexact 0
		.amdhsa_exception_int_div_zero 0
	.end_amdhsa_kernel
	.section	.text._ZN7rocprim17ROCPRIM_400000_NS6detail17trampoline_kernelINS0_14default_configENS1_25transform_config_selectorIiLb0EEEZNS1_14transform_implILb0ES3_S5_NS0_18transform_iteratorINS0_17counting_iteratorImlEEZNS1_24adjacent_difference_implIS3_Lb1ELb0EPiSB_N6thrust23THRUST_200600_302600_NS4plusIiEEEE10hipError_tPvRmT2_T3_mT4_P12ihipStream_tbEUlmE_iEESB_NS0_8identityIvEEEESG_SJ_SK_mSL_SN_bEUlT_E_NS1_11comp_targetILNS1_3genE8ELNS1_11target_archE1030ELNS1_3gpuE2ELNS1_3repE0EEENS1_30default_config_static_selectorELNS0_4arch9wavefront6targetE1EEEvT1_,"axG",@progbits,_ZN7rocprim17ROCPRIM_400000_NS6detail17trampoline_kernelINS0_14default_configENS1_25transform_config_selectorIiLb0EEEZNS1_14transform_implILb0ES3_S5_NS0_18transform_iteratorINS0_17counting_iteratorImlEEZNS1_24adjacent_difference_implIS3_Lb1ELb0EPiSB_N6thrust23THRUST_200600_302600_NS4plusIiEEEE10hipError_tPvRmT2_T3_mT4_P12ihipStream_tbEUlmE_iEESB_NS0_8identityIvEEEESG_SJ_SK_mSL_SN_bEUlT_E_NS1_11comp_targetILNS1_3genE8ELNS1_11target_archE1030ELNS1_3gpuE2ELNS1_3repE0EEENS1_30default_config_static_selectorELNS0_4arch9wavefront6targetE1EEEvT1_,comdat
.Lfunc_end143:
	.size	_ZN7rocprim17ROCPRIM_400000_NS6detail17trampoline_kernelINS0_14default_configENS1_25transform_config_selectorIiLb0EEEZNS1_14transform_implILb0ES3_S5_NS0_18transform_iteratorINS0_17counting_iteratorImlEEZNS1_24adjacent_difference_implIS3_Lb1ELb0EPiSB_N6thrust23THRUST_200600_302600_NS4plusIiEEEE10hipError_tPvRmT2_T3_mT4_P12ihipStream_tbEUlmE_iEESB_NS0_8identityIvEEEESG_SJ_SK_mSL_SN_bEUlT_E_NS1_11comp_targetILNS1_3genE8ELNS1_11target_archE1030ELNS1_3gpuE2ELNS1_3repE0EEENS1_30default_config_static_selectorELNS0_4arch9wavefront6targetE1EEEvT1_, .Lfunc_end143-_ZN7rocprim17ROCPRIM_400000_NS6detail17trampoline_kernelINS0_14default_configENS1_25transform_config_selectorIiLb0EEEZNS1_14transform_implILb0ES3_S5_NS0_18transform_iteratorINS0_17counting_iteratorImlEEZNS1_24adjacent_difference_implIS3_Lb1ELb0EPiSB_N6thrust23THRUST_200600_302600_NS4plusIiEEEE10hipError_tPvRmT2_T3_mT4_P12ihipStream_tbEUlmE_iEESB_NS0_8identityIvEEEESG_SJ_SK_mSL_SN_bEUlT_E_NS1_11comp_targetILNS1_3genE8ELNS1_11target_archE1030ELNS1_3gpuE2ELNS1_3repE0EEENS1_30default_config_static_selectorELNS0_4arch9wavefront6targetE1EEEvT1_
                                        ; -- End function
	.section	.AMDGPU.csdata,"",@progbits
; Kernel info:
; codeLenInByte = 0
; NumSgprs: 4
; NumVgprs: 0
; NumAgprs: 0
; TotalNumVgprs: 0
; ScratchSize: 0
; MemoryBound: 0
; FloatMode: 240
; IeeeMode: 1
; LDSByteSize: 0 bytes/workgroup (compile time only)
; SGPRBlocks: 0
; VGPRBlocks: 0
; NumSGPRsForWavesPerEU: 4
; NumVGPRsForWavesPerEU: 1
; AccumOffset: 4
; Occupancy: 8
; WaveLimiterHint : 0
; COMPUTE_PGM_RSRC2:SCRATCH_EN: 0
; COMPUTE_PGM_RSRC2:USER_SGPR: 6
; COMPUTE_PGM_RSRC2:TRAP_HANDLER: 0
; COMPUTE_PGM_RSRC2:TGID_X_EN: 1
; COMPUTE_PGM_RSRC2:TGID_Y_EN: 0
; COMPUTE_PGM_RSRC2:TGID_Z_EN: 0
; COMPUTE_PGM_RSRC2:TIDIG_COMP_CNT: 0
; COMPUTE_PGM_RSRC3_GFX90A:ACCUM_OFFSET: 0
; COMPUTE_PGM_RSRC3_GFX90A:TG_SPLIT: 0
	.section	.text._ZN7rocprim17ROCPRIM_400000_NS6detail17trampoline_kernelINS0_14default_configENS1_35adjacent_difference_config_selectorILb1EiEEZNS1_24adjacent_difference_implIS3_Lb1ELb0EPiS7_N6thrust23THRUST_200600_302600_NS4plusIiEEEE10hipError_tPvRmT2_T3_mT4_P12ihipStream_tbEUlT_E_NS1_11comp_targetILNS1_3genE0ELNS1_11target_archE4294967295ELNS1_3gpuE0ELNS1_3repE0EEENS1_30default_config_static_selectorELNS0_4arch9wavefront6targetE1EEEvT1_,"axG",@progbits,_ZN7rocprim17ROCPRIM_400000_NS6detail17trampoline_kernelINS0_14default_configENS1_35adjacent_difference_config_selectorILb1EiEEZNS1_24adjacent_difference_implIS3_Lb1ELb0EPiS7_N6thrust23THRUST_200600_302600_NS4plusIiEEEE10hipError_tPvRmT2_T3_mT4_P12ihipStream_tbEUlT_E_NS1_11comp_targetILNS1_3genE0ELNS1_11target_archE4294967295ELNS1_3gpuE0ELNS1_3repE0EEENS1_30default_config_static_selectorELNS0_4arch9wavefront6targetE1EEEvT1_,comdat
	.protected	_ZN7rocprim17ROCPRIM_400000_NS6detail17trampoline_kernelINS0_14default_configENS1_35adjacent_difference_config_selectorILb1EiEEZNS1_24adjacent_difference_implIS3_Lb1ELb0EPiS7_N6thrust23THRUST_200600_302600_NS4plusIiEEEE10hipError_tPvRmT2_T3_mT4_P12ihipStream_tbEUlT_E_NS1_11comp_targetILNS1_3genE0ELNS1_11target_archE4294967295ELNS1_3gpuE0ELNS1_3repE0EEENS1_30default_config_static_selectorELNS0_4arch9wavefront6targetE1EEEvT1_ ; -- Begin function _ZN7rocprim17ROCPRIM_400000_NS6detail17trampoline_kernelINS0_14default_configENS1_35adjacent_difference_config_selectorILb1EiEEZNS1_24adjacent_difference_implIS3_Lb1ELb0EPiS7_N6thrust23THRUST_200600_302600_NS4plusIiEEEE10hipError_tPvRmT2_T3_mT4_P12ihipStream_tbEUlT_E_NS1_11comp_targetILNS1_3genE0ELNS1_11target_archE4294967295ELNS1_3gpuE0ELNS1_3repE0EEENS1_30default_config_static_selectorELNS0_4arch9wavefront6targetE1EEEvT1_
	.globl	_ZN7rocprim17ROCPRIM_400000_NS6detail17trampoline_kernelINS0_14default_configENS1_35adjacent_difference_config_selectorILb1EiEEZNS1_24adjacent_difference_implIS3_Lb1ELb0EPiS7_N6thrust23THRUST_200600_302600_NS4plusIiEEEE10hipError_tPvRmT2_T3_mT4_P12ihipStream_tbEUlT_E_NS1_11comp_targetILNS1_3genE0ELNS1_11target_archE4294967295ELNS1_3gpuE0ELNS1_3repE0EEENS1_30default_config_static_selectorELNS0_4arch9wavefront6targetE1EEEvT1_
	.p2align	8
	.type	_ZN7rocprim17ROCPRIM_400000_NS6detail17trampoline_kernelINS0_14default_configENS1_35adjacent_difference_config_selectorILb1EiEEZNS1_24adjacent_difference_implIS3_Lb1ELb0EPiS7_N6thrust23THRUST_200600_302600_NS4plusIiEEEE10hipError_tPvRmT2_T3_mT4_P12ihipStream_tbEUlT_E_NS1_11comp_targetILNS1_3genE0ELNS1_11target_archE4294967295ELNS1_3gpuE0ELNS1_3repE0EEENS1_30default_config_static_selectorELNS0_4arch9wavefront6targetE1EEEvT1_,@function
_ZN7rocprim17ROCPRIM_400000_NS6detail17trampoline_kernelINS0_14default_configENS1_35adjacent_difference_config_selectorILb1EiEEZNS1_24adjacent_difference_implIS3_Lb1ELb0EPiS7_N6thrust23THRUST_200600_302600_NS4plusIiEEEE10hipError_tPvRmT2_T3_mT4_P12ihipStream_tbEUlT_E_NS1_11comp_targetILNS1_3genE0ELNS1_11target_archE4294967295ELNS1_3gpuE0ELNS1_3repE0EEENS1_30default_config_static_selectorELNS0_4arch9wavefront6targetE1EEEvT1_: ; @_ZN7rocprim17ROCPRIM_400000_NS6detail17trampoline_kernelINS0_14default_configENS1_35adjacent_difference_config_selectorILb1EiEEZNS1_24adjacent_difference_implIS3_Lb1ELb0EPiS7_N6thrust23THRUST_200600_302600_NS4plusIiEEEE10hipError_tPvRmT2_T3_mT4_P12ihipStream_tbEUlT_E_NS1_11comp_targetILNS1_3genE0ELNS1_11target_archE4294967295ELNS1_3gpuE0ELNS1_3repE0EEENS1_30default_config_static_selectorELNS0_4arch9wavefront6targetE1EEEvT1_
; %bb.0:
	.section	.rodata,"a",@progbits
	.p2align	6, 0x0
	.amdhsa_kernel _ZN7rocprim17ROCPRIM_400000_NS6detail17trampoline_kernelINS0_14default_configENS1_35adjacent_difference_config_selectorILb1EiEEZNS1_24adjacent_difference_implIS3_Lb1ELb0EPiS7_N6thrust23THRUST_200600_302600_NS4plusIiEEEE10hipError_tPvRmT2_T3_mT4_P12ihipStream_tbEUlT_E_NS1_11comp_targetILNS1_3genE0ELNS1_11target_archE4294967295ELNS1_3gpuE0ELNS1_3repE0EEENS1_30default_config_static_selectorELNS0_4arch9wavefront6targetE1EEEvT1_
		.amdhsa_group_segment_fixed_size 0
		.amdhsa_private_segment_fixed_size 0
		.amdhsa_kernarg_size 56
		.amdhsa_user_sgpr_count 6
		.amdhsa_user_sgpr_private_segment_buffer 1
		.amdhsa_user_sgpr_dispatch_ptr 0
		.amdhsa_user_sgpr_queue_ptr 0
		.amdhsa_user_sgpr_kernarg_segment_ptr 1
		.amdhsa_user_sgpr_dispatch_id 0
		.amdhsa_user_sgpr_flat_scratch_init 0
		.amdhsa_user_sgpr_kernarg_preload_length 0
		.amdhsa_user_sgpr_kernarg_preload_offset 0
		.amdhsa_user_sgpr_private_segment_size 0
		.amdhsa_uses_dynamic_stack 0
		.amdhsa_system_sgpr_private_segment_wavefront_offset 0
		.amdhsa_system_sgpr_workgroup_id_x 1
		.amdhsa_system_sgpr_workgroup_id_y 0
		.amdhsa_system_sgpr_workgroup_id_z 0
		.amdhsa_system_sgpr_workgroup_info 0
		.amdhsa_system_vgpr_workitem_id 0
		.amdhsa_next_free_vgpr 1
		.amdhsa_next_free_sgpr 0
		.amdhsa_accum_offset 4
		.amdhsa_reserve_vcc 0
		.amdhsa_reserve_flat_scratch 0
		.amdhsa_float_round_mode_32 0
		.amdhsa_float_round_mode_16_64 0
		.amdhsa_float_denorm_mode_32 3
		.amdhsa_float_denorm_mode_16_64 3
		.amdhsa_dx10_clamp 1
		.amdhsa_ieee_mode 1
		.amdhsa_fp16_overflow 0
		.amdhsa_tg_split 0
		.amdhsa_exception_fp_ieee_invalid_op 0
		.amdhsa_exception_fp_denorm_src 0
		.amdhsa_exception_fp_ieee_div_zero 0
		.amdhsa_exception_fp_ieee_overflow 0
		.amdhsa_exception_fp_ieee_underflow 0
		.amdhsa_exception_fp_ieee_inexact 0
		.amdhsa_exception_int_div_zero 0
	.end_amdhsa_kernel
	.section	.text._ZN7rocprim17ROCPRIM_400000_NS6detail17trampoline_kernelINS0_14default_configENS1_35adjacent_difference_config_selectorILb1EiEEZNS1_24adjacent_difference_implIS3_Lb1ELb0EPiS7_N6thrust23THRUST_200600_302600_NS4plusIiEEEE10hipError_tPvRmT2_T3_mT4_P12ihipStream_tbEUlT_E_NS1_11comp_targetILNS1_3genE0ELNS1_11target_archE4294967295ELNS1_3gpuE0ELNS1_3repE0EEENS1_30default_config_static_selectorELNS0_4arch9wavefront6targetE1EEEvT1_,"axG",@progbits,_ZN7rocprim17ROCPRIM_400000_NS6detail17trampoline_kernelINS0_14default_configENS1_35adjacent_difference_config_selectorILb1EiEEZNS1_24adjacent_difference_implIS3_Lb1ELb0EPiS7_N6thrust23THRUST_200600_302600_NS4plusIiEEEE10hipError_tPvRmT2_T3_mT4_P12ihipStream_tbEUlT_E_NS1_11comp_targetILNS1_3genE0ELNS1_11target_archE4294967295ELNS1_3gpuE0ELNS1_3repE0EEENS1_30default_config_static_selectorELNS0_4arch9wavefront6targetE1EEEvT1_,comdat
.Lfunc_end144:
	.size	_ZN7rocprim17ROCPRIM_400000_NS6detail17trampoline_kernelINS0_14default_configENS1_35adjacent_difference_config_selectorILb1EiEEZNS1_24adjacent_difference_implIS3_Lb1ELb0EPiS7_N6thrust23THRUST_200600_302600_NS4plusIiEEEE10hipError_tPvRmT2_T3_mT4_P12ihipStream_tbEUlT_E_NS1_11comp_targetILNS1_3genE0ELNS1_11target_archE4294967295ELNS1_3gpuE0ELNS1_3repE0EEENS1_30default_config_static_selectorELNS0_4arch9wavefront6targetE1EEEvT1_, .Lfunc_end144-_ZN7rocprim17ROCPRIM_400000_NS6detail17trampoline_kernelINS0_14default_configENS1_35adjacent_difference_config_selectorILb1EiEEZNS1_24adjacent_difference_implIS3_Lb1ELb0EPiS7_N6thrust23THRUST_200600_302600_NS4plusIiEEEE10hipError_tPvRmT2_T3_mT4_P12ihipStream_tbEUlT_E_NS1_11comp_targetILNS1_3genE0ELNS1_11target_archE4294967295ELNS1_3gpuE0ELNS1_3repE0EEENS1_30default_config_static_selectorELNS0_4arch9wavefront6targetE1EEEvT1_
                                        ; -- End function
	.section	.AMDGPU.csdata,"",@progbits
; Kernel info:
; codeLenInByte = 0
; NumSgprs: 4
; NumVgprs: 0
; NumAgprs: 0
; TotalNumVgprs: 0
; ScratchSize: 0
; MemoryBound: 0
; FloatMode: 240
; IeeeMode: 1
; LDSByteSize: 0 bytes/workgroup (compile time only)
; SGPRBlocks: 0
; VGPRBlocks: 0
; NumSGPRsForWavesPerEU: 4
; NumVGPRsForWavesPerEU: 1
; AccumOffset: 4
; Occupancy: 8
; WaveLimiterHint : 0
; COMPUTE_PGM_RSRC2:SCRATCH_EN: 0
; COMPUTE_PGM_RSRC2:USER_SGPR: 6
; COMPUTE_PGM_RSRC2:TRAP_HANDLER: 0
; COMPUTE_PGM_RSRC2:TGID_X_EN: 1
; COMPUTE_PGM_RSRC2:TGID_Y_EN: 0
; COMPUTE_PGM_RSRC2:TGID_Z_EN: 0
; COMPUTE_PGM_RSRC2:TIDIG_COMP_CNT: 0
; COMPUTE_PGM_RSRC3_GFX90A:ACCUM_OFFSET: 0
; COMPUTE_PGM_RSRC3_GFX90A:TG_SPLIT: 0
	.section	.text._ZN7rocprim17ROCPRIM_400000_NS6detail17trampoline_kernelINS0_14default_configENS1_35adjacent_difference_config_selectorILb1EiEEZNS1_24adjacent_difference_implIS3_Lb1ELb0EPiS7_N6thrust23THRUST_200600_302600_NS4plusIiEEEE10hipError_tPvRmT2_T3_mT4_P12ihipStream_tbEUlT_E_NS1_11comp_targetILNS1_3genE10ELNS1_11target_archE1201ELNS1_3gpuE5ELNS1_3repE0EEENS1_30default_config_static_selectorELNS0_4arch9wavefront6targetE1EEEvT1_,"axG",@progbits,_ZN7rocprim17ROCPRIM_400000_NS6detail17trampoline_kernelINS0_14default_configENS1_35adjacent_difference_config_selectorILb1EiEEZNS1_24adjacent_difference_implIS3_Lb1ELb0EPiS7_N6thrust23THRUST_200600_302600_NS4plusIiEEEE10hipError_tPvRmT2_T3_mT4_P12ihipStream_tbEUlT_E_NS1_11comp_targetILNS1_3genE10ELNS1_11target_archE1201ELNS1_3gpuE5ELNS1_3repE0EEENS1_30default_config_static_selectorELNS0_4arch9wavefront6targetE1EEEvT1_,comdat
	.protected	_ZN7rocprim17ROCPRIM_400000_NS6detail17trampoline_kernelINS0_14default_configENS1_35adjacent_difference_config_selectorILb1EiEEZNS1_24adjacent_difference_implIS3_Lb1ELb0EPiS7_N6thrust23THRUST_200600_302600_NS4plusIiEEEE10hipError_tPvRmT2_T3_mT4_P12ihipStream_tbEUlT_E_NS1_11comp_targetILNS1_3genE10ELNS1_11target_archE1201ELNS1_3gpuE5ELNS1_3repE0EEENS1_30default_config_static_selectorELNS0_4arch9wavefront6targetE1EEEvT1_ ; -- Begin function _ZN7rocprim17ROCPRIM_400000_NS6detail17trampoline_kernelINS0_14default_configENS1_35adjacent_difference_config_selectorILb1EiEEZNS1_24adjacent_difference_implIS3_Lb1ELb0EPiS7_N6thrust23THRUST_200600_302600_NS4plusIiEEEE10hipError_tPvRmT2_T3_mT4_P12ihipStream_tbEUlT_E_NS1_11comp_targetILNS1_3genE10ELNS1_11target_archE1201ELNS1_3gpuE5ELNS1_3repE0EEENS1_30default_config_static_selectorELNS0_4arch9wavefront6targetE1EEEvT1_
	.globl	_ZN7rocprim17ROCPRIM_400000_NS6detail17trampoline_kernelINS0_14default_configENS1_35adjacent_difference_config_selectorILb1EiEEZNS1_24adjacent_difference_implIS3_Lb1ELb0EPiS7_N6thrust23THRUST_200600_302600_NS4plusIiEEEE10hipError_tPvRmT2_T3_mT4_P12ihipStream_tbEUlT_E_NS1_11comp_targetILNS1_3genE10ELNS1_11target_archE1201ELNS1_3gpuE5ELNS1_3repE0EEENS1_30default_config_static_selectorELNS0_4arch9wavefront6targetE1EEEvT1_
	.p2align	8
	.type	_ZN7rocprim17ROCPRIM_400000_NS6detail17trampoline_kernelINS0_14default_configENS1_35adjacent_difference_config_selectorILb1EiEEZNS1_24adjacent_difference_implIS3_Lb1ELb0EPiS7_N6thrust23THRUST_200600_302600_NS4plusIiEEEE10hipError_tPvRmT2_T3_mT4_P12ihipStream_tbEUlT_E_NS1_11comp_targetILNS1_3genE10ELNS1_11target_archE1201ELNS1_3gpuE5ELNS1_3repE0EEENS1_30default_config_static_selectorELNS0_4arch9wavefront6targetE1EEEvT1_,@function
_ZN7rocprim17ROCPRIM_400000_NS6detail17trampoline_kernelINS0_14default_configENS1_35adjacent_difference_config_selectorILb1EiEEZNS1_24adjacent_difference_implIS3_Lb1ELb0EPiS7_N6thrust23THRUST_200600_302600_NS4plusIiEEEE10hipError_tPvRmT2_T3_mT4_P12ihipStream_tbEUlT_E_NS1_11comp_targetILNS1_3genE10ELNS1_11target_archE1201ELNS1_3gpuE5ELNS1_3repE0EEENS1_30default_config_static_selectorELNS0_4arch9wavefront6targetE1EEEvT1_: ; @_ZN7rocprim17ROCPRIM_400000_NS6detail17trampoline_kernelINS0_14default_configENS1_35adjacent_difference_config_selectorILb1EiEEZNS1_24adjacent_difference_implIS3_Lb1ELb0EPiS7_N6thrust23THRUST_200600_302600_NS4plusIiEEEE10hipError_tPvRmT2_T3_mT4_P12ihipStream_tbEUlT_E_NS1_11comp_targetILNS1_3genE10ELNS1_11target_archE1201ELNS1_3gpuE5ELNS1_3repE0EEENS1_30default_config_static_selectorELNS0_4arch9wavefront6targetE1EEEvT1_
; %bb.0:
	.section	.rodata,"a",@progbits
	.p2align	6, 0x0
	.amdhsa_kernel _ZN7rocprim17ROCPRIM_400000_NS6detail17trampoline_kernelINS0_14default_configENS1_35adjacent_difference_config_selectorILb1EiEEZNS1_24adjacent_difference_implIS3_Lb1ELb0EPiS7_N6thrust23THRUST_200600_302600_NS4plusIiEEEE10hipError_tPvRmT2_T3_mT4_P12ihipStream_tbEUlT_E_NS1_11comp_targetILNS1_3genE10ELNS1_11target_archE1201ELNS1_3gpuE5ELNS1_3repE0EEENS1_30default_config_static_selectorELNS0_4arch9wavefront6targetE1EEEvT1_
		.amdhsa_group_segment_fixed_size 0
		.amdhsa_private_segment_fixed_size 0
		.amdhsa_kernarg_size 56
		.amdhsa_user_sgpr_count 6
		.amdhsa_user_sgpr_private_segment_buffer 1
		.amdhsa_user_sgpr_dispatch_ptr 0
		.amdhsa_user_sgpr_queue_ptr 0
		.amdhsa_user_sgpr_kernarg_segment_ptr 1
		.amdhsa_user_sgpr_dispatch_id 0
		.amdhsa_user_sgpr_flat_scratch_init 0
		.amdhsa_user_sgpr_kernarg_preload_length 0
		.amdhsa_user_sgpr_kernarg_preload_offset 0
		.amdhsa_user_sgpr_private_segment_size 0
		.amdhsa_uses_dynamic_stack 0
		.amdhsa_system_sgpr_private_segment_wavefront_offset 0
		.amdhsa_system_sgpr_workgroup_id_x 1
		.amdhsa_system_sgpr_workgroup_id_y 0
		.amdhsa_system_sgpr_workgroup_id_z 0
		.amdhsa_system_sgpr_workgroup_info 0
		.amdhsa_system_vgpr_workitem_id 0
		.amdhsa_next_free_vgpr 1
		.amdhsa_next_free_sgpr 0
		.amdhsa_accum_offset 4
		.amdhsa_reserve_vcc 0
		.amdhsa_reserve_flat_scratch 0
		.amdhsa_float_round_mode_32 0
		.amdhsa_float_round_mode_16_64 0
		.amdhsa_float_denorm_mode_32 3
		.amdhsa_float_denorm_mode_16_64 3
		.amdhsa_dx10_clamp 1
		.amdhsa_ieee_mode 1
		.amdhsa_fp16_overflow 0
		.amdhsa_tg_split 0
		.amdhsa_exception_fp_ieee_invalid_op 0
		.amdhsa_exception_fp_denorm_src 0
		.amdhsa_exception_fp_ieee_div_zero 0
		.amdhsa_exception_fp_ieee_overflow 0
		.amdhsa_exception_fp_ieee_underflow 0
		.amdhsa_exception_fp_ieee_inexact 0
		.amdhsa_exception_int_div_zero 0
	.end_amdhsa_kernel
	.section	.text._ZN7rocprim17ROCPRIM_400000_NS6detail17trampoline_kernelINS0_14default_configENS1_35adjacent_difference_config_selectorILb1EiEEZNS1_24adjacent_difference_implIS3_Lb1ELb0EPiS7_N6thrust23THRUST_200600_302600_NS4plusIiEEEE10hipError_tPvRmT2_T3_mT4_P12ihipStream_tbEUlT_E_NS1_11comp_targetILNS1_3genE10ELNS1_11target_archE1201ELNS1_3gpuE5ELNS1_3repE0EEENS1_30default_config_static_selectorELNS0_4arch9wavefront6targetE1EEEvT1_,"axG",@progbits,_ZN7rocprim17ROCPRIM_400000_NS6detail17trampoline_kernelINS0_14default_configENS1_35adjacent_difference_config_selectorILb1EiEEZNS1_24adjacent_difference_implIS3_Lb1ELb0EPiS7_N6thrust23THRUST_200600_302600_NS4plusIiEEEE10hipError_tPvRmT2_T3_mT4_P12ihipStream_tbEUlT_E_NS1_11comp_targetILNS1_3genE10ELNS1_11target_archE1201ELNS1_3gpuE5ELNS1_3repE0EEENS1_30default_config_static_selectorELNS0_4arch9wavefront6targetE1EEEvT1_,comdat
.Lfunc_end145:
	.size	_ZN7rocprim17ROCPRIM_400000_NS6detail17trampoline_kernelINS0_14default_configENS1_35adjacent_difference_config_selectorILb1EiEEZNS1_24adjacent_difference_implIS3_Lb1ELb0EPiS7_N6thrust23THRUST_200600_302600_NS4plusIiEEEE10hipError_tPvRmT2_T3_mT4_P12ihipStream_tbEUlT_E_NS1_11comp_targetILNS1_3genE10ELNS1_11target_archE1201ELNS1_3gpuE5ELNS1_3repE0EEENS1_30default_config_static_selectorELNS0_4arch9wavefront6targetE1EEEvT1_, .Lfunc_end145-_ZN7rocprim17ROCPRIM_400000_NS6detail17trampoline_kernelINS0_14default_configENS1_35adjacent_difference_config_selectorILb1EiEEZNS1_24adjacent_difference_implIS3_Lb1ELb0EPiS7_N6thrust23THRUST_200600_302600_NS4plusIiEEEE10hipError_tPvRmT2_T3_mT4_P12ihipStream_tbEUlT_E_NS1_11comp_targetILNS1_3genE10ELNS1_11target_archE1201ELNS1_3gpuE5ELNS1_3repE0EEENS1_30default_config_static_selectorELNS0_4arch9wavefront6targetE1EEEvT1_
                                        ; -- End function
	.section	.AMDGPU.csdata,"",@progbits
; Kernel info:
; codeLenInByte = 0
; NumSgprs: 4
; NumVgprs: 0
; NumAgprs: 0
; TotalNumVgprs: 0
; ScratchSize: 0
; MemoryBound: 0
; FloatMode: 240
; IeeeMode: 1
; LDSByteSize: 0 bytes/workgroup (compile time only)
; SGPRBlocks: 0
; VGPRBlocks: 0
; NumSGPRsForWavesPerEU: 4
; NumVGPRsForWavesPerEU: 1
; AccumOffset: 4
; Occupancy: 8
; WaveLimiterHint : 0
; COMPUTE_PGM_RSRC2:SCRATCH_EN: 0
; COMPUTE_PGM_RSRC2:USER_SGPR: 6
; COMPUTE_PGM_RSRC2:TRAP_HANDLER: 0
; COMPUTE_PGM_RSRC2:TGID_X_EN: 1
; COMPUTE_PGM_RSRC2:TGID_Y_EN: 0
; COMPUTE_PGM_RSRC2:TGID_Z_EN: 0
; COMPUTE_PGM_RSRC2:TIDIG_COMP_CNT: 0
; COMPUTE_PGM_RSRC3_GFX90A:ACCUM_OFFSET: 0
; COMPUTE_PGM_RSRC3_GFX90A:TG_SPLIT: 0
	.section	.text._ZN7rocprim17ROCPRIM_400000_NS6detail17trampoline_kernelINS0_14default_configENS1_35adjacent_difference_config_selectorILb1EiEEZNS1_24adjacent_difference_implIS3_Lb1ELb0EPiS7_N6thrust23THRUST_200600_302600_NS4plusIiEEEE10hipError_tPvRmT2_T3_mT4_P12ihipStream_tbEUlT_E_NS1_11comp_targetILNS1_3genE5ELNS1_11target_archE942ELNS1_3gpuE9ELNS1_3repE0EEENS1_30default_config_static_selectorELNS0_4arch9wavefront6targetE1EEEvT1_,"axG",@progbits,_ZN7rocprim17ROCPRIM_400000_NS6detail17trampoline_kernelINS0_14default_configENS1_35adjacent_difference_config_selectorILb1EiEEZNS1_24adjacent_difference_implIS3_Lb1ELb0EPiS7_N6thrust23THRUST_200600_302600_NS4plusIiEEEE10hipError_tPvRmT2_T3_mT4_P12ihipStream_tbEUlT_E_NS1_11comp_targetILNS1_3genE5ELNS1_11target_archE942ELNS1_3gpuE9ELNS1_3repE0EEENS1_30default_config_static_selectorELNS0_4arch9wavefront6targetE1EEEvT1_,comdat
	.protected	_ZN7rocprim17ROCPRIM_400000_NS6detail17trampoline_kernelINS0_14default_configENS1_35adjacent_difference_config_selectorILb1EiEEZNS1_24adjacent_difference_implIS3_Lb1ELb0EPiS7_N6thrust23THRUST_200600_302600_NS4plusIiEEEE10hipError_tPvRmT2_T3_mT4_P12ihipStream_tbEUlT_E_NS1_11comp_targetILNS1_3genE5ELNS1_11target_archE942ELNS1_3gpuE9ELNS1_3repE0EEENS1_30default_config_static_selectorELNS0_4arch9wavefront6targetE1EEEvT1_ ; -- Begin function _ZN7rocprim17ROCPRIM_400000_NS6detail17trampoline_kernelINS0_14default_configENS1_35adjacent_difference_config_selectorILb1EiEEZNS1_24adjacent_difference_implIS3_Lb1ELb0EPiS7_N6thrust23THRUST_200600_302600_NS4plusIiEEEE10hipError_tPvRmT2_T3_mT4_P12ihipStream_tbEUlT_E_NS1_11comp_targetILNS1_3genE5ELNS1_11target_archE942ELNS1_3gpuE9ELNS1_3repE0EEENS1_30default_config_static_selectorELNS0_4arch9wavefront6targetE1EEEvT1_
	.globl	_ZN7rocprim17ROCPRIM_400000_NS6detail17trampoline_kernelINS0_14default_configENS1_35adjacent_difference_config_selectorILb1EiEEZNS1_24adjacent_difference_implIS3_Lb1ELb0EPiS7_N6thrust23THRUST_200600_302600_NS4plusIiEEEE10hipError_tPvRmT2_T3_mT4_P12ihipStream_tbEUlT_E_NS1_11comp_targetILNS1_3genE5ELNS1_11target_archE942ELNS1_3gpuE9ELNS1_3repE0EEENS1_30default_config_static_selectorELNS0_4arch9wavefront6targetE1EEEvT1_
	.p2align	8
	.type	_ZN7rocprim17ROCPRIM_400000_NS6detail17trampoline_kernelINS0_14default_configENS1_35adjacent_difference_config_selectorILb1EiEEZNS1_24adjacent_difference_implIS3_Lb1ELb0EPiS7_N6thrust23THRUST_200600_302600_NS4plusIiEEEE10hipError_tPvRmT2_T3_mT4_P12ihipStream_tbEUlT_E_NS1_11comp_targetILNS1_3genE5ELNS1_11target_archE942ELNS1_3gpuE9ELNS1_3repE0EEENS1_30default_config_static_selectorELNS0_4arch9wavefront6targetE1EEEvT1_,@function
_ZN7rocprim17ROCPRIM_400000_NS6detail17trampoline_kernelINS0_14default_configENS1_35adjacent_difference_config_selectorILb1EiEEZNS1_24adjacent_difference_implIS3_Lb1ELb0EPiS7_N6thrust23THRUST_200600_302600_NS4plusIiEEEE10hipError_tPvRmT2_T3_mT4_P12ihipStream_tbEUlT_E_NS1_11comp_targetILNS1_3genE5ELNS1_11target_archE942ELNS1_3gpuE9ELNS1_3repE0EEENS1_30default_config_static_selectorELNS0_4arch9wavefront6targetE1EEEvT1_: ; @_ZN7rocprim17ROCPRIM_400000_NS6detail17trampoline_kernelINS0_14default_configENS1_35adjacent_difference_config_selectorILb1EiEEZNS1_24adjacent_difference_implIS3_Lb1ELb0EPiS7_N6thrust23THRUST_200600_302600_NS4plusIiEEEE10hipError_tPvRmT2_T3_mT4_P12ihipStream_tbEUlT_E_NS1_11comp_targetILNS1_3genE5ELNS1_11target_archE942ELNS1_3gpuE9ELNS1_3repE0EEENS1_30default_config_static_selectorELNS0_4arch9wavefront6targetE1EEEvT1_
; %bb.0:
	.section	.rodata,"a",@progbits
	.p2align	6, 0x0
	.amdhsa_kernel _ZN7rocprim17ROCPRIM_400000_NS6detail17trampoline_kernelINS0_14default_configENS1_35adjacent_difference_config_selectorILb1EiEEZNS1_24adjacent_difference_implIS3_Lb1ELb0EPiS7_N6thrust23THRUST_200600_302600_NS4plusIiEEEE10hipError_tPvRmT2_T3_mT4_P12ihipStream_tbEUlT_E_NS1_11comp_targetILNS1_3genE5ELNS1_11target_archE942ELNS1_3gpuE9ELNS1_3repE0EEENS1_30default_config_static_selectorELNS0_4arch9wavefront6targetE1EEEvT1_
		.amdhsa_group_segment_fixed_size 0
		.amdhsa_private_segment_fixed_size 0
		.amdhsa_kernarg_size 56
		.amdhsa_user_sgpr_count 6
		.amdhsa_user_sgpr_private_segment_buffer 1
		.amdhsa_user_sgpr_dispatch_ptr 0
		.amdhsa_user_sgpr_queue_ptr 0
		.amdhsa_user_sgpr_kernarg_segment_ptr 1
		.amdhsa_user_sgpr_dispatch_id 0
		.amdhsa_user_sgpr_flat_scratch_init 0
		.amdhsa_user_sgpr_kernarg_preload_length 0
		.amdhsa_user_sgpr_kernarg_preload_offset 0
		.amdhsa_user_sgpr_private_segment_size 0
		.amdhsa_uses_dynamic_stack 0
		.amdhsa_system_sgpr_private_segment_wavefront_offset 0
		.amdhsa_system_sgpr_workgroup_id_x 1
		.amdhsa_system_sgpr_workgroup_id_y 0
		.amdhsa_system_sgpr_workgroup_id_z 0
		.amdhsa_system_sgpr_workgroup_info 0
		.amdhsa_system_vgpr_workitem_id 0
		.amdhsa_next_free_vgpr 1
		.amdhsa_next_free_sgpr 0
		.amdhsa_accum_offset 4
		.amdhsa_reserve_vcc 0
		.amdhsa_reserve_flat_scratch 0
		.amdhsa_float_round_mode_32 0
		.amdhsa_float_round_mode_16_64 0
		.amdhsa_float_denorm_mode_32 3
		.amdhsa_float_denorm_mode_16_64 3
		.amdhsa_dx10_clamp 1
		.amdhsa_ieee_mode 1
		.amdhsa_fp16_overflow 0
		.amdhsa_tg_split 0
		.amdhsa_exception_fp_ieee_invalid_op 0
		.amdhsa_exception_fp_denorm_src 0
		.amdhsa_exception_fp_ieee_div_zero 0
		.amdhsa_exception_fp_ieee_overflow 0
		.amdhsa_exception_fp_ieee_underflow 0
		.amdhsa_exception_fp_ieee_inexact 0
		.amdhsa_exception_int_div_zero 0
	.end_amdhsa_kernel
	.section	.text._ZN7rocprim17ROCPRIM_400000_NS6detail17trampoline_kernelINS0_14default_configENS1_35adjacent_difference_config_selectorILb1EiEEZNS1_24adjacent_difference_implIS3_Lb1ELb0EPiS7_N6thrust23THRUST_200600_302600_NS4plusIiEEEE10hipError_tPvRmT2_T3_mT4_P12ihipStream_tbEUlT_E_NS1_11comp_targetILNS1_3genE5ELNS1_11target_archE942ELNS1_3gpuE9ELNS1_3repE0EEENS1_30default_config_static_selectorELNS0_4arch9wavefront6targetE1EEEvT1_,"axG",@progbits,_ZN7rocprim17ROCPRIM_400000_NS6detail17trampoline_kernelINS0_14default_configENS1_35adjacent_difference_config_selectorILb1EiEEZNS1_24adjacent_difference_implIS3_Lb1ELb0EPiS7_N6thrust23THRUST_200600_302600_NS4plusIiEEEE10hipError_tPvRmT2_T3_mT4_P12ihipStream_tbEUlT_E_NS1_11comp_targetILNS1_3genE5ELNS1_11target_archE942ELNS1_3gpuE9ELNS1_3repE0EEENS1_30default_config_static_selectorELNS0_4arch9wavefront6targetE1EEEvT1_,comdat
.Lfunc_end146:
	.size	_ZN7rocprim17ROCPRIM_400000_NS6detail17trampoline_kernelINS0_14default_configENS1_35adjacent_difference_config_selectorILb1EiEEZNS1_24adjacent_difference_implIS3_Lb1ELb0EPiS7_N6thrust23THRUST_200600_302600_NS4plusIiEEEE10hipError_tPvRmT2_T3_mT4_P12ihipStream_tbEUlT_E_NS1_11comp_targetILNS1_3genE5ELNS1_11target_archE942ELNS1_3gpuE9ELNS1_3repE0EEENS1_30default_config_static_selectorELNS0_4arch9wavefront6targetE1EEEvT1_, .Lfunc_end146-_ZN7rocprim17ROCPRIM_400000_NS6detail17trampoline_kernelINS0_14default_configENS1_35adjacent_difference_config_selectorILb1EiEEZNS1_24adjacent_difference_implIS3_Lb1ELb0EPiS7_N6thrust23THRUST_200600_302600_NS4plusIiEEEE10hipError_tPvRmT2_T3_mT4_P12ihipStream_tbEUlT_E_NS1_11comp_targetILNS1_3genE5ELNS1_11target_archE942ELNS1_3gpuE9ELNS1_3repE0EEENS1_30default_config_static_selectorELNS0_4arch9wavefront6targetE1EEEvT1_
                                        ; -- End function
	.section	.AMDGPU.csdata,"",@progbits
; Kernel info:
; codeLenInByte = 0
; NumSgprs: 4
; NumVgprs: 0
; NumAgprs: 0
; TotalNumVgprs: 0
; ScratchSize: 0
; MemoryBound: 0
; FloatMode: 240
; IeeeMode: 1
; LDSByteSize: 0 bytes/workgroup (compile time only)
; SGPRBlocks: 0
; VGPRBlocks: 0
; NumSGPRsForWavesPerEU: 4
; NumVGPRsForWavesPerEU: 1
; AccumOffset: 4
; Occupancy: 8
; WaveLimiterHint : 0
; COMPUTE_PGM_RSRC2:SCRATCH_EN: 0
; COMPUTE_PGM_RSRC2:USER_SGPR: 6
; COMPUTE_PGM_RSRC2:TRAP_HANDLER: 0
; COMPUTE_PGM_RSRC2:TGID_X_EN: 1
; COMPUTE_PGM_RSRC2:TGID_Y_EN: 0
; COMPUTE_PGM_RSRC2:TGID_Z_EN: 0
; COMPUTE_PGM_RSRC2:TIDIG_COMP_CNT: 0
; COMPUTE_PGM_RSRC3_GFX90A:ACCUM_OFFSET: 0
; COMPUTE_PGM_RSRC3_GFX90A:TG_SPLIT: 0
	.section	.text._ZN7rocprim17ROCPRIM_400000_NS6detail17trampoline_kernelINS0_14default_configENS1_35adjacent_difference_config_selectorILb1EiEEZNS1_24adjacent_difference_implIS3_Lb1ELb0EPiS7_N6thrust23THRUST_200600_302600_NS4plusIiEEEE10hipError_tPvRmT2_T3_mT4_P12ihipStream_tbEUlT_E_NS1_11comp_targetILNS1_3genE4ELNS1_11target_archE910ELNS1_3gpuE8ELNS1_3repE0EEENS1_30default_config_static_selectorELNS0_4arch9wavefront6targetE1EEEvT1_,"axG",@progbits,_ZN7rocprim17ROCPRIM_400000_NS6detail17trampoline_kernelINS0_14default_configENS1_35adjacent_difference_config_selectorILb1EiEEZNS1_24adjacent_difference_implIS3_Lb1ELb0EPiS7_N6thrust23THRUST_200600_302600_NS4plusIiEEEE10hipError_tPvRmT2_T3_mT4_P12ihipStream_tbEUlT_E_NS1_11comp_targetILNS1_3genE4ELNS1_11target_archE910ELNS1_3gpuE8ELNS1_3repE0EEENS1_30default_config_static_selectorELNS0_4arch9wavefront6targetE1EEEvT1_,comdat
	.protected	_ZN7rocprim17ROCPRIM_400000_NS6detail17trampoline_kernelINS0_14default_configENS1_35adjacent_difference_config_selectorILb1EiEEZNS1_24adjacent_difference_implIS3_Lb1ELb0EPiS7_N6thrust23THRUST_200600_302600_NS4plusIiEEEE10hipError_tPvRmT2_T3_mT4_P12ihipStream_tbEUlT_E_NS1_11comp_targetILNS1_3genE4ELNS1_11target_archE910ELNS1_3gpuE8ELNS1_3repE0EEENS1_30default_config_static_selectorELNS0_4arch9wavefront6targetE1EEEvT1_ ; -- Begin function _ZN7rocprim17ROCPRIM_400000_NS6detail17trampoline_kernelINS0_14default_configENS1_35adjacent_difference_config_selectorILb1EiEEZNS1_24adjacent_difference_implIS3_Lb1ELb0EPiS7_N6thrust23THRUST_200600_302600_NS4plusIiEEEE10hipError_tPvRmT2_T3_mT4_P12ihipStream_tbEUlT_E_NS1_11comp_targetILNS1_3genE4ELNS1_11target_archE910ELNS1_3gpuE8ELNS1_3repE0EEENS1_30default_config_static_selectorELNS0_4arch9wavefront6targetE1EEEvT1_
	.globl	_ZN7rocprim17ROCPRIM_400000_NS6detail17trampoline_kernelINS0_14default_configENS1_35adjacent_difference_config_selectorILb1EiEEZNS1_24adjacent_difference_implIS3_Lb1ELb0EPiS7_N6thrust23THRUST_200600_302600_NS4plusIiEEEE10hipError_tPvRmT2_T3_mT4_P12ihipStream_tbEUlT_E_NS1_11comp_targetILNS1_3genE4ELNS1_11target_archE910ELNS1_3gpuE8ELNS1_3repE0EEENS1_30default_config_static_selectorELNS0_4arch9wavefront6targetE1EEEvT1_
	.p2align	8
	.type	_ZN7rocprim17ROCPRIM_400000_NS6detail17trampoline_kernelINS0_14default_configENS1_35adjacent_difference_config_selectorILb1EiEEZNS1_24adjacent_difference_implIS3_Lb1ELb0EPiS7_N6thrust23THRUST_200600_302600_NS4plusIiEEEE10hipError_tPvRmT2_T3_mT4_P12ihipStream_tbEUlT_E_NS1_11comp_targetILNS1_3genE4ELNS1_11target_archE910ELNS1_3gpuE8ELNS1_3repE0EEENS1_30default_config_static_selectorELNS0_4arch9wavefront6targetE1EEEvT1_,@function
_ZN7rocprim17ROCPRIM_400000_NS6detail17trampoline_kernelINS0_14default_configENS1_35adjacent_difference_config_selectorILb1EiEEZNS1_24adjacent_difference_implIS3_Lb1ELb0EPiS7_N6thrust23THRUST_200600_302600_NS4plusIiEEEE10hipError_tPvRmT2_T3_mT4_P12ihipStream_tbEUlT_E_NS1_11comp_targetILNS1_3genE4ELNS1_11target_archE910ELNS1_3gpuE8ELNS1_3repE0EEENS1_30default_config_static_selectorELNS0_4arch9wavefront6targetE1EEEvT1_: ; @_ZN7rocprim17ROCPRIM_400000_NS6detail17trampoline_kernelINS0_14default_configENS1_35adjacent_difference_config_selectorILb1EiEEZNS1_24adjacent_difference_implIS3_Lb1ELb0EPiS7_N6thrust23THRUST_200600_302600_NS4plusIiEEEE10hipError_tPvRmT2_T3_mT4_P12ihipStream_tbEUlT_E_NS1_11comp_targetILNS1_3genE4ELNS1_11target_archE910ELNS1_3gpuE8ELNS1_3repE0EEENS1_30default_config_static_selectorELNS0_4arch9wavefront6targetE1EEEvT1_
; %bb.0:
	s_load_dwordx8 s[8:15], s[4:5], 0x0
	s_mov_b32 s0, 0x59999780
	s_load_dwordx4 s[16:19], s[4:5], 0x28
	s_movk_i32 s2, 0xa00
	s_mul_i32 s4, s6, 0xa00
	s_waitcnt lgkmcnt(0)
	s_lshl_b64 s[10:11], s[10:11], 2
	s_add_u32 s26, s8, s10
	s_addc_u32 s27, s9, s11
	s_add_u32 s0, 0xe0, s0
	s_addc_u32 s3, 0, 0
	v_add_co_u32_e64 v1, s[0:1], s0, 2.0
	s_cmp_lg_u64 s[0:1], 0
	s_addc_u32 s0, s3, 0x199999
	v_readfirstlane_b32 s3, v1
	s_mul_hi_u32 s5, s3, 0xfffff600
	s_mul_i32 s1, s0, 0xfffff600
	s_sub_i32 s5, s5, s3
	s_add_i32 s5, s5, s1
	s_mul_i32 s9, s3, 0xfffff600
	s_mul_hi_u32 s1, s3, s5
	s_mul_i32 s8, s3, s5
	s_mul_hi_u32 s3, s3, s9
	s_add_u32 s3, s3, s8
	s_addc_u32 s1, 0, s1
	s_mul_hi_u32 s20, s0, s9
	s_mul_i32 s9, s0, s9
	s_add_u32 s3, s3, s9
	s_mul_hi_u32 s8, s0, s5
	s_addc_u32 s1, s1, s20
	s_addc_u32 s3, s8, 0
	s_mul_i32 s5, s0, s5
	s_add_u32 s1, s1, s5
	s_addc_u32 s3, 0, s3
	v_add_co_u32_e32 v1, vcc, s1, v1
	s_cmp_lg_u64 vcc, 0
	s_addc_u32 s0, s0, s3
	v_readfirstlane_b32 s5, v1
	s_mul_i32 s3, s14, s0
	s_mul_hi_u32 s8, s14, s5
	s_mul_hi_u32 s1, s14, s0
	s_add_u32 s3, s8, s3
	s_addc_u32 s1, 0, s1
	s_mul_hi_u32 s9, s15, s5
	s_mul_i32 s5, s15, s5
	s_add_u32 s3, s3, s5
	s_mul_hi_u32 s8, s15, s0
	s_addc_u32 s1, s1, s9
	s_addc_u32 s3, s8, 0
	s_mul_i32 s0, s15, s0
	s_add_u32 s0, s1, s0
	s_addc_u32 s1, 0, s3
	s_add_u32 s3, s0, 1
	s_addc_u32 s5, s1, 0
	s_add_u32 s8, s0, 2
	s_mul_i32 s20, s1, 0xa00
	s_mul_hi_u32 s21, s0, 0xa00
	s_addc_u32 s9, s1, 0
	s_add_i32 s21, s21, s20
	s_mul_i32 s20, s0, 0xa00
	v_mov_b32_e32 v1, s20
	v_sub_co_u32_e32 v1, vcc, s14, v1
	s_cmp_lg_u64 vcc, 0
	s_subb_u32 s20, s15, s21
	v_subrev_co_u32_e32 v2, vcc, s2, v1
	s_cmp_lg_u64 vcc, 0
	s_subb_u32 s2, s20, 0
	v_readfirstlane_b32 s21, v2
	s_cmpk_gt_u32 s21, 0x9ff
	s_cselect_b32 s21, -1, 0
	s_cmp_eq_u32 s2, 0
	s_cselect_b32 s2, s21, -1
	s_cmp_lg_u32 s2, 0
	s_cselect_b32 s2, s8, s3
	s_cselect_b32 s3, s9, s5
	v_readfirstlane_b32 s5, v1
	s_cmpk_gt_u32 s5, 0x9ff
	s_cselect_b32 s5, -1, 0
	s_cmp_eq_u32 s20, 0
	s_cselect_b32 s5, s5, -1
	s_cmp_lg_u32 s5, 0
	s_cselect_b32 s3, s3, s1
	s_cselect_b32 s2, s2, s0
	s_mul_i32 s0, s3, 0xa00
	s_mul_hi_u32 s1, s2, 0xa00
	s_add_i32 s1, s1, s0
	s_mul_i32 s0, s2, 0xa00
	s_sub_u32 s0, s14, s0
	s_subb_u32 s1, s15, s1
	s_cmp_lg_u64 s[0:1], 0
	s_cselect_b64 s[0:1], -1, 0
	v_cndmask_b32_e64 v1, 0, 1, s[0:1]
	v_readfirstlane_b32 s0, v1
	s_add_u32 s2, s2, s0
	s_addc_u32 s3, s3, 0
	s_add_u32 s8, s18, s6
	s_addc_u32 s9, s19, 0
	s_add_u32 s20, s2, -1
	s_addc_u32 s21, s3, -1
	v_pk_mov_b32 v[2:3], s[20:21], s[20:21] op_sel:[0,1]
	v_cmp_ge_u64_e64 s[0:1], s[8:9], v[2:3]
	s_mov_b32 s7, 0
	s_mov_b64 s[22:23], -1
	s_and_b64 vcc, exec, s[0:1]
	s_mul_i32 s15, s20, 0xfffff600
	s_cbranch_vccz .LBB147_12
; %bb.1:
	s_mov_b32 s5, s7
	s_add_i32 s28, s15, s14
	s_lshl_b64 s[22:23], s[4:5], 2
	s_add_u32 s22, s26, s22
	s_addc_u32 s23, s27, s23
	v_cmp_gt_u32_e32 vcc, s28, v0
                                        ; implicit-def: $vgpr2_vgpr3_vgpr4_vgpr5_vgpr6
	s_and_saveexec_b64 s[24:25], vcc
	s_cbranch_execz .LBB147_3
; %bb.2:
	v_lshlrev_b32_e32 v1, 2, v0
	global_load_dword v2, v1, s[22:23]
.LBB147_3:
	s_or_b64 exec, exec, s[24:25]
	v_or_b32_e32 v1, 0x200, v0
	v_cmp_gt_u32_e32 vcc, s28, v1
	s_and_saveexec_b64 s[24:25], vcc
	s_cbranch_execz .LBB147_5
; %bb.4:
	v_lshlrev_b32_e32 v1, 2, v0
	global_load_dword v3, v1, s[22:23] offset:2048
.LBB147_5:
	s_or_b64 exec, exec, s[24:25]
	v_or_b32_e32 v1, 0x400, v0
	v_cmp_gt_u32_e32 vcc, s28, v1
	s_and_saveexec_b64 s[24:25], vcc
	s_cbranch_execz .LBB147_7
; %bb.6:
	v_lshlrev_b32_e32 v1, 2, v1
	global_load_dword v4, v1, s[22:23]
.LBB147_7:
	s_or_b64 exec, exec, s[24:25]
	v_or_b32_e32 v1, 0x600, v0
	v_cmp_gt_u32_e32 vcc, s28, v1
	s_and_saveexec_b64 s[24:25], vcc
	s_cbranch_execz .LBB147_9
; %bb.8:
	v_lshlrev_b32_e32 v1, 2, v1
	global_load_dword v5, v1, s[22:23]
.LBB147_9:
	;; [unrolled: 9-line block ×3, first 2 shown]
	s_or_b64 exec, exec, s[24:25]
	v_lshlrev_b32_e32 v1, 2, v0
	s_mov_b64 s[22:23], 0
	s_waitcnt vmcnt(0)
	ds_write2st64_b32 v1, v2, v3 offset1:8
	ds_write2st64_b32 v1, v4, v5 offset0:16 offset1:24
	ds_write_b32 v1, v6 offset:8192
	s_waitcnt lgkmcnt(0)
	s_barrier
.LBB147_12:
	s_and_b64 vcc, exec, s[22:23]
	v_lshlrev_b32_e32 v1, 2, v0
	s_cbranch_vccz .LBB147_14
; %bb.13:
	s_mov_b32 s5, 0
	s_lshl_b64 s[22:23], s[4:5], 2
	s_add_u32 s22, s26, s22
	s_addc_u32 s23, s27, s23
	v_mov_b32_e32 v2, s23
	v_add_co_u32_e32 v4, vcc, s22, v1
	v_addc_co_u32_e32 v5, vcc, 0, v2, vcc
	v_add_co_u32_e32 v2, vcc, 0x1000, v4
	v_addc_co_u32_e32 v3, vcc, 0, v5, vcc
	global_load_dword v6, v1, s[22:23]
	global_load_dword v7, v1, s[22:23] offset:2048
	global_load_dword v8, v[2:3], off
	global_load_dword v9, v[2:3], off offset:2048
	v_add_co_u32_e32 v2, vcc, 0x2000, v4
	v_addc_co_u32_e32 v3, vcc, 0, v5, vcc
	global_load_dword v2, v[2:3], off
	s_waitcnt vmcnt(3)
	ds_write2st64_b32 v1, v6, v7 offset1:8
	s_waitcnt vmcnt(1)
	ds_write2st64_b32 v1, v8, v9 offset0:16 offset1:24
	s_waitcnt vmcnt(0)
	ds_write_b32 v1, v2 offset:8192
	s_waitcnt lgkmcnt(0)
	s_barrier
.LBB147_14:
	v_mul_u32_u24_e32 v2, 5, v0
	v_lshlrev_b32_e32 v3, 2, v2
	ds_read_b32 v2, v3
	ds_read2_b32 v[20:21], v3 offset0:1 offset1:2
	ds_read2_b32 v[22:23], v3 offset0:3 offset1:4
	s_cmp_eq_u64 s[8:9], 0
	s_waitcnt lgkmcnt(0)
	s_barrier
	s_cbranch_scc1 .LBB147_19
; %bb.15:
	s_lshl_b64 s[18:19], s[18:19], 2
	s_add_u32 s5, s16, s18
	s_addc_u32 s16, s17, s19
	s_lshl_b64 s[6:7], s[6:7], 2
	s_add_u32 s5, s5, s6
	s_addc_u32 s7, s16, s7
	s_add_u32 s6, s5, -4
	s_addc_u32 s7, s7, -1
	s_load_dword s5, s[6:7], 0x0
	s_cmp_eq_u64 s[8:9], s[20:21]
	s_cbranch_scc1 .LBB147_20
; %bb.16:
	v_cmp_ne_u32_e32 vcc, 0, v0
	s_waitcnt lgkmcnt(0)
	v_mov_b32_e32 v3, s5
	ds_write_b32 v1, v23
	s_waitcnt lgkmcnt(0)
	s_barrier
	s_and_saveexec_b64 s[6:7], vcc
	s_cbranch_execz .LBB147_18
; %bb.17:
	v_add_u32_e32 v3, -4, v1
	ds_read_b32 v3, v3
.LBB147_18:
	s_or_b64 exec, exec, s[6:7]
	v_add_u32_e32 v8, v23, v22
	v_add_u32_e32 v9, v22, v21
	;; [unrolled: 1-line block ×4, first 2 shown]
	s_cbranch_execz .LBB147_21
	s_branch .LBB147_24
.LBB147_19:
                                        ; implicit-def: $vgpr14_vgpr15_vgpr16_vgpr17_vgpr18
                                        ; implicit-def: $vgpr10_vgpr11_vgpr12_vgpr13_vgpr14
	s_mov_b64 s[6:7], 0
                                        ; implicit-def: $vgpr6_vgpr7_vgpr8_vgpr9_vgpr10
                                        ; implicit-def: $vgpr3
                                        ; implicit-def: $vgpr4_vgpr5_vgpr6_vgpr7_vgpr8
	s_branch .LBB147_25
.LBB147_20:
                                        ; implicit-def: $vgpr14_vgpr15_vgpr16_vgpr17_vgpr18
                                        ; implicit-def: $vgpr10_vgpr11_vgpr12_vgpr13_vgpr14
                                        ; implicit-def: $vgpr3
                                        ; implicit-def: $vgpr6_vgpr7_vgpr8_vgpr9_vgpr10
                                        ; implicit-def: $vgpr4_vgpr5_vgpr6_vgpr7_vgpr8
.LBB147_21:
	s_waitcnt lgkmcnt(0)
	v_mul_u32_u24_e32 v3, 5, v0
	v_cmp_ne_u32_e32 vcc, 0, v0
	v_mov_b32_e32 v4, s5
	ds_write_b32 v1, v23
	s_waitcnt lgkmcnt(0)
	s_barrier
	s_and_saveexec_b64 s[6:7], vcc
	s_cbranch_execz .LBB147_23
; %bb.22:
	v_add_u32_e32 v4, -4, v1
	ds_read_b32 v4, v4
.LBB147_23:
	s_or_b64 exec, exec, s[6:7]
	s_mul_i32 s5, s8, 0xfffff600
	s_add_i32 s5, s5, s14
	v_add_u32_e32 v5, 4, v3
	v_add_u32_e32 v6, v23, v22
	v_cmp_gt_u32_e32 vcc, s5, v5
	v_add_u32_e32 v5, 3, v3
	v_cndmask_b32_e32 v8, v23, v6, vcc
	v_add_u32_e32 v6, v22, v21
	v_cmp_gt_u32_e32 vcc, s5, v5
	v_add_u32_e32 v5, 2, v3
	v_cndmask_b32_e32 v9, v22, v6, vcc
	;; [unrolled: 4-line block ×3, first 2 shown]
	v_add_u32_e32 v6, v20, v2
	v_cmp_gt_u32_e32 vcc, s5, v5
	v_cndmask_b32_e32 v15, v20, v6, vcc
	v_cmp_gt_u32_e32 vcc, s5, v3
	s_waitcnt lgkmcnt(0)
	v_cndmask_b32_e32 v3, 0, v4, vcc
.LBB147_24:
	s_mov_b64 s[6:7], -1
	s_cbranch_execnz .LBB147_33
.LBB147_25:
	s_cmp_lg_u64 s[2:3], 1
	v_add_u32_e32 v9, v22, v21
	v_add_u32_e32 v8, v23, v22
	;; [unrolled: 1-line block ×4, first 2 shown]
	v_cmp_ne_u32_e32 vcc, 0, v0
	s_cbranch_scc0 .LBB147_29
; %bb.26:
	ds_write_b32 v1, v23
	s_waitcnt lgkmcnt(0)
	s_barrier
	s_waitcnt lgkmcnt(0)
                                        ; implicit-def: $vgpr3
	s_and_saveexec_b64 s[2:3], vcc
	s_cbranch_execz .LBB147_28
; %bb.27:
	v_add_u32_e32 v3, -4, v1
	ds_read_b32 v3, v3
	s_or_b64 s[6:7], s[6:7], exec
.LBB147_28:
	s_or_b64 exec, exec, s[2:3]
	s_branch .LBB147_33
.LBB147_29:
                                        ; implicit-def: $vgpr3
	s_cbranch_execz .LBB147_33
; %bb.30:
	v_mad_u32_u24 v4, v0, 5, 4
	v_cmp_gt_u32_e32 vcc, s14, v4
	v_mad_u32_u24 v4, v0, 5, 3
	v_cndmask_b32_e32 v8, v23, v8, vcc
	v_cmp_gt_u32_e32 vcc, s14, v4
	v_mad_u32_u24 v4, v0, 5, 2
	v_cndmask_b32_e32 v9, v22, v9, vcc
	v_cmp_gt_u32_e32 vcc, s14, v4
	v_mad_u32_u24 v4, v0, 5, 1
	s_waitcnt lgkmcnt(0)
	v_mul_u32_u24_e32 v3, 5, v0
	v_cndmask_b32_e32 v12, v21, v12, vcc
	v_cmp_gt_u32_e32 vcc, s14, v4
	v_cndmask_b32_e32 v15, v20, v15, vcc
	v_cmp_ne_u32_e32 vcc, 0, v0
	v_cmp_gt_u32_e64 s[2:3], s14, v3
	s_and_b64 s[8:9], vcc, s[2:3]
	ds_write_b32 v1, v23
	s_waitcnt lgkmcnt(0)
	s_barrier
	s_waitcnt lgkmcnt(0)
                                        ; implicit-def: $vgpr3
	s_and_saveexec_b64 s[2:3], s[8:9]
	s_cbranch_execz .LBB147_32
; %bb.31:
	v_add_u32_e32 v3, -4, v1
	ds_read_b32 v3, v3
	s_or_b64 s[6:7], s[6:7], exec
.LBB147_32:
	s_or_b64 exec, exec, s[2:3]
.LBB147_33:
	s_and_saveexec_b64 s[2:3], s[6:7]
	s_cbranch_execz .LBB147_35
; %bb.34:
	s_waitcnt lgkmcnt(0)
	v_add_u32_e32 v2, v3, v2
.LBB147_35:
	s_or_b64 exec, exec, s[2:3]
	s_add_u32 s6, s12, s10
	s_addc_u32 s7, s13, s11
	s_and_b64 vcc, exec, s[0:1]
	s_waitcnt lgkmcnt(0)
	v_mul_u32_u24_e32 v3, 20, v0
	v_lshlrev_b32_e32 v13, 4, v0
	s_barrier
	s_cbranch_vccz .LBB147_45
; %bb.36:
	s_mov_b32 s5, 0
	s_add_i32 s15, s15, s14
	s_lshl_b64 s[0:1], s[4:5], 2
	v_sub_u32_e32 v4, v3, v13
	s_add_u32 s0, s6, s0
	ds_write2_b32 v3, v2, v15 offset1:1
	ds_write2_b32 v3, v12, v9 offset0:2 offset1:3
	ds_write_b32 v3, v8 offset:16
	s_waitcnt lgkmcnt(0)
	s_barrier
	ds_read2st64_b32 v[10:11], v4 offset0:8 offset1:16
	ds_read2st64_b32 v[4:5], v4 offset0:24 offset1:32
	s_addc_u32 s1, s7, s1
	v_mov_b32_e32 v7, s1
	v_add_co_u32_e32 v6, vcc, s0, v1
	v_addc_co_u32_e32 v7, vcc, 0, v7, vcc
	v_cmp_gt_u32_e32 vcc, s15, v0
	s_and_saveexec_b64 s[0:1], vcc
	s_cbranch_execz .LBB147_38
; %bb.37:
	v_sub_u32_e32 v14, 0, v13
	v_add_u32_e32 v14, v3, v14
	ds_read_b32 v14, v14
	s_waitcnt lgkmcnt(0)
	global_store_dword v[6:7], v14, off
.LBB147_38:
	s_or_b64 exec, exec, s[0:1]
	v_or_b32_e32 v14, 0x200, v0
	v_cmp_gt_u32_e32 vcc, s15, v14
	s_and_saveexec_b64 s[0:1], vcc
	s_cbranch_execz .LBB147_40
; %bb.39:
	s_waitcnt lgkmcnt(1)
	global_store_dword v[6:7], v10, off offset:2048
.LBB147_40:
	s_or_b64 exec, exec, s[0:1]
	s_waitcnt lgkmcnt(1)
	v_or_b32_e32 v10, 0x400, v0
	v_cmp_gt_u32_e32 vcc, s15, v10
	s_and_saveexec_b64 s[0:1], vcc
	s_cbranch_execz .LBB147_42
; %bb.41:
	v_add_co_u32_e32 v16, vcc, 0x1000, v6
	v_addc_co_u32_e32 v17, vcc, 0, v7, vcc
	global_store_dword v[16:17], v11, off
.LBB147_42:
	s_or_b64 exec, exec, s[0:1]
	v_or_b32_e32 v10, 0x600, v0
	v_cmp_gt_u32_e32 vcc, s15, v10
	s_and_saveexec_b64 s[0:1], vcc
	s_cbranch_execz .LBB147_44
; %bb.43:
	v_add_co_u32_e32 v10, vcc, 0x1000, v6
	v_addc_co_u32_e32 v11, vcc, 0, v7, vcc
	s_waitcnt lgkmcnt(0)
	global_store_dword v[10:11], v4, off offset:2048
.LBB147_44:
	s_or_b64 exec, exec, s[0:1]
	v_or_b32_e32 v0, 0x800, v0
	v_cmp_gt_u32_e64 s[0:1], s15, v0
	s_branch .LBB147_47
.LBB147_45:
	s_mov_b64 s[0:1], 0
                                        ; implicit-def: $vgpr5
                                        ; implicit-def: $vgpr6_vgpr7
	s_cbranch_execz .LBB147_47
; %bb.46:
	s_mov_b32 s5, 0
	s_lshl_b64 s[2:3], s[4:5], 2
	s_add_u32 s2, s6, s2
	s_addc_u32 s3, s7, s3
	v_sub_u32_e32 v0, v3, v13
	ds_write2_b32 v3, v2, v15 offset1:1
	ds_write2_b32 v3, v12, v9 offset0:2 offset1:3
	ds_write_b32 v3, v8 offset:16
	s_waitcnt lgkmcnt(0)
	s_barrier
	ds_read2st64_b32 v[2:3], v0 offset1:8
	ds_read2st64_b32 v[8:9], v0 offset0:16 offset1:24
	ds_read_b32 v5, v0 offset:8192
	v_mov_b32_e32 v0, s3
	v_add_co_u32_e32 v6, vcc, s2, v1
	v_addc_co_u32_e32 v7, vcc, 0, v0, vcc
	v_add_co_u32_e32 v0, vcc, 0x1000, v6
	s_waitcnt lgkmcnt(2)
	global_store_dword v1, v2, s[2:3]
	global_store_dword v1, v3, s[2:3] offset:2048
	v_addc_co_u32_e32 v1, vcc, 0, v7, vcc
	s_or_b64 s[0:1], s[0:1], exec
	s_waitcnt lgkmcnt(1)
	global_store_dword v[0:1], v8, off
	global_store_dword v[0:1], v9, off offset:2048
.LBB147_47:
	s_and_saveexec_b64 s[2:3], s[0:1]
	s_cbranch_execnz .LBB147_49
; %bb.48:
	s_endpgm
.LBB147_49:
	v_add_co_u32_e32 v0, vcc, 0x2000, v6
	v_addc_co_u32_e32 v1, vcc, 0, v7, vcc
	s_waitcnt lgkmcnt(0)
	global_store_dword v[0:1], v5, off
	s_endpgm
	.section	.rodata,"a",@progbits
	.p2align	6, 0x0
	.amdhsa_kernel _ZN7rocprim17ROCPRIM_400000_NS6detail17trampoline_kernelINS0_14default_configENS1_35adjacent_difference_config_selectorILb1EiEEZNS1_24adjacent_difference_implIS3_Lb1ELb0EPiS7_N6thrust23THRUST_200600_302600_NS4plusIiEEEE10hipError_tPvRmT2_T3_mT4_P12ihipStream_tbEUlT_E_NS1_11comp_targetILNS1_3genE4ELNS1_11target_archE910ELNS1_3gpuE8ELNS1_3repE0EEENS1_30default_config_static_selectorELNS0_4arch9wavefront6targetE1EEEvT1_
		.amdhsa_group_segment_fixed_size 10240
		.amdhsa_private_segment_fixed_size 0
		.amdhsa_kernarg_size 56
		.amdhsa_user_sgpr_count 6
		.amdhsa_user_sgpr_private_segment_buffer 1
		.amdhsa_user_sgpr_dispatch_ptr 0
		.amdhsa_user_sgpr_queue_ptr 0
		.amdhsa_user_sgpr_kernarg_segment_ptr 1
		.amdhsa_user_sgpr_dispatch_id 0
		.amdhsa_user_sgpr_flat_scratch_init 0
		.amdhsa_user_sgpr_kernarg_preload_length 0
		.amdhsa_user_sgpr_kernarg_preload_offset 0
		.amdhsa_user_sgpr_private_segment_size 0
		.amdhsa_uses_dynamic_stack 0
		.amdhsa_system_sgpr_private_segment_wavefront_offset 0
		.amdhsa_system_sgpr_workgroup_id_x 1
		.amdhsa_system_sgpr_workgroup_id_y 0
		.amdhsa_system_sgpr_workgroup_id_z 0
		.amdhsa_system_sgpr_workgroup_info 0
		.amdhsa_system_vgpr_workitem_id 0
		.amdhsa_next_free_vgpr 24
		.amdhsa_next_free_sgpr 29
		.amdhsa_accum_offset 24
		.amdhsa_reserve_vcc 1
		.amdhsa_reserve_flat_scratch 0
		.amdhsa_float_round_mode_32 0
		.amdhsa_float_round_mode_16_64 0
		.amdhsa_float_denorm_mode_32 3
		.amdhsa_float_denorm_mode_16_64 3
		.amdhsa_dx10_clamp 1
		.amdhsa_ieee_mode 1
		.amdhsa_fp16_overflow 0
		.amdhsa_tg_split 0
		.amdhsa_exception_fp_ieee_invalid_op 0
		.amdhsa_exception_fp_denorm_src 0
		.amdhsa_exception_fp_ieee_div_zero 0
		.amdhsa_exception_fp_ieee_overflow 0
		.amdhsa_exception_fp_ieee_underflow 0
		.amdhsa_exception_fp_ieee_inexact 0
		.amdhsa_exception_int_div_zero 0
	.end_amdhsa_kernel
	.section	.text._ZN7rocprim17ROCPRIM_400000_NS6detail17trampoline_kernelINS0_14default_configENS1_35adjacent_difference_config_selectorILb1EiEEZNS1_24adjacent_difference_implIS3_Lb1ELb0EPiS7_N6thrust23THRUST_200600_302600_NS4plusIiEEEE10hipError_tPvRmT2_T3_mT4_P12ihipStream_tbEUlT_E_NS1_11comp_targetILNS1_3genE4ELNS1_11target_archE910ELNS1_3gpuE8ELNS1_3repE0EEENS1_30default_config_static_selectorELNS0_4arch9wavefront6targetE1EEEvT1_,"axG",@progbits,_ZN7rocprim17ROCPRIM_400000_NS6detail17trampoline_kernelINS0_14default_configENS1_35adjacent_difference_config_selectorILb1EiEEZNS1_24adjacent_difference_implIS3_Lb1ELb0EPiS7_N6thrust23THRUST_200600_302600_NS4plusIiEEEE10hipError_tPvRmT2_T3_mT4_P12ihipStream_tbEUlT_E_NS1_11comp_targetILNS1_3genE4ELNS1_11target_archE910ELNS1_3gpuE8ELNS1_3repE0EEENS1_30default_config_static_selectorELNS0_4arch9wavefront6targetE1EEEvT1_,comdat
.Lfunc_end147:
	.size	_ZN7rocprim17ROCPRIM_400000_NS6detail17trampoline_kernelINS0_14default_configENS1_35adjacent_difference_config_selectorILb1EiEEZNS1_24adjacent_difference_implIS3_Lb1ELb0EPiS7_N6thrust23THRUST_200600_302600_NS4plusIiEEEE10hipError_tPvRmT2_T3_mT4_P12ihipStream_tbEUlT_E_NS1_11comp_targetILNS1_3genE4ELNS1_11target_archE910ELNS1_3gpuE8ELNS1_3repE0EEENS1_30default_config_static_selectorELNS0_4arch9wavefront6targetE1EEEvT1_, .Lfunc_end147-_ZN7rocprim17ROCPRIM_400000_NS6detail17trampoline_kernelINS0_14default_configENS1_35adjacent_difference_config_selectorILb1EiEEZNS1_24adjacent_difference_implIS3_Lb1ELb0EPiS7_N6thrust23THRUST_200600_302600_NS4plusIiEEEE10hipError_tPvRmT2_T3_mT4_P12ihipStream_tbEUlT_E_NS1_11comp_targetILNS1_3genE4ELNS1_11target_archE910ELNS1_3gpuE8ELNS1_3repE0EEENS1_30default_config_static_selectorELNS0_4arch9wavefront6targetE1EEEvT1_
                                        ; -- End function
	.section	.AMDGPU.csdata,"",@progbits
; Kernel info:
; codeLenInByte = 1964
; NumSgprs: 33
; NumVgprs: 24
; NumAgprs: 0
; TotalNumVgprs: 24
; ScratchSize: 0
; MemoryBound: 0
; FloatMode: 240
; IeeeMode: 1
; LDSByteSize: 10240 bytes/workgroup (compile time only)
; SGPRBlocks: 4
; VGPRBlocks: 2
; NumSGPRsForWavesPerEU: 33
; NumVGPRsForWavesPerEU: 24
; AccumOffset: 24
; Occupancy: 8
; WaveLimiterHint : 1
; COMPUTE_PGM_RSRC2:SCRATCH_EN: 0
; COMPUTE_PGM_RSRC2:USER_SGPR: 6
; COMPUTE_PGM_RSRC2:TRAP_HANDLER: 0
; COMPUTE_PGM_RSRC2:TGID_X_EN: 1
; COMPUTE_PGM_RSRC2:TGID_Y_EN: 0
; COMPUTE_PGM_RSRC2:TGID_Z_EN: 0
; COMPUTE_PGM_RSRC2:TIDIG_COMP_CNT: 0
; COMPUTE_PGM_RSRC3_GFX90A:ACCUM_OFFSET: 5
; COMPUTE_PGM_RSRC3_GFX90A:TG_SPLIT: 0
	.section	.text._ZN7rocprim17ROCPRIM_400000_NS6detail17trampoline_kernelINS0_14default_configENS1_35adjacent_difference_config_selectorILb1EiEEZNS1_24adjacent_difference_implIS3_Lb1ELb0EPiS7_N6thrust23THRUST_200600_302600_NS4plusIiEEEE10hipError_tPvRmT2_T3_mT4_P12ihipStream_tbEUlT_E_NS1_11comp_targetILNS1_3genE3ELNS1_11target_archE908ELNS1_3gpuE7ELNS1_3repE0EEENS1_30default_config_static_selectorELNS0_4arch9wavefront6targetE1EEEvT1_,"axG",@progbits,_ZN7rocprim17ROCPRIM_400000_NS6detail17trampoline_kernelINS0_14default_configENS1_35adjacent_difference_config_selectorILb1EiEEZNS1_24adjacent_difference_implIS3_Lb1ELb0EPiS7_N6thrust23THRUST_200600_302600_NS4plusIiEEEE10hipError_tPvRmT2_T3_mT4_P12ihipStream_tbEUlT_E_NS1_11comp_targetILNS1_3genE3ELNS1_11target_archE908ELNS1_3gpuE7ELNS1_3repE0EEENS1_30default_config_static_selectorELNS0_4arch9wavefront6targetE1EEEvT1_,comdat
	.protected	_ZN7rocprim17ROCPRIM_400000_NS6detail17trampoline_kernelINS0_14default_configENS1_35adjacent_difference_config_selectorILb1EiEEZNS1_24adjacent_difference_implIS3_Lb1ELb0EPiS7_N6thrust23THRUST_200600_302600_NS4plusIiEEEE10hipError_tPvRmT2_T3_mT4_P12ihipStream_tbEUlT_E_NS1_11comp_targetILNS1_3genE3ELNS1_11target_archE908ELNS1_3gpuE7ELNS1_3repE0EEENS1_30default_config_static_selectorELNS0_4arch9wavefront6targetE1EEEvT1_ ; -- Begin function _ZN7rocprim17ROCPRIM_400000_NS6detail17trampoline_kernelINS0_14default_configENS1_35adjacent_difference_config_selectorILb1EiEEZNS1_24adjacent_difference_implIS3_Lb1ELb0EPiS7_N6thrust23THRUST_200600_302600_NS4plusIiEEEE10hipError_tPvRmT2_T3_mT4_P12ihipStream_tbEUlT_E_NS1_11comp_targetILNS1_3genE3ELNS1_11target_archE908ELNS1_3gpuE7ELNS1_3repE0EEENS1_30default_config_static_selectorELNS0_4arch9wavefront6targetE1EEEvT1_
	.globl	_ZN7rocprim17ROCPRIM_400000_NS6detail17trampoline_kernelINS0_14default_configENS1_35adjacent_difference_config_selectorILb1EiEEZNS1_24adjacent_difference_implIS3_Lb1ELb0EPiS7_N6thrust23THRUST_200600_302600_NS4plusIiEEEE10hipError_tPvRmT2_T3_mT4_P12ihipStream_tbEUlT_E_NS1_11comp_targetILNS1_3genE3ELNS1_11target_archE908ELNS1_3gpuE7ELNS1_3repE0EEENS1_30default_config_static_selectorELNS0_4arch9wavefront6targetE1EEEvT1_
	.p2align	8
	.type	_ZN7rocprim17ROCPRIM_400000_NS6detail17trampoline_kernelINS0_14default_configENS1_35adjacent_difference_config_selectorILb1EiEEZNS1_24adjacent_difference_implIS3_Lb1ELb0EPiS7_N6thrust23THRUST_200600_302600_NS4plusIiEEEE10hipError_tPvRmT2_T3_mT4_P12ihipStream_tbEUlT_E_NS1_11comp_targetILNS1_3genE3ELNS1_11target_archE908ELNS1_3gpuE7ELNS1_3repE0EEENS1_30default_config_static_selectorELNS0_4arch9wavefront6targetE1EEEvT1_,@function
_ZN7rocprim17ROCPRIM_400000_NS6detail17trampoline_kernelINS0_14default_configENS1_35adjacent_difference_config_selectorILb1EiEEZNS1_24adjacent_difference_implIS3_Lb1ELb0EPiS7_N6thrust23THRUST_200600_302600_NS4plusIiEEEE10hipError_tPvRmT2_T3_mT4_P12ihipStream_tbEUlT_E_NS1_11comp_targetILNS1_3genE3ELNS1_11target_archE908ELNS1_3gpuE7ELNS1_3repE0EEENS1_30default_config_static_selectorELNS0_4arch9wavefront6targetE1EEEvT1_: ; @_ZN7rocprim17ROCPRIM_400000_NS6detail17trampoline_kernelINS0_14default_configENS1_35adjacent_difference_config_selectorILb1EiEEZNS1_24adjacent_difference_implIS3_Lb1ELb0EPiS7_N6thrust23THRUST_200600_302600_NS4plusIiEEEE10hipError_tPvRmT2_T3_mT4_P12ihipStream_tbEUlT_E_NS1_11comp_targetILNS1_3genE3ELNS1_11target_archE908ELNS1_3gpuE7ELNS1_3repE0EEENS1_30default_config_static_selectorELNS0_4arch9wavefront6targetE1EEEvT1_
; %bb.0:
	.section	.rodata,"a",@progbits
	.p2align	6, 0x0
	.amdhsa_kernel _ZN7rocprim17ROCPRIM_400000_NS6detail17trampoline_kernelINS0_14default_configENS1_35adjacent_difference_config_selectorILb1EiEEZNS1_24adjacent_difference_implIS3_Lb1ELb0EPiS7_N6thrust23THRUST_200600_302600_NS4plusIiEEEE10hipError_tPvRmT2_T3_mT4_P12ihipStream_tbEUlT_E_NS1_11comp_targetILNS1_3genE3ELNS1_11target_archE908ELNS1_3gpuE7ELNS1_3repE0EEENS1_30default_config_static_selectorELNS0_4arch9wavefront6targetE1EEEvT1_
		.amdhsa_group_segment_fixed_size 0
		.amdhsa_private_segment_fixed_size 0
		.amdhsa_kernarg_size 56
		.amdhsa_user_sgpr_count 6
		.amdhsa_user_sgpr_private_segment_buffer 1
		.amdhsa_user_sgpr_dispatch_ptr 0
		.amdhsa_user_sgpr_queue_ptr 0
		.amdhsa_user_sgpr_kernarg_segment_ptr 1
		.amdhsa_user_sgpr_dispatch_id 0
		.amdhsa_user_sgpr_flat_scratch_init 0
		.amdhsa_user_sgpr_kernarg_preload_length 0
		.amdhsa_user_sgpr_kernarg_preload_offset 0
		.amdhsa_user_sgpr_private_segment_size 0
		.amdhsa_uses_dynamic_stack 0
		.amdhsa_system_sgpr_private_segment_wavefront_offset 0
		.amdhsa_system_sgpr_workgroup_id_x 1
		.amdhsa_system_sgpr_workgroup_id_y 0
		.amdhsa_system_sgpr_workgroup_id_z 0
		.amdhsa_system_sgpr_workgroup_info 0
		.amdhsa_system_vgpr_workitem_id 0
		.amdhsa_next_free_vgpr 1
		.amdhsa_next_free_sgpr 0
		.amdhsa_accum_offset 4
		.amdhsa_reserve_vcc 0
		.amdhsa_reserve_flat_scratch 0
		.amdhsa_float_round_mode_32 0
		.amdhsa_float_round_mode_16_64 0
		.amdhsa_float_denorm_mode_32 3
		.amdhsa_float_denorm_mode_16_64 3
		.amdhsa_dx10_clamp 1
		.amdhsa_ieee_mode 1
		.amdhsa_fp16_overflow 0
		.amdhsa_tg_split 0
		.amdhsa_exception_fp_ieee_invalid_op 0
		.amdhsa_exception_fp_denorm_src 0
		.amdhsa_exception_fp_ieee_div_zero 0
		.amdhsa_exception_fp_ieee_overflow 0
		.amdhsa_exception_fp_ieee_underflow 0
		.amdhsa_exception_fp_ieee_inexact 0
		.amdhsa_exception_int_div_zero 0
	.end_amdhsa_kernel
	.section	.text._ZN7rocprim17ROCPRIM_400000_NS6detail17trampoline_kernelINS0_14default_configENS1_35adjacent_difference_config_selectorILb1EiEEZNS1_24adjacent_difference_implIS3_Lb1ELb0EPiS7_N6thrust23THRUST_200600_302600_NS4plusIiEEEE10hipError_tPvRmT2_T3_mT4_P12ihipStream_tbEUlT_E_NS1_11comp_targetILNS1_3genE3ELNS1_11target_archE908ELNS1_3gpuE7ELNS1_3repE0EEENS1_30default_config_static_selectorELNS0_4arch9wavefront6targetE1EEEvT1_,"axG",@progbits,_ZN7rocprim17ROCPRIM_400000_NS6detail17trampoline_kernelINS0_14default_configENS1_35adjacent_difference_config_selectorILb1EiEEZNS1_24adjacent_difference_implIS3_Lb1ELb0EPiS7_N6thrust23THRUST_200600_302600_NS4plusIiEEEE10hipError_tPvRmT2_T3_mT4_P12ihipStream_tbEUlT_E_NS1_11comp_targetILNS1_3genE3ELNS1_11target_archE908ELNS1_3gpuE7ELNS1_3repE0EEENS1_30default_config_static_selectorELNS0_4arch9wavefront6targetE1EEEvT1_,comdat
.Lfunc_end148:
	.size	_ZN7rocprim17ROCPRIM_400000_NS6detail17trampoline_kernelINS0_14default_configENS1_35adjacent_difference_config_selectorILb1EiEEZNS1_24adjacent_difference_implIS3_Lb1ELb0EPiS7_N6thrust23THRUST_200600_302600_NS4plusIiEEEE10hipError_tPvRmT2_T3_mT4_P12ihipStream_tbEUlT_E_NS1_11comp_targetILNS1_3genE3ELNS1_11target_archE908ELNS1_3gpuE7ELNS1_3repE0EEENS1_30default_config_static_selectorELNS0_4arch9wavefront6targetE1EEEvT1_, .Lfunc_end148-_ZN7rocprim17ROCPRIM_400000_NS6detail17trampoline_kernelINS0_14default_configENS1_35adjacent_difference_config_selectorILb1EiEEZNS1_24adjacent_difference_implIS3_Lb1ELb0EPiS7_N6thrust23THRUST_200600_302600_NS4plusIiEEEE10hipError_tPvRmT2_T3_mT4_P12ihipStream_tbEUlT_E_NS1_11comp_targetILNS1_3genE3ELNS1_11target_archE908ELNS1_3gpuE7ELNS1_3repE0EEENS1_30default_config_static_selectorELNS0_4arch9wavefront6targetE1EEEvT1_
                                        ; -- End function
	.section	.AMDGPU.csdata,"",@progbits
; Kernel info:
; codeLenInByte = 0
; NumSgprs: 4
; NumVgprs: 0
; NumAgprs: 0
; TotalNumVgprs: 0
; ScratchSize: 0
; MemoryBound: 0
; FloatMode: 240
; IeeeMode: 1
; LDSByteSize: 0 bytes/workgroup (compile time only)
; SGPRBlocks: 0
; VGPRBlocks: 0
; NumSGPRsForWavesPerEU: 4
; NumVGPRsForWavesPerEU: 1
; AccumOffset: 4
; Occupancy: 8
; WaveLimiterHint : 0
; COMPUTE_PGM_RSRC2:SCRATCH_EN: 0
; COMPUTE_PGM_RSRC2:USER_SGPR: 6
; COMPUTE_PGM_RSRC2:TRAP_HANDLER: 0
; COMPUTE_PGM_RSRC2:TGID_X_EN: 1
; COMPUTE_PGM_RSRC2:TGID_Y_EN: 0
; COMPUTE_PGM_RSRC2:TGID_Z_EN: 0
; COMPUTE_PGM_RSRC2:TIDIG_COMP_CNT: 0
; COMPUTE_PGM_RSRC3_GFX90A:ACCUM_OFFSET: 0
; COMPUTE_PGM_RSRC3_GFX90A:TG_SPLIT: 0
	.section	.text._ZN7rocprim17ROCPRIM_400000_NS6detail17trampoline_kernelINS0_14default_configENS1_35adjacent_difference_config_selectorILb1EiEEZNS1_24adjacent_difference_implIS3_Lb1ELb0EPiS7_N6thrust23THRUST_200600_302600_NS4plusIiEEEE10hipError_tPvRmT2_T3_mT4_P12ihipStream_tbEUlT_E_NS1_11comp_targetILNS1_3genE2ELNS1_11target_archE906ELNS1_3gpuE6ELNS1_3repE0EEENS1_30default_config_static_selectorELNS0_4arch9wavefront6targetE1EEEvT1_,"axG",@progbits,_ZN7rocprim17ROCPRIM_400000_NS6detail17trampoline_kernelINS0_14default_configENS1_35adjacent_difference_config_selectorILb1EiEEZNS1_24adjacent_difference_implIS3_Lb1ELb0EPiS7_N6thrust23THRUST_200600_302600_NS4plusIiEEEE10hipError_tPvRmT2_T3_mT4_P12ihipStream_tbEUlT_E_NS1_11comp_targetILNS1_3genE2ELNS1_11target_archE906ELNS1_3gpuE6ELNS1_3repE0EEENS1_30default_config_static_selectorELNS0_4arch9wavefront6targetE1EEEvT1_,comdat
	.protected	_ZN7rocprim17ROCPRIM_400000_NS6detail17trampoline_kernelINS0_14default_configENS1_35adjacent_difference_config_selectorILb1EiEEZNS1_24adjacent_difference_implIS3_Lb1ELb0EPiS7_N6thrust23THRUST_200600_302600_NS4plusIiEEEE10hipError_tPvRmT2_T3_mT4_P12ihipStream_tbEUlT_E_NS1_11comp_targetILNS1_3genE2ELNS1_11target_archE906ELNS1_3gpuE6ELNS1_3repE0EEENS1_30default_config_static_selectorELNS0_4arch9wavefront6targetE1EEEvT1_ ; -- Begin function _ZN7rocprim17ROCPRIM_400000_NS6detail17trampoline_kernelINS0_14default_configENS1_35adjacent_difference_config_selectorILb1EiEEZNS1_24adjacent_difference_implIS3_Lb1ELb0EPiS7_N6thrust23THRUST_200600_302600_NS4plusIiEEEE10hipError_tPvRmT2_T3_mT4_P12ihipStream_tbEUlT_E_NS1_11comp_targetILNS1_3genE2ELNS1_11target_archE906ELNS1_3gpuE6ELNS1_3repE0EEENS1_30default_config_static_selectorELNS0_4arch9wavefront6targetE1EEEvT1_
	.globl	_ZN7rocprim17ROCPRIM_400000_NS6detail17trampoline_kernelINS0_14default_configENS1_35adjacent_difference_config_selectorILb1EiEEZNS1_24adjacent_difference_implIS3_Lb1ELb0EPiS7_N6thrust23THRUST_200600_302600_NS4plusIiEEEE10hipError_tPvRmT2_T3_mT4_P12ihipStream_tbEUlT_E_NS1_11comp_targetILNS1_3genE2ELNS1_11target_archE906ELNS1_3gpuE6ELNS1_3repE0EEENS1_30default_config_static_selectorELNS0_4arch9wavefront6targetE1EEEvT1_
	.p2align	8
	.type	_ZN7rocprim17ROCPRIM_400000_NS6detail17trampoline_kernelINS0_14default_configENS1_35adjacent_difference_config_selectorILb1EiEEZNS1_24adjacent_difference_implIS3_Lb1ELb0EPiS7_N6thrust23THRUST_200600_302600_NS4plusIiEEEE10hipError_tPvRmT2_T3_mT4_P12ihipStream_tbEUlT_E_NS1_11comp_targetILNS1_3genE2ELNS1_11target_archE906ELNS1_3gpuE6ELNS1_3repE0EEENS1_30default_config_static_selectorELNS0_4arch9wavefront6targetE1EEEvT1_,@function
_ZN7rocprim17ROCPRIM_400000_NS6detail17trampoline_kernelINS0_14default_configENS1_35adjacent_difference_config_selectorILb1EiEEZNS1_24adjacent_difference_implIS3_Lb1ELb0EPiS7_N6thrust23THRUST_200600_302600_NS4plusIiEEEE10hipError_tPvRmT2_T3_mT4_P12ihipStream_tbEUlT_E_NS1_11comp_targetILNS1_3genE2ELNS1_11target_archE906ELNS1_3gpuE6ELNS1_3repE0EEENS1_30default_config_static_selectorELNS0_4arch9wavefront6targetE1EEEvT1_: ; @_ZN7rocprim17ROCPRIM_400000_NS6detail17trampoline_kernelINS0_14default_configENS1_35adjacent_difference_config_selectorILb1EiEEZNS1_24adjacent_difference_implIS3_Lb1ELb0EPiS7_N6thrust23THRUST_200600_302600_NS4plusIiEEEE10hipError_tPvRmT2_T3_mT4_P12ihipStream_tbEUlT_E_NS1_11comp_targetILNS1_3genE2ELNS1_11target_archE906ELNS1_3gpuE6ELNS1_3repE0EEENS1_30default_config_static_selectorELNS0_4arch9wavefront6targetE1EEEvT1_
; %bb.0:
	.section	.rodata,"a",@progbits
	.p2align	6, 0x0
	.amdhsa_kernel _ZN7rocprim17ROCPRIM_400000_NS6detail17trampoline_kernelINS0_14default_configENS1_35adjacent_difference_config_selectorILb1EiEEZNS1_24adjacent_difference_implIS3_Lb1ELb0EPiS7_N6thrust23THRUST_200600_302600_NS4plusIiEEEE10hipError_tPvRmT2_T3_mT4_P12ihipStream_tbEUlT_E_NS1_11comp_targetILNS1_3genE2ELNS1_11target_archE906ELNS1_3gpuE6ELNS1_3repE0EEENS1_30default_config_static_selectorELNS0_4arch9wavefront6targetE1EEEvT1_
		.amdhsa_group_segment_fixed_size 0
		.amdhsa_private_segment_fixed_size 0
		.amdhsa_kernarg_size 56
		.amdhsa_user_sgpr_count 6
		.amdhsa_user_sgpr_private_segment_buffer 1
		.amdhsa_user_sgpr_dispatch_ptr 0
		.amdhsa_user_sgpr_queue_ptr 0
		.amdhsa_user_sgpr_kernarg_segment_ptr 1
		.amdhsa_user_sgpr_dispatch_id 0
		.amdhsa_user_sgpr_flat_scratch_init 0
		.amdhsa_user_sgpr_kernarg_preload_length 0
		.amdhsa_user_sgpr_kernarg_preload_offset 0
		.amdhsa_user_sgpr_private_segment_size 0
		.amdhsa_uses_dynamic_stack 0
		.amdhsa_system_sgpr_private_segment_wavefront_offset 0
		.amdhsa_system_sgpr_workgroup_id_x 1
		.amdhsa_system_sgpr_workgroup_id_y 0
		.amdhsa_system_sgpr_workgroup_id_z 0
		.amdhsa_system_sgpr_workgroup_info 0
		.amdhsa_system_vgpr_workitem_id 0
		.amdhsa_next_free_vgpr 1
		.amdhsa_next_free_sgpr 0
		.amdhsa_accum_offset 4
		.amdhsa_reserve_vcc 0
		.amdhsa_reserve_flat_scratch 0
		.amdhsa_float_round_mode_32 0
		.amdhsa_float_round_mode_16_64 0
		.amdhsa_float_denorm_mode_32 3
		.amdhsa_float_denorm_mode_16_64 3
		.amdhsa_dx10_clamp 1
		.amdhsa_ieee_mode 1
		.amdhsa_fp16_overflow 0
		.amdhsa_tg_split 0
		.amdhsa_exception_fp_ieee_invalid_op 0
		.amdhsa_exception_fp_denorm_src 0
		.amdhsa_exception_fp_ieee_div_zero 0
		.amdhsa_exception_fp_ieee_overflow 0
		.amdhsa_exception_fp_ieee_underflow 0
		.amdhsa_exception_fp_ieee_inexact 0
		.amdhsa_exception_int_div_zero 0
	.end_amdhsa_kernel
	.section	.text._ZN7rocprim17ROCPRIM_400000_NS6detail17trampoline_kernelINS0_14default_configENS1_35adjacent_difference_config_selectorILb1EiEEZNS1_24adjacent_difference_implIS3_Lb1ELb0EPiS7_N6thrust23THRUST_200600_302600_NS4plusIiEEEE10hipError_tPvRmT2_T3_mT4_P12ihipStream_tbEUlT_E_NS1_11comp_targetILNS1_3genE2ELNS1_11target_archE906ELNS1_3gpuE6ELNS1_3repE0EEENS1_30default_config_static_selectorELNS0_4arch9wavefront6targetE1EEEvT1_,"axG",@progbits,_ZN7rocprim17ROCPRIM_400000_NS6detail17trampoline_kernelINS0_14default_configENS1_35adjacent_difference_config_selectorILb1EiEEZNS1_24adjacent_difference_implIS3_Lb1ELb0EPiS7_N6thrust23THRUST_200600_302600_NS4plusIiEEEE10hipError_tPvRmT2_T3_mT4_P12ihipStream_tbEUlT_E_NS1_11comp_targetILNS1_3genE2ELNS1_11target_archE906ELNS1_3gpuE6ELNS1_3repE0EEENS1_30default_config_static_selectorELNS0_4arch9wavefront6targetE1EEEvT1_,comdat
.Lfunc_end149:
	.size	_ZN7rocprim17ROCPRIM_400000_NS6detail17trampoline_kernelINS0_14default_configENS1_35adjacent_difference_config_selectorILb1EiEEZNS1_24adjacent_difference_implIS3_Lb1ELb0EPiS7_N6thrust23THRUST_200600_302600_NS4plusIiEEEE10hipError_tPvRmT2_T3_mT4_P12ihipStream_tbEUlT_E_NS1_11comp_targetILNS1_3genE2ELNS1_11target_archE906ELNS1_3gpuE6ELNS1_3repE0EEENS1_30default_config_static_selectorELNS0_4arch9wavefront6targetE1EEEvT1_, .Lfunc_end149-_ZN7rocprim17ROCPRIM_400000_NS6detail17trampoline_kernelINS0_14default_configENS1_35adjacent_difference_config_selectorILb1EiEEZNS1_24adjacent_difference_implIS3_Lb1ELb0EPiS7_N6thrust23THRUST_200600_302600_NS4plusIiEEEE10hipError_tPvRmT2_T3_mT4_P12ihipStream_tbEUlT_E_NS1_11comp_targetILNS1_3genE2ELNS1_11target_archE906ELNS1_3gpuE6ELNS1_3repE0EEENS1_30default_config_static_selectorELNS0_4arch9wavefront6targetE1EEEvT1_
                                        ; -- End function
	.section	.AMDGPU.csdata,"",@progbits
; Kernel info:
; codeLenInByte = 0
; NumSgprs: 4
; NumVgprs: 0
; NumAgprs: 0
; TotalNumVgprs: 0
; ScratchSize: 0
; MemoryBound: 0
; FloatMode: 240
; IeeeMode: 1
; LDSByteSize: 0 bytes/workgroup (compile time only)
; SGPRBlocks: 0
; VGPRBlocks: 0
; NumSGPRsForWavesPerEU: 4
; NumVGPRsForWavesPerEU: 1
; AccumOffset: 4
; Occupancy: 8
; WaveLimiterHint : 0
; COMPUTE_PGM_RSRC2:SCRATCH_EN: 0
; COMPUTE_PGM_RSRC2:USER_SGPR: 6
; COMPUTE_PGM_RSRC2:TRAP_HANDLER: 0
; COMPUTE_PGM_RSRC2:TGID_X_EN: 1
; COMPUTE_PGM_RSRC2:TGID_Y_EN: 0
; COMPUTE_PGM_RSRC2:TGID_Z_EN: 0
; COMPUTE_PGM_RSRC2:TIDIG_COMP_CNT: 0
; COMPUTE_PGM_RSRC3_GFX90A:ACCUM_OFFSET: 0
; COMPUTE_PGM_RSRC3_GFX90A:TG_SPLIT: 0
	.section	.text._ZN7rocprim17ROCPRIM_400000_NS6detail17trampoline_kernelINS0_14default_configENS1_35adjacent_difference_config_selectorILb1EiEEZNS1_24adjacent_difference_implIS3_Lb1ELb0EPiS7_N6thrust23THRUST_200600_302600_NS4plusIiEEEE10hipError_tPvRmT2_T3_mT4_P12ihipStream_tbEUlT_E_NS1_11comp_targetILNS1_3genE9ELNS1_11target_archE1100ELNS1_3gpuE3ELNS1_3repE0EEENS1_30default_config_static_selectorELNS0_4arch9wavefront6targetE1EEEvT1_,"axG",@progbits,_ZN7rocprim17ROCPRIM_400000_NS6detail17trampoline_kernelINS0_14default_configENS1_35adjacent_difference_config_selectorILb1EiEEZNS1_24adjacent_difference_implIS3_Lb1ELb0EPiS7_N6thrust23THRUST_200600_302600_NS4plusIiEEEE10hipError_tPvRmT2_T3_mT4_P12ihipStream_tbEUlT_E_NS1_11comp_targetILNS1_3genE9ELNS1_11target_archE1100ELNS1_3gpuE3ELNS1_3repE0EEENS1_30default_config_static_selectorELNS0_4arch9wavefront6targetE1EEEvT1_,comdat
	.protected	_ZN7rocprim17ROCPRIM_400000_NS6detail17trampoline_kernelINS0_14default_configENS1_35adjacent_difference_config_selectorILb1EiEEZNS1_24adjacent_difference_implIS3_Lb1ELb0EPiS7_N6thrust23THRUST_200600_302600_NS4plusIiEEEE10hipError_tPvRmT2_T3_mT4_P12ihipStream_tbEUlT_E_NS1_11comp_targetILNS1_3genE9ELNS1_11target_archE1100ELNS1_3gpuE3ELNS1_3repE0EEENS1_30default_config_static_selectorELNS0_4arch9wavefront6targetE1EEEvT1_ ; -- Begin function _ZN7rocprim17ROCPRIM_400000_NS6detail17trampoline_kernelINS0_14default_configENS1_35adjacent_difference_config_selectorILb1EiEEZNS1_24adjacent_difference_implIS3_Lb1ELb0EPiS7_N6thrust23THRUST_200600_302600_NS4plusIiEEEE10hipError_tPvRmT2_T3_mT4_P12ihipStream_tbEUlT_E_NS1_11comp_targetILNS1_3genE9ELNS1_11target_archE1100ELNS1_3gpuE3ELNS1_3repE0EEENS1_30default_config_static_selectorELNS0_4arch9wavefront6targetE1EEEvT1_
	.globl	_ZN7rocprim17ROCPRIM_400000_NS6detail17trampoline_kernelINS0_14default_configENS1_35adjacent_difference_config_selectorILb1EiEEZNS1_24adjacent_difference_implIS3_Lb1ELb0EPiS7_N6thrust23THRUST_200600_302600_NS4plusIiEEEE10hipError_tPvRmT2_T3_mT4_P12ihipStream_tbEUlT_E_NS1_11comp_targetILNS1_3genE9ELNS1_11target_archE1100ELNS1_3gpuE3ELNS1_3repE0EEENS1_30default_config_static_selectorELNS0_4arch9wavefront6targetE1EEEvT1_
	.p2align	8
	.type	_ZN7rocprim17ROCPRIM_400000_NS6detail17trampoline_kernelINS0_14default_configENS1_35adjacent_difference_config_selectorILb1EiEEZNS1_24adjacent_difference_implIS3_Lb1ELb0EPiS7_N6thrust23THRUST_200600_302600_NS4plusIiEEEE10hipError_tPvRmT2_T3_mT4_P12ihipStream_tbEUlT_E_NS1_11comp_targetILNS1_3genE9ELNS1_11target_archE1100ELNS1_3gpuE3ELNS1_3repE0EEENS1_30default_config_static_selectorELNS0_4arch9wavefront6targetE1EEEvT1_,@function
_ZN7rocprim17ROCPRIM_400000_NS6detail17trampoline_kernelINS0_14default_configENS1_35adjacent_difference_config_selectorILb1EiEEZNS1_24adjacent_difference_implIS3_Lb1ELb0EPiS7_N6thrust23THRUST_200600_302600_NS4plusIiEEEE10hipError_tPvRmT2_T3_mT4_P12ihipStream_tbEUlT_E_NS1_11comp_targetILNS1_3genE9ELNS1_11target_archE1100ELNS1_3gpuE3ELNS1_3repE0EEENS1_30default_config_static_selectorELNS0_4arch9wavefront6targetE1EEEvT1_: ; @_ZN7rocprim17ROCPRIM_400000_NS6detail17trampoline_kernelINS0_14default_configENS1_35adjacent_difference_config_selectorILb1EiEEZNS1_24adjacent_difference_implIS3_Lb1ELb0EPiS7_N6thrust23THRUST_200600_302600_NS4plusIiEEEE10hipError_tPvRmT2_T3_mT4_P12ihipStream_tbEUlT_E_NS1_11comp_targetILNS1_3genE9ELNS1_11target_archE1100ELNS1_3gpuE3ELNS1_3repE0EEENS1_30default_config_static_selectorELNS0_4arch9wavefront6targetE1EEEvT1_
; %bb.0:
	.section	.rodata,"a",@progbits
	.p2align	6, 0x0
	.amdhsa_kernel _ZN7rocprim17ROCPRIM_400000_NS6detail17trampoline_kernelINS0_14default_configENS1_35adjacent_difference_config_selectorILb1EiEEZNS1_24adjacent_difference_implIS3_Lb1ELb0EPiS7_N6thrust23THRUST_200600_302600_NS4plusIiEEEE10hipError_tPvRmT2_T3_mT4_P12ihipStream_tbEUlT_E_NS1_11comp_targetILNS1_3genE9ELNS1_11target_archE1100ELNS1_3gpuE3ELNS1_3repE0EEENS1_30default_config_static_selectorELNS0_4arch9wavefront6targetE1EEEvT1_
		.amdhsa_group_segment_fixed_size 0
		.amdhsa_private_segment_fixed_size 0
		.amdhsa_kernarg_size 56
		.amdhsa_user_sgpr_count 6
		.amdhsa_user_sgpr_private_segment_buffer 1
		.amdhsa_user_sgpr_dispatch_ptr 0
		.amdhsa_user_sgpr_queue_ptr 0
		.amdhsa_user_sgpr_kernarg_segment_ptr 1
		.amdhsa_user_sgpr_dispatch_id 0
		.amdhsa_user_sgpr_flat_scratch_init 0
		.amdhsa_user_sgpr_kernarg_preload_length 0
		.amdhsa_user_sgpr_kernarg_preload_offset 0
		.amdhsa_user_sgpr_private_segment_size 0
		.amdhsa_uses_dynamic_stack 0
		.amdhsa_system_sgpr_private_segment_wavefront_offset 0
		.amdhsa_system_sgpr_workgroup_id_x 1
		.amdhsa_system_sgpr_workgroup_id_y 0
		.amdhsa_system_sgpr_workgroup_id_z 0
		.amdhsa_system_sgpr_workgroup_info 0
		.amdhsa_system_vgpr_workitem_id 0
		.amdhsa_next_free_vgpr 1
		.amdhsa_next_free_sgpr 0
		.amdhsa_accum_offset 4
		.amdhsa_reserve_vcc 0
		.amdhsa_reserve_flat_scratch 0
		.amdhsa_float_round_mode_32 0
		.amdhsa_float_round_mode_16_64 0
		.amdhsa_float_denorm_mode_32 3
		.amdhsa_float_denorm_mode_16_64 3
		.amdhsa_dx10_clamp 1
		.amdhsa_ieee_mode 1
		.amdhsa_fp16_overflow 0
		.amdhsa_tg_split 0
		.amdhsa_exception_fp_ieee_invalid_op 0
		.amdhsa_exception_fp_denorm_src 0
		.amdhsa_exception_fp_ieee_div_zero 0
		.amdhsa_exception_fp_ieee_overflow 0
		.amdhsa_exception_fp_ieee_underflow 0
		.amdhsa_exception_fp_ieee_inexact 0
		.amdhsa_exception_int_div_zero 0
	.end_amdhsa_kernel
	.section	.text._ZN7rocprim17ROCPRIM_400000_NS6detail17trampoline_kernelINS0_14default_configENS1_35adjacent_difference_config_selectorILb1EiEEZNS1_24adjacent_difference_implIS3_Lb1ELb0EPiS7_N6thrust23THRUST_200600_302600_NS4plusIiEEEE10hipError_tPvRmT2_T3_mT4_P12ihipStream_tbEUlT_E_NS1_11comp_targetILNS1_3genE9ELNS1_11target_archE1100ELNS1_3gpuE3ELNS1_3repE0EEENS1_30default_config_static_selectorELNS0_4arch9wavefront6targetE1EEEvT1_,"axG",@progbits,_ZN7rocprim17ROCPRIM_400000_NS6detail17trampoline_kernelINS0_14default_configENS1_35adjacent_difference_config_selectorILb1EiEEZNS1_24adjacent_difference_implIS3_Lb1ELb0EPiS7_N6thrust23THRUST_200600_302600_NS4plusIiEEEE10hipError_tPvRmT2_T3_mT4_P12ihipStream_tbEUlT_E_NS1_11comp_targetILNS1_3genE9ELNS1_11target_archE1100ELNS1_3gpuE3ELNS1_3repE0EEENS1_30default_config_static_selectorELNS0_4arch9wavefront6targetE1EEEvT1_,comdat
.Lfunc_end150:
	.size	_ZN7rocprim17ROCPRIM_400000_NS6detail17trampoline_kernelINS0_14default_configENS1_35adjacent_difference_config_selectorILb1EiEEZNS1_24adjacent_difference_implIS3_Lb1ELb0EPiS7_N6thrust23THRUST_200600_302600_NS4plusIiEEEE10hipError_tPvRmT2_T3_mT4_P12ihipStream_tbEUlT_E_NS1_11comp_targetILNS1_3genE9ELNS1_11target_archE1100ELNS1_3gpuE3ELNS1_3repE0EEENS1_30default_config_static_selectorELNS0_4arch9wavefront6targetE1EEEvT1_, .Lfunc_end150-_ZN7rocprim17ROCPRIM_400000_NS6detail17trampoline_kernelINS0_14default_configENS1_35adjacent_difference_config_selectorILb1EiEEZNS1_24adjacent_difference_implIS3_Lb1ELb0EPiS7_N6thrust23THRUST_200600_302600_NS4plusIiEEEE10hipError_tPvRmT2_T3_mT4_P12ihipStream_tbEUlT_E_NS1_11comp_targetILNS1_3genE9ELNS1_11target_archE1100ELNS1_3gpuE3ELNS1_3repE0EEENS1_30default_config_static_selectorELNS0_4arch9wavefront6targetE1EEEvT1_
                                        ; -- End function
	.section	.AMDGPU.csdata,"",@progbits
; Kernel info:
; codeLenInByte = 0
; NumSgprs: 4
; NumVgprs: 0
; NumAgprs: 0
; TotalNumVgprs: 0
; ScratchSize: 0
; MemoryBound: 0
; FloatMode: 240
; IeeeMode: 1
; LDSByteSize: 0 bytes/workgroup (compile time only)
; SGPRBlocks: 0
; VGPRBlocks: 0
; NumSGPRsForWavesPerEU: 4
; NumVGPRsForWavesPerEU: 1
; AccumOffset: 4
; Occupancy: 8
; WaveLimiterHint : 0
; COMPUTE_PGM_RSRC2:SCRATCH_EN: 0
; COMPUTE_PGM_RSRC2:USER_SGPR: 6
; COMPUTE_PGM_RSRC2:TRAP_HANDLER: 0
; COMPUTE_PGM_RSRC2:TGID_X_EN: 1
; COMPUTE_PGM_RSRC2:TGID_Y_EN: 0
; COMPUTE_PGM_RSRC2:TGID_Z_EN: 0
; COMPUTE_PGM_RSRC2:TIDIG_COMP_CNT: 0
; COMPUTE_PGM_RSRC3_GFX90A:ACCUM_OFFSET: 0
; COMPUTE_PGM_RSRC3_GFX90A:TG_SPLIT: 0
	.section	.text._ZN7rocprim17ROCPRIM_400000_NS6detail17trampoline_kernelINS0_14default_configENS1_35adjacent_difference_config_selectorILb1EiEEZNS1_24adjacent_difference_implIS3_Lb1ELb0EPiS7_N6thrust23THRUST_200600_302600_NS4plusIiEEEE10hipError_tPvRmT2_T3_mT4_P12ihipStream_tbEUlT_E_NS1_11comp_targetILNS1_3genE8ELNS1_11target_archE1030ELNS1_3gpuE2ELNS1_3repE0EEENS1_30default_config_static_selectorELNS0_4arch9wavefront6targetE1EEEvT1_,"axG",@progbits,_ZN7rocprim17ROCPRIM_400000_NS6detail17trampoline_kernelINS0_14default_configENS1_35adjacent_difference_config_selectorILb1EiEEZNS1_24adjacent_difference_implIS3_Lb1ELb0EPiS7_N6thrust23THRUST_200600_302600_NS4plusIiEEEE10hipError_tPvRmT2_T3_mT4_P12ihipStream_tbEUlT_E_NS1_11comp_targetILNS1_3genE8ELNS1_11target_archE1030ELNS1_3gpuE2ELNS1_3repE0EEENS1_30default_config_static_selectorELNS0_4arch9wavefront6targetE1EEEvT1_,comdat
	.protected	_ZN7rocprim17ROCPRIM_400000_NS6detail17trampoline_kernelINS0_14default_configENS1_35adjacent_difference_config_selectorILb1EiEEZNS1_24adjacent_difference_implIS3_Lb1ELb0EPiS7_N6thrust23THRUST_200600_302600_NS4plusIiEEEE10hipError_tPvRmT2_T3_mT4_P12ihipStream_tbEUlT_E_NS1_11comp_targetILNS1_3genE8ELNS1_11target_archE1030ELNS1_3gpuE2ELNS1_3repE0EEENS1_30default_config_static_selectorELNS0_4arch9wavefront6targetE1EEEvT1_ ; -- Begin function _ZN7rocprim17ROCPRIM_400000_NS6detail17trampoline_kernelINS0_14default_configENS1_35adjacent_difference_config_selectorILb1EiEEZNS1_24adjacent_difference_implIS3_Lb1ELb0EPiS7_N6thrust23THRUST_200600_302600_NS4plusIiEEEE10hipError_tPvRmT2_T3_mT4_P12ihipStream_tbEUlT_E_NS1_11comp_targetILNS1_3genE8ELNS1_11target_archE1030ELNS1_3gpuE2ELNS1_3repE0EEENS1_30default_config_static_selectorELNS0_4arch9wavefront6targetE1EEEvT1_
	.globl	_ZN7rocprim17ROCPRIM_400000_NS6detail17trampoline_kernelINS0_14default_configENS1_35adjacent_difference_config_selectorILb1EiEEZNS1_24adjacent_difference_implIS3_Lb1ELb0EPiS7_N6thrust23THRUST_200600_302600_NS4plusIiEEEE10hipError_tPvRmT2_T3_mT4_P12ihipStream_tbEUlT_E_NS1_11comp_targetILNS1_3genE8ELNS1_11target_archE1030ELNS1_3gpuE2ELNS1_3repE0EEENS1_30default_config_static_selectorELNS0_4arch9wavefront6targetE1EEEvT1_
	.p2align	8
	.type	_ZN7rocprim17ROCPRIM_400000_NS6detail17trampoline_kernelINS0_14default_configENS1_35adjacent_difference_config_selectorILb1EiEEZNS1_24adjacent_difference_implIS3_Lb1ELb0EPiS7_N6thrust23THRUST_200600_302600_NS4plusIiEEEE10hipError_tPvRmT2_T3_mT4_P12ihipStream_tbEUlT_E_NS1_11comp_targetILNS1_3genE8ELNS1_11target_archE1030ELNS1_3gpuE2ELNS1_3repE0EEENS1_30default_config_static_selectorELNS0_4arch9wavefront6targetE1EEEvT1_,@function
_ZN7rocprim17ROCPRIM_400000_NS6detail17trampoline_kernelINS0_14default_configENS1_35adjacent_difference_config_selectorILb1EiEEZNS1_24adjacent_difference_implIS3_Lb1ELb0EPiS7_N6thrust23THRUST_200600_302600_NS4plusIiEEEE10hipError_tPvRmT2_T3_mT4_P12ihipStream_tbEUlT_E_NS1_11comp_targetILNS1_3genE8ELNS1_11target_archE1030ELNS1_3gpuE2ELNS1_3repE0EEENS1_30default_config_static_selectorELNS0_4arch9wavefront6targetE1EEEvT1_: ; @_ZN7rocprim17ROCPRIM_400000_NS6detail17trampoline_kernelINS0_14default_configENS1_35adjacent_difference_config_selectorILb1EiEEZNS1_24adjacent_difference_implIS3_Lb1ELb0EPiS7_N6thrust23THRUST_200600_302600_NS4plusIiEEEE10hipError_tPvRmT2_T3_mT4_P12ihipStream_tbEUlT_E_NS1_11comp_targetILNS1_3genE8ELNS1_11target_archE1030ELNS1_3gpuE2ELNS1_3repE0EEENS1_30default_config_static_selectorELNS0_4arch9wavefront6targetE1EEEvT1_
; %bb.0:
	.section	.rodata,"a",@progbits
	.p2align	6, 0x0
	.amdhsa_kernel _ZN7rocprim17ROCPRIM_400000_NS6detail17trampoline_kernelINS0_14default_configENS1_35adjacent_difference_config_selectorILb1EiEEZNS1_24adjacent_difference_implIS3_Lb1ELb0EPiS7_N6thrust23THRUST_200600_302600_NS4plusIiEEEE10hipError_tPvRmT2_T3_mT4_P12ihipStream_tbEUlT_E_NS1_11comp_targetILNS1_3genE8ELNS1_11target_archE1030ELNS1_3gpuE2ELNS1_3repE0EEENS1_30default_config_static_selectorELNS0_4arch9wavefront6targetE1EEEvT1_
		.amdhsa_group_segment_fixed_size 0
		.amdhsa_private_segment_fixed_size 0
		.amdhsa_kernarg_size 56
		.amdhsa_user_sgpr_count 6
		.amdhsa_user_sgpr_private_segment_buffer 1
		.amdhsa_user_sgpr_dispatch_ptr 0
		.amdhsa_user_sgpr_queue_ptr 0
		.amdhsa_user_sgpr_kernarg_segment_ptr 1
		.amdhsa_user_sgpr_dispatch_id 0
		.amdhsa_user_sgpr_flat_scratch_init 0
		.amdhsa_user_sgpr_kernarg_preload_length 0
		.amdhsa_user_sgpr_kernarg_preload_offset 0
		.amdhsa_user_sgpr_private_segment_size 0
		.amdhsa_uses_dynamic_stack 0
		.amdhsa_system_sgpr_private_segment_wavefront_offset 0
		.amdhsa_system_sgpr_workgroup_id_x 1
		.amdhsa_system_sgpr_workgroup_id_y 0
		.amdhsa_system_sgpr_workgroup_id_z 0
		.amdhsa_system_sgpr_workgroup_info 0
		.amdhsa_system_vgpr_workitem_id 0
		.amdhsa_next_free_vgpr 1
		.amdhsa_next_free_sgpr 0
		.amdhsa_accum_offset 4
		.amdhsa_reserve_vcc 0
		.amdhsa_reserve_flat_scratch 0
		.amdhsa_float_round_mode_32 0
		.amdhsa_float_round_mode_16_64 0
		.amdhsa_float_denorm_mode_32 3
		.amdhsa_float_denorm_mode_16_64 3
		.amdhsa_dx10_clamp 1
		.amdhsa_ieee_mode 1
		.amdhsa_fp16_overflow 0
		.amdhsa_tg_split 0
		.amdhsa_exception_fp_ieee_invalid_op 0
		.amdhsa_exception_fp_denorm_src 0
		.amdhsa_exception_fp_ieee_div_zero 0
		.amdhsa_exception_fp_ieee_overflow 0
		.amdhsa_exception_fp_ieee_underflow 0
		.amdhsa_exception_fp_ieee_inexact 0
		.amdhsa_exception_int_div_zero 0
	.end_amdhsa_kernel
	.section	.text._ZN7rocprim17ROCPRIM_400000_NS6detail17trampoline_kernelINS0_14default_configENS1_35adjacent_difference_config_selectorILb1EiEEZNS1_24adjacent_difference_implIS3_Lb1ELb0EPiS7_N6thrust23THRUST_200600_302600_NS4plusIiEEEE10hipError_tPvRmT2_T3_mT4_P12ihipStream_tbEUlT_E_NS1_11comp_targetILNS1_3genE8ELNS1_11target_archE1030ELNS1_3gpuE2ELNS1_3repE0EEENS1_30default_config_static_selectorELNS0_4arch9wavefront6targetE1EEEvT1_,"axG",@progbits,_ZN7rocprim17ROCPRIM_400000_NS6detail17trampoline_kernelINS0_14default_configENS1_35adjacent_difference_config_selectorILb1EiEEZNS1_24adjacent_difference_implIS3_Lb1ELb0EPiS7_N6thrust23THRUST_200600_302600_NS4plusIiEEEE10hipError_tPvRmT2_T3_mT4_P12ihipStream_tbEUlT_E_NS1_11comp_targetILNS1_3genE8ELNS1_11target_archE1030ELNS1_3gpuE2ELNS1_3repE0EEENS1_30default_config_static_selectorELNS0_4arch9wavefront6targetE1EEEvT1_,comdat
.Lfunc_end151:
	.size	_ZN7rocprim17ROCPRIM_400000_NS6detail17trampoline_kernelINS0_14default_configENS1_35adjacent_difference_config_selectorILb1EiEEZNS1_24adjacent_difference_implIS3_Lb1ELb0EPiS7_N6thrust23THRUST_200600_302600_NS4plusIiEEEE10hipError_tPvRmT2_T3_mT4_P12ihipStream_tbEUlT_E_NS1_11comp_targetILNS1_3genE8ELNS1_11target_archE1030ELNS1_3gpuE2ELNS1_3repE0EEENS1_30default_config_static_selectorELNS0_4arch9wavefront6targetE1EEEvT1_, .Lfunc_end151-_ZN7rocprim17ROCPRIM_400000_NS6detail17trampoline_kernelINS0_14default_configENS1_35adjacent_difference_config_selectorILb1EiEEZNS1_24adjacent_difference_implIS3_Lb1ELb0EPiS7_N6thrust23THRUST_200600_302600_NS4plusIiEEEE10hipError_tPvRmT2_T3_mT4_P12ihipStream_tbEUlT_E_NS1_11comp_targetILNS1_3genE8ELNS1_11target_archE1030ELNS1_3gpuE2ELNS1_3repE0EEENS1_30default_config_static_selectorELNS0_4arch9wavefront6targetE1EEEvT1_
                                        ; -- End function
	.section	.AMDGPU.csdata,"",@progbits
; Kernel info:
; codeLenInByte = 0
; NumSgprs: 4
; NumVgprs: 0
; NumAgprs: 0
; TotalNumVgprs: 0
; ScratchSize: 0
; MemoryBound: 0
; FloatMode: 240
; IeeeMode: 1
; LDSByteSize: 0 bytes/workgroup (compile time only)
; SGPRBlocks: 0
; VGPRBlocks: 0
; NumSGPRsForWavesPerEU: 4
; NumVGPRsForWavesPerEU: 1
; AccumOffset: 4
; Occupancy: 8
; WaveLimiterHint : 0
; COMPUTE_PGM_RSRC2:SCRATCH_EN: 0
; COMPUTE_PGM_RSRC2:USER_SGPR: 6
; COMPUTE_PGM_RSRC2:TRAP_HANDLER: 0
; COMPUTE_PGM_RSRC2:TGID_X_EN: 1
; COMPUTE_PGM_RSRC2:TGID_Y_EN: 0
; COMPUTE_PGM_RSRC2:TGID_Z_EN: 0
; COMPUTE_PGM_RSRC2:TIDIG_COMP_CNT: 0
; COMPUTE_PGM_RSRC3_GFX90A:ACCUM_OFFSET: 0
; COMPUTE_PGM_RSRC3_GFX90A:TG_SPLIT: 0
	.section	.text._ZN6thrust23THRUST_200600_302600_NS11hip_rocprim14__parallel_for6kernelILj256ENS1_20__uninitialized_fill7functorINS0_10device_ptrIfEEfEEmLj1EEEvT0_T1_SA_,"axG",@progbits,_ZN6thrust23THRUST_200600_302600_NS11hip_rocprim14__parallel_for6kernelILj256ENS1_20__uninitialized_fill7functorINS0_10device_ptrIfEEfEEmLj1EEEvT0_T1_SA_,comdat
	.protected	_ZN6thrust23THRUST_200600_302600_NS11hip_rocprim14__parallel_for6kernelILj256ENS1_20__uninitialized_fill7functorINS0_10device_ptrIfEEfEEmLj1EEEvT0_T1_SA_ ; -- Begin function _ZN6thrust23THRUST_200600_302600_NS11hip_rocprim14__parallel_for6kernelILj256ENS1_20__uninitialized_fill7functorINS0_10device_ptrIfEEfEEmLj1EEEvT0_T1_SA_
	.globl	_ZN6thrust23THRUST_200600_302600_NS11hip_rocprim14__parallel_for6kernelILj256ENS1_20__uninitialized_fill7functorINS0_10device_ptrIfEEfEEmLj1EEEvT0_T1_SA_
	.p2align	8
	.type	_ZN6thrust23THRUST_200600_302600_NS11hip_rocprim14__parallel_for6kernelILj256ENS1_20__uninitialized_fill7functorINS0_10device_ptrIfEEfEEmLj1EEEvT0_T1_SA_,@function
_ZN6thrust23THRUST_200600_302600_NS11hip_rocprim14__parallel_for6kernelILj256ENS1_20__uninitialized_fill7functorINS0_10device_ptrIfEEfEEmLj1EEEvT0_T1_SA_: ; @_ZN6thrust23THRUST_200600_302600_NS11hip_rocprim14__parallel_for6kernelILj256ENS1_20__uninitialized_fill7functorINS0_10device_ptrIfEEfEEmLj1EEEvT0_T1_SA_
; %bb.0:
	s_load_dwordx4 s[8:11], s[4:5], 0x10
	s_lshl_b32 s0, s6, 8
	v_mov_b32_e32 v2, 0x100
	v_mov_b32_e32 v3, 0
	s_waitcnt lgkmcnt(0)
	s_add_u32 s0, s0, s10
	s_addc_u32 s1, 0, s11
	s_sub_u32 s2, s8, s0
	s_subb_u32 s3, s9, s1
	v_cmp_lt_u64_e32 vcc, s[2:3], v[2:3]
	s_cbranch_vccz .LBB152_2
; %bb.1:
	v_cmp_gt_u32_e32 vcc, s2, v0
	s_and_b64 s[2:3], vcc, exec
	s_cbranch_execz .LBB152_3
	s_branch .LBB152_4
.LBB152_2:
	s_mov_b64 s[2:3], 0
.LBB152_3:
	s_or_b64 s[2:3], s[2:3], exec
.LBB152_4:
	s_and_saveexec_b64 s[6:7], s[2:3]
	s_cbranch_execnz .LBB152_6
; %bb.5:
	s_endpgm
.LBB152_6:
	s_load_dwordx2 s[2:3], s[4:5], 0x0
	s_load_dword s6, s[4:5], 0x8
	s_lshl_b64 s[0:1], s[0:1], 2
	v_mov_b32_e32 v1, 0
	v_lshlrev_b64 v[0:1], 2, v[0:1]
	s_waitcnt lgkmcnt(0)
	s_add_u32 s0, s2, s0
	s_addc_u32 s1, s3, s1
	v_mov_b32_e32 v2, s1
	v_add_co_u32_e32 v0, vcc, s0, v0
	v_addc_co_u32_e32 v1, vcc, v2, v1, vcc
	v_mov_b32_e32 v2, s6
	flat_store_dword v[0:1], v2
	s_endpgm
	.section	.rodata,"a",@progbits
	.p2align	6, 0x0
	.amdhsa_kernel _ZN6thrust23THRUST_200600_302600_NS11hip_rocprim14__parallel_for6kernelILj256ENS1_20__uninitialized_fill7functorINS0_10device_ptrIfEEfEEmLj1EEEvT0_T1_SA_
		.amdhsa_group_segment_fixed_size 0
		.amdhsa_private_segment_fixed_size 0
		.amdhsa_kernarg_size 32
		.amdhsa_user_sgpr_count 6
		.amdhsa_user_sgpr_private_segment_buffer 1
		.amdhsa_user_sgpr_dispatch_ptr 0
		.amdhsa_user_sgpr_queue_ptr 0
		.amdhsa_user_sgpr_kernarg_segment_ptr 1
		.amdhsa_user_sgpr_dispatch_id 0
		.amdhsa_user_sgpr_flat_scratch_init 0
		.amdhsa_user_sgpr_kernarg_preload_length 0
		.amdhsa_user_sgpr_kernarg_preload_offset 0
		.amdhsa_user_sgpr_private_segment_size 0
		.amdhsa_uses_dynamic_stack 0
		.amdhsa_system_sgpr_private_segment_wavefront_offset 0
		.amdhsa_system_sgpr_workgroup_id_x 1
		.amdhsa_system_sgpr_workgroup_id_y 0
		.amdhsa_system_sgpr_workgroup_id_z 0
		.amdhsa_system_sgpr_workgroup_info 0
		.amdhsa_system_vgpr_workitem_id 0
		.amdhsa_next_free_vgpr 4
		.amdhsa_next_free_sgpr 12
		.amdhsa_accum_offset 4
		.amdhsa_reserve_vcc 1
		.amdhsa_reserve_flat_scratch 0
		.amdhsa_float_round_mode_32 0
		.amdhsa_float_round_mode_16_64 0
		.amdhsa_float_denorm_mode_32 3
		.amdhsa_float_denorm_mode_16_64 3
		.amdhsa_dx10_clamp 1
		.amdhsa_ieee_mode 1
		.amdhsa_fp16_overflow 0
		.amdhsa_tg_split 0
		.amdhsa_exception_fp_ieee_invalid_op 0
		.amdhsa_exception_fp_denorm_src 0
		.amdhsa_exception_fp_ieee_div_zero 0
		.amdhsa_exception_fp_ieee_overflow 0
		.amdhsa_exception_fp_ieee_underflow 0
		.amdhsa_exception_fp_ieee_inexact 0
		.amdhsa_exception_int_div_zero 0
	.end_amdhsa_kernel
	.section	.text._ZN6thrust23THRUST_200600_302600_NS11hip_rocprim14__parallel_for6kernelILj256ENS1_20__uninitialized_fill7functorINS0_10device_ptrIfEEfEEmLj1EEEvT0_T1_SA_,"axG",@progbits,_ZN6thrust23THRUST_200600_302600_NS11hip_rocprim14__parallel_for6kernelILj256ENS1_20__uninitialized_fill7functorINS0_10device_ptrIfEEfEEmLj1EEEvT0_T1_SA_,comdat
.Lfunc_end152:
	.size	_ZN6thrust23THRUST_200600_302600_NS11hip_rocprim14__parallel_for6kernelILj256ENS1_20__uninitialized_fill7functorINS0_10device_ptrIfEEfEEmLj1EEEvT0_T1_SA_, .Lfunc_end152-_ZN6thrust23THRUST_200600_302600_NS11hip_rocprim14__parallel_for6kernelILj256ENS1_20__uninitialized_fill7functorINS0_10device_ptrIfEEfEEmLj1EEEvT0_T1_SA_
                                        ; -- End function
	.section	.AMDGPU.csdata,"",@progbits
; Kernel info:
; codeLenInByte = 160
; NumSgprs: 16
; NumVgprs: 4
; NumAgprs: 0
; TotalNumVgprs: 4
; ScratchSize: 0
; MemoryBound: 0
; FloatMode: 240
; IeeeMode: 1
; LDSByteSize: 0 bytes/workgroup (compile time only)
; SGPRBlocks: 1
; VGPRBlocks: 0
; NumSGPRsForWavesPerEU: 16
; NumVGPRsForWavesPerEU: 4
; AccumOffset: 4
; Occupancy: 8
; WaveLimiterHint : 0
; COMPUTE_PGM_RSRC2:SCRATCH_EN: 0
; COMPUTE_PGM_RSRC2:USER_SGPR: 6
; COMPUTE_PGM_RSRC2:TRAP_HANDLER: 0
; COMPUTE_PGM_RSRC2:TGID_X_EN: 1
; COMPUTE_PGM_RSRC2:TGID_Y_EN: 0
; COMPUTE_PGM_RSRC2:TGID_Z_EN: 0
; COMPUTE_PGM_RSRC2:TIDIG_COMP_CNT: 0
; COMPUTE_PGM_RSRC3_GFX90A:ACCUM_OFFSET: 0
; COMPUTE_PGM_RSRC3_GFX90A:TG_SPLIT: 0
	.section	.text._ZN7rocprim17ROCPRIM_400000_NS6detail17trampoline_kernelINS0_14default_configENS1_35adjacent_difference_config_selectorILb0EfEEZNS1_24adjacent_difference_implIS3_Lb0ELb0EPfS7_N6thrust23THRUST_200600_302600_NS5minusIfEEEE10hipError_tPvRmT2_T3_mT4_P12ihipStream_tbEUlT_E_NS1_11comp_targetILNS1_3genE0ELNS1_11target_archE4294967295ELNS1_3gpuE0ELNS1_3repE0EEENS1_30default_config_static_selectorELNS0_4arch9wavefront6targetE1EEEvT1_,"axG",@progbits,_ZN7rocprim17ROCPRIM_400000_NS6detail17trampoline_kernelINS0_14default_configENS1_35adjacent_difference_config_selectorILb0EfEEZNS1_24adjacent_difference_implIS3_Lb0ELb0EPfS7_N6thrust23THRUST_200600_302600_NS5minusIfEEEE10hipError_tPvRmT2_T3_mT4_P12ihipStream_tbEUlT_E_NS1_11comp_targetILNS1_3genE0ELNS1_11target_archE4294967295ELNS1_3gpuE0ELNS1_3repE0EEENS1_30default_config_static_selectorELNS0_4arch9wavefront6targetE1EEEvT1_,comdat
	.protected	_ZN7rocprim17ROCPRIM_400000_NS6detail17trampoline_kernelINS0_14default_configENS1_35adjacent_difference_config_selectorILb0EfEEZNS1_24adjacent_difference_implIS3_Lb0ELb0EPfS7_N6thrust23THRUST_200600_302600_NS5minusIfEEEE10hipError_tPvRmT2_T3_mT4_P12ihipStream_tbEUlT_E_NS1_11comp_targetILNS1_3genE0ELNS1_11target_archE4294967295ELNS1_3gpuE0ELNS1_3repE0EEENS1_30default_config_static_selectorELNS0_4arch9wavefront6targetE1EEEvT1_ ; -- Begin function _ZN7rocprim17ROCPRIM_400000_NS6detail17trampoline_kernelINS0_14default_configENS1_35adjacent_difference_config_selectorILb0EfEEZNS1_24adjacent_difference_implIS3_Lb0ELb0EPfS7_N6thrust23THRUST_200600_302600_NS5minusIfEEEE10hipError_tPvRmT2_T3_mT4_P12ihipStream_tbEUlT_E_NS1_11comp_targetILNS1_3genE0ELNS1_11target_archE4294967295ELNS1_3gpuE0ELNS1_3repE0EEENS1_30default_config_static_selectorELNS0_4arch9wavefront6targetE1EEEvT1_
	.globl	_ZN7rocprim17ROCPRIM_400000_NS6detail17trampoline_kernelINS0_14default_configENS1_35adjacent_difference_config_selectorILb0EfEEZNS1_24adjacent_difference_implIS3_Lb0ELb0EPfS7_N6thrust23THRUST_200600_302600_NS5minusIfEEEE10hipError_tPvRmT2_T3_mT4_P12ihipStream_tbEUlT_E_NS1_11comp_targetILNS1_3genE0ELNS1_11target_archE4294967295ELNS1_3gpuE0ELNS1_3repE0EEENS1_30default_config_static_selectorELNS0_4arch9wavefront6targetE1EEEvT1_
	.p2align	8
	.type	_ZN7rocprim17ROCPRIM_400000_NS6detail17trampoline_kernelINS0_14default_configENS1_35adjacent_difference_config_selectorILb0EfEEZNS1_24adjacent_difference_implIS3_Lb0ELb0EPfS7_N6thrust23THRUST_200600_302600_NS5minusIfEEEE10hipError_tPvRmT2_T3_mT4_P12ihipStream_tbEUlT_E_NS1_11comp_targetILNS1_3genE0ELNS1_11target_archE4294967295ELNS1_3gpuE0ELNS1_3repE0EEENS1_30default_config_static_selectorELNS0_4arch9wavefront6targetE1EEEvT1_,@function
_ZN7rocprim17ROCPRIM_400000_NS6detail17trampoline_kernelINS0_14default_configENS1_35adjacent_difference_config_selectorILb0EfEEZNS1_24adjacent_difference_implIS3_Lb0ELb0EPfS7_N6thrust23THRUST_200600_302600_NS5minusIfEEEE10hipError_tPvRmT2_T3_mT4_P12ihipStream_tbEUlT_E_NS1_11comp_targetILNS1_3genE0ELNS1_11target_archE4294967295ELNS1_3gpuE0ELNS1_3repE0EEENS1_30default_config_static_selectorELNS0_4arch9wavefront6targetE1EEEvT1_: ; @_ZN7rocprim17ROCPRIM_400000_NS6detail17trampoline_kernelINS0_14default_configENS1_35adjacent_difference_config_selectorILb0EfEEZNS1_24adjacent_difference_implIS3_Lb0ELb0EPfS7_N6thrust23THRUST_200600_302600_NS5minusIfEEEE10hipError_tPvRmT2_T3_mT4_P12ihipStream_tbEUlT_E_NS1_11comp_targetILNS1_3genE0ELNS1_11target_archE4294967295ELNS1_3gpuE0ELNS1_3repE0EEENS1_30default_config_static_selectorELNS0_4arch9wavefront6targetE1EEEvT1_
; %bb.0:
	.section	.rodata,"a",@progbits
	.p2align	6, 0x0
	.amdhsa_kernel _ZN7rocprim17ROCPRIM_400000_NS6detail17trampoline_kernelINS0_14default_configENS1_35adjacent_difference_config_selectorILb0EfEEZNS1_24adjacent_difference_implIS3_Lb0ELb0EPfS7_N6thrust23THRUST_200600_302600_NS5minusIfEEEE10hipError_tPvRmT2_T3_mT4_P12ihipStream_tbEUlT_E_NS1_11comp_targetILNS1_3genE0ELNS1_11target_archE4294967295ELNS1_3gpuE0ELNS1_3repE0EEENS1_30default_config_static_selectorELNS0_4arch9wavefront6targetE1EEEvT1_
		.amdhsa_group_segment_fixed_size 0
		.amdhsa_private_segment_fixed_size 0
		.amdhsa_kernarg_size 56
		.amdhsa_user_sgpr_count 6
		.amdhsa_user_sgpr_private_segment_buffer 1
		.amdhsa_user_sgpr_dispatch_ptr 0
		.amdhsa_user_sgpr_queue_ptr 0
		.amdhsa_user_sgpr_kernarg_segment_ptr 1
		.amdhsa_user_sgpr_dispatch_id 0
		.amdhsa_user_sgpr_flat_scratch_init 0
		.amdhsa_user_sgpr_kernarg_preload_length 0
		.amdhsa_user_sgpr_kernarg_preload_offset 0
		.amdhsa_user_sgpr_private_segment_size 0
		.amdhsa_uses_dynamic_stack 0
		.amdhsa_system_sgpr_private_segment_wavefront_offset 0
		.amdhsa_system_sgpr_workgroup_id_x 1
		.amdhsa_system_sgpr_workgroup_id_y 0
		.amdhsa_system_sgpr_workgroup_id_z 0
		.amdhsa_system_sgpr_workgroup_info 0
		.amdhsa_system_vgpr_workitem_id 0
		.amdhsa_next_free_vgpr 1
		.amdhsa_next_free_sgpr 0
		.amdhsa_accum_offset 4
		.amdhsa_reserve_vcc 0
		.amdhsa_reserve_flat_scratch 0
		.amdhsa_float_round_mode_32 0
		.amdhsa_float_round_mode_16_64 0
		.amdhsa_float_denorm_mode_32 3
		.amdhsa_float_denorm_mode_16_64 3
		.amdhsa_dx10_clamp 1
		.amdhsa_ieee_mode 1
		.amdhsa_fp16_overflow 0
		.amdhsa_tg_split 0
		.amdhsa_exception_fp_ieee_invalid_op 0
		.amdhsa_exception_fp_denorm_src 0
		.amdhsa_exception_fp_ieee_div_zero 0
		.amdhsa_exception_fp_ieee_overflow 0
		.amdhsa_exception_fp_ieee_underflow 0
		.amdhsa_exception_fp_ieee_inexact 0
		.amdhsa_exception_int_div_zero 0
	.end_amdhsa_kernel
	.section	.text._ZN7rocprim17ROCPRIM_400000_NS6detail17trampoline_kernelINS0_14default_configENS1_35adjacent_difference_config_selectorILb0EfEEZNS1_24adjacent_difference_implIS3_Lb0ELb0EPfS7_N6thrust23THRUST_200600_302600_NS5minusIfEEEE10hipError_tPvRmT2_T3_mT4_P12ihipStream_tbEUlT_E_NS1_11comp_targetILNS1_3genE0ELNS1_11target_archE4294967295ELNS1_3gpuE0ELNS1_3repE0EEENS1_30default_config_static_selectorELNS0_4arch9wavefront6targetE1EEEvT1_,"axG",@progbits,_ZN7rocprim17ROCPRIM_400000_NS6detail17trampoline_kernelINS0_14default_configENS1_35adjacent_difference_config_selectorILb0EfEEZNS1_24adjacent_difference_implIS3_Lb0ELb0EPfS7_N6thrust23THRUST_200600_302600_NS5minusIfEEEE10hipError_tPvRmT2_T3_mT4_P12ihipStream_tbEUlT_E_NS1_11comp_targetILNS1_3genE0ELNS1_11target_archE4294967295ELNS1_3gpuE0ELNS1_3repE0EEENS1_30default_config_static_selectorELNS0_4arch9wavefront6targetE1EEEvT1_,comdat
.Lfunc_end153:
	.size	_ZN7rocprim17ROCPRIM_400000_NS6detail17trampoline_kernelINS0_14default_configENS1_35adjacent_difference_config_selectorILb0EfEEZNS1_24adjacent_difference_implIS3_Lb0ELb0EPfS7_N6thrust23THRUST_200600_302600_NS5minusIfEEEE10hipError_tPvRmT2_T3_mT4_P12ihipStream_tbEUlT_E_NS1_11comp_targetILNS1_3genE0ELNS1_11target_archE4294967295ELNS1_3gpuE0ELNS1_3repE0EEENS1_30default_config_static_selectorELNS0_4arch9wavefront6targetE1EEEvT1_, .Lfunc_end153-_ZN7rocprim17ROCPRIM_400000_NS6detail17trampoline_kernelINS0_14default_configENS1_35adjacent_difference_config_selectorILb0EfEEZNS1_24adjacent_difference_implIS3_Lb0ELb0EPfS7_N6thrust23THRUST_200600_302600_NS5minusIfEEEE10hipError_tPvRmT2_T3_mT4_P12ihipStream_tbEUlT_E_NS1_11comp_targetILNS1_3genE0ELNS1_11target_archE4294967295ELNS1_3gpuE0ELNS1_3repE0EEENS1_30default_config_static_selectorELNS0_4arch9wavefront6targetE1EEEvT1_
                                        ; -- End function
	.section	.AMDGPU.csdata,"",@progbits
; Kernel info:
; codeLenInByte = 0
; NumSgprs: 4
; NumVgprs: 0
; NumAgprs: 0
; TotalNumVgprs: 0
; ScratchSize: 0
; MemoryBound: 0
; FloatMode: 240
; IeeeMode: 1
; LDSByteSize: 0 bytes/workgroup (compile time only)
; SGPRBlocks: 0
; VGPRBlocks: 0
; NumSGPRsForWavesPerEU: 4
; NumVGPRsForWavesPerEU: 1
; AccumOffset: 4
; Occupancy: 8
; WaveLimiterHint : 0
; COMPUTE_PGM_RSRC2:SCRATCH_EN: 0
; COMPUTE_PGM_RSRC2:USER_SGPR: 6
; COMPUTE_PGM_RSRC2:TRAP_HANDLER: 0
; COMPUTE_PGM_RSRC2:TGID_X_EN: 1
; COMPUTE_PGM_RSRC2:TGID_Y_EN: 0
; COMPUTE_PGM_RSRC2:TGID_Z_EN: 0
; COMPUTE_PGM_RSRC2:TIDIG_COMP_CNT: 0
; COMPUTE_PGM_RSRC3_GFX90A:ACCUM_OFFSET: 0
; COMPUTE_PGM_RSRC3_GFX90A:TG_SPLIT: 0
	.section	.text._ZN7rocprim17ROCPRIM_400000_NS6detail17trampoline_kernelINS0_14default_configENS1_35adjacent_difference_config_selectorILb0EfEEZNS1_24adjacent_difference_implIS3_Lb0ELb0EPfS7_N6thrust23THRUST_200600_302600_NS5minusIfEEEE10hipError_tPvRmT2_T3_mT4_P12ihipStream_tbEUlT_E_NS1_11comp_targetILNS1_3genE10ELNS1_11target_archE1201ELNS1_3gpuE5ELNS1_3repE0EEENS1_30default_config_static_selectorELNS0_4arch9wavefront6targetE1EEEvT1_,"axG",@progbits,_ZN7rocprim17ROCPRIM_400000_NS6detail17trampoline_kernelINS0_14default_configENS1_35adjacent_difference_config_selectorILb0EfEEZNS1_24adjacent_difference_implIS3_Lb0ELb0EPfS7_N6thrust23THRUST_200600_302600_NS5minusIfEEEE10hipError_tPvRmT2_T3_mT4_P12ihipStream_tbEUlT_E_NS1_11comp_targetILNS1_3genE10ELNS1_11target_archE1201ELNS1_3gpuE5ELNS1_3repE0EEENS1_30default_config_static_selectorELNS0_4arch9wavefront6targetE1EEEvT1_,comdat
	.protected	_ZN7rocprim17ROCPRIM_400000_NS6detail17trampoline_kernelINS0_14default_configENS1_35adjacent_difference_config_selectorILb0EfEEZNS1_24adjacent_difference_implIS3_Lb0ELb0EPfS7_N6thrust23THRUST_200600_302600_NS5minusIfEEEE10hipError_tPvRmT2_T3_mT4_P12ihipStream_tbEUlT_E_NS1_11comp_targetILNS1_3genE10ELNS1_11target_archE1201ELNS1_3gpuE5ELNS1_3repE0EEENS1_30default_config_static_selectorELNS0_4arch9wavefront6targetE1EEEvT1_ ; -- Begin function _ZN7rocprim17ROCPRIM_400000_NS6detail17trampoline_kernelINS0_14default_configENS1_35adjacent_difference_config_selectorILb0EfEEZNS1_24adjacent_difference_implIS3_Lb0ELb0EPfS7_N6thrust23THRUST_200600_302600_NS5minusIfEEEE10hipError_tPvRmT2_T3_mT4_P12ihipStream_tbEUlT_E_NS1_11comp_targetILNS1_3genE10ELNS1_11target_archE1201ELNS1_3gpuE5ELNS1_3repE0EEENS1_30default_config_static_selectorELNS0_4arch9wavefront6targetE1EEEvT1_
	.globl	_ZN7rocprim17ROCPRIM_400000_NS6detail17trampoline_kernelINS0_14default_configENS1_35adjacent_difference_config_selectorILb0EfEEZNS1_24adjacent_difference_implIS3_Lb0ELb0EPfS7_N6thrust23THRUST_200600_302600_NS5minusIfEEEE10hipError_tPvRmT2_T3_mT4_P12ihipStream_tbEUlT_E_NS1_11comp_targetILNS1_3genE10ELNS1_11target_archE1201ELNS1_3gpuE5ELNS1_3repE0EEENS1_30default_config_static_selectorELNS0_4arch9wavefront6targetE1EEEvT1_
	.p2align	8
	.type	_ZN7rocprim17ROCPRIM_400000_NS6detail17trampoline_kernelINS0_14default_configENS1_35adjacent_difference_config_selectorILb0EfEEZNS1_24adjacent_difference_implIS3_Lb0ELb0EPfS7_N6thrust23THRUST_200600_302600_NS5minusIfEEEE10hipError_tPvRmT2_T3_mT4_P12ihipStream_tbEUlT_E_NS1_11comp_targetILNS1_3genE10ELNS1_11target_archE1201ELNS1_3gpuE5ELNS1_3repE0EEENS1_30default_config_static_selectorELNS0_4arch9wavefront6targetE1EEEvT1_,@function
_ZN7rocprim17ROCPRIM_400000_NS6detail17trampoline_kernelINS0_14default_configENS1_35adjacent_difference_config_selectorILb0EfEEZNS1_24adjacent_difference_implIS3_Lb0ELb0EPfS7_N6thrust23THRUST_200600_302600_NS5minusIfEEEE10hipError_tPvRmT2_T3_mT4_P12ihipStream_tbEUlT_E_NS1_11comp_targetILNS1_3genE10ELNS1_11target_archE1201ELNS1_3gpuE5ELNS1_3repE0EEENS1_30default_config_static_selectorELNS0_4arch9wavefront6targetE1EEEvT1_: ; @_ZN7rocprim17ROCPRIM_400000_NS6detail17trampoline_kernelINS0_14default_configENS1_35adjacent_difference_config_selectorILb0EfEEZNS1_24adjacent_difference_implIS3_Lb0ELb0EPfS7_N6thrust23THRUST_200600_302600_NS5minusIfEEEE10hipError_tPvRmT2_T3_mT4_P12ihipStream_tbEUlT_E_NS1_11comp_targetILNS1_3genE10ELNS1_11target_archE1201ELNS1_3gpuE5ELNS1_3repE0EEENS1_30default_config_static_selectorELNS0_4arch9wavefront6targetE1EEEvT1_
; %bb.0:
	.section	.rodata,"a",@progbits
	.p2align	6, 0x0
	.amdhsa_kernel _ZN7rocprim17ROCPRIM_400000_NS6detail17trampoline_kernelINS0_14default_configENS1_35adjacent_difference_config_selectorILb0EfEEZNS1_24adjacent_difference_implIS3_Lb0ELb0EPfS7_N6thrust23THRUST_200600_302600_NS5minusIfEEEE10hipError_tPvRmT2_T3_mT4_P12ihipStream_tbEUlT_E_NS1_11comp_targetILNS1_3genE10ELNS1_11target_archE1201ELNS1_3gpuE5ELNS1_3repE0EEENS1_30default_config_static_selectorELNS0_4arch9wavefront6targetE1EEEvT1_
		.amdhsa_group_segment_fixed_size 0
		.amdhsa_private_segment_fixed_size 0
		.amdhsa_kernarg_size 56
		.amdhsa_user_sgpr_count 6
		.amdhsa_user_sgpr_private_segment_buffer 1
		.amdhsa_user_sgpr_dispatch_ptr 0
		.amdhsa_user_sgpr_queue_ptr 0
		.amdhsa_user_sgpr_kernarg_segment_ptr 1
		.amdhsa_user_sgpr_dispatch_id 0
		.amdhsa_user_sgpr_flat_scratch_init 0
		.amdhsa_user_sgpr_kernarg_preload_length 0
		.amdhsa_user_sgpr_kernarg_preload_offset 0
		.amdhsa_user_sgpr_private_segment_size 0
		.amdhsa_uses_dynamic_stack 0
		.amdhsa_system_sgpr_private_segment_wavefront_offset 0
		.amdhsa_system_sgpr_workgroup_id_x 1
		.amdhsa_system_sgpr_workgroup_id_y 0
		.amdhsa_system_sgpr_workgroup_id_z 0
		.amdhsa_system_sgpr_workgroup_info 0
		.amdhsa_system_vgpr_workitem_id 0
		.amdhsa_next_free_vgpr 1
		.amdhsa_next_free_sgpr 0
		.amdhsa_accum_offset 4
		.amdhsa_reserve_vcc 0
		.amdhsa_reserve_flat_scratch 0
		.amdhsa_float_round_mode_32 0
		.amdhsa_float_round_mode_16_64 0
		.amdhsa_float_denorm_mode_32 3
		.amdhsa_float_denorm_mode_16_64 3
		.amdhsa_dx10_clamp 1
		.amdhsa_ieee_mode 1
		.amdhsa_fp16_overflow 0
		.amdhsa_tg_split 0
		.amdhsa_exception_fp_ieee_invalid_op 0
		.amdhsa_exception_fp_denorm_src 0
		.amdhsa_exception_fp_ieee_div_zero 0
		.amdhsa_exception_fp_ieee_overflow 0
		.amdhsa_exception_fp_ieee_underflow 0
		.amdhsa_exception_fp_ieee_inexact 0
		.amdhsa_exception_int_div_zero 0
	.end_amdhsa_kernel
	.section	.text._ZN7rocprim17ROCPRIM_400000_NS6detail17trampoline_kernelINS0_14default_configENS1_35adjacent_difference_config_selectorILb0EfEEZNS1_24adjacent_difference_implIS3_Lb0ELb0EPfS7_N6thrust23THRUST_200600_302600_NS5minusIfEEEE10hipError_tPvRmT2_T3_mT4_P12ihipStream_tbEUlT_E_NS1_11comp_targetILNS1_3genE10ELNS1_11target_archE1201ELNS1_3gpuE5ELNS1_3repE0EEENS1_30default_config_static_selectorELNS0_4arch9wavefront6targetE1EEEvT1_,"axG",@progbits,_ZN7rocprim17ROCPRIM_400000_NS6detail17trampoline_kernelINS0_14default_configENS1_35adjacent_difference_config_selectorILb0EfEEZNS1_24adjacent_difference_implIS3_Lb0ELb0EPfS7_N6thrust23THRUST_200600_302600_NS5minusIfEEEE10hipError_tPvRmT2_T3_mT4_P12ihipStream_tbEUlT_E_NS1_11comp_targetILNS1_3genE10ELNS1_11target_archE1201ELNS1_3gpuE5ELNS1_3repE0EEENS1_30default_config_static_selectorELNS0_4arch9wavefront6targetE1EEEvT1_,comdat
.Lfunc_end154:
	.size	_ZN7rocprim17ROCPRIM_400000_NS6detail17trampoline_kernelINS0_14default_configENS1_35adjacent_difference_config_selectorILb0EfEEZNS1_24adjacent_difference_implIS3_Lb0ELb0EPfS7_N6thrust23THRUST_200600_302600_NS5minusIfEEEE10hipError_tPvRmT2_T3_mT4_P12ihipStream_tbEUlT_E_NS1_11comp_targetILNS1_3genE10ELNS1_11target_archE1201ELNS1_3gpuE5ELNS1_3repE0EEENS1_30default_config_static_selectorELNS0_4arch9wavefront6targetE1EEEvT1_, .Lfunc_end154-_ZN7rocprim17ROCPRIM_400000_NS6detail17trampoline_kernelINS0_14default_configENS1_35adjacent_difference_config_selectorILb0EfEEZNS1_24adjacent_difference_implIS3_Lb0ELb0EPfS7_N6thrust23THRUST_200600_302600_NS5minusIfEEEE10hipError_tPvRmT2_T3_mT4_P12ihipStream_tbEUlT_E_NS1_11comp_targetILNS1_3genE10ELNS1_11target_archE1201ELNS1_3gpuE5ELNS1_3repE0EEENS1_30default_config_static_selectorELNS0_4arch9wavefront6targetE1EEEvT1_
                                        ; -- End function
	.section	.AMDGPU.csdata,"",@progbits
; Kernel info:
; codeLenInByte = 0
; NumSgprs: 4
; NumVgprs: 0
; NumAgprs: 0
; TotalNumVgprs: 0
; ScratchSize: 0
; MemoryBound: 0
; FloatMode: 240
; IeeeMode: 1
; LDSByteSize: 0 bytes/workgroup (compile time only)
; SGPRBlocks: 0
; VGPRBlocks: 0
; NumSGPRsForWavesPerEU: 4
; NumVGPRsForWavesPerEU: 1
; AccumOffset: 4
; Occupancy: 8
; WaveLimiterHint : 0
; COMPUTE_PGM_RSRC2:SCRATCH_EN: 0
; COMPUTE_PGM_RSRC2:USER_SGPR: 6
; COMPUTE_PGM_RSRC2:TRAP_HANDLER: 0
; COMPUTE_PGM_RSRC2:TGID_X_EN: 1
; COMPUTE_PGM_RSRC2:TGID_Y_EN: 0
; COMPUTE_PGM_RSRC2:TGID_Z_EN: 0
; COMPUTE_PGM_RSRC2:TIDIG_COMP_CNT: 0
; COMPUTE_PGM_RSRC3_GFX90A:ACCUM_OFFSET: 0
; COMPUTE_PGM_RSRC3_GFX90A:TG_SPLIT: 0
	.section	.text._ZN7rocprim17ROCPRIM_400000_NS6detail17trampoline_kernelINS0_14default_configENS1_35adjacent_difference_config_selectorILb0EfEEZNS1_24adjacent_difference_implIS3_Lb0ELb0EPfS7_N6thrust23THRUST_200600_302600_NS5minusIfEEEE10hipError_tPvRmT2_T3_mT4_P12ihipStream_tbEUlT_E_NS1_11comp_targetILNS1_3genE5ELNS1_11target_archE942ELNS1_3gpuE9ELNS1_3repE0EEENS1_30default_config_static_selectorELNS0_4arch9wavefront6targetE1EEEvT1_,"axG",@progbits,_ZN7rocprim17ROCPRIM_400000_NS6detail17trampoline_kernelINS0_14default_configENS1_35adjacent_difference_config_selectorILb0EfEEZNS1_24adjacent_difference_implIS3_Lb0ELb0EPfS7_N6thrust23THRUST_200600_302600_NS5minusIfEEEE10hipError_tPvRmT2_T3_mT4_P12ihipStream_tbEUlT_E_NS1_11comp_targetILNS1_3genE5ELNS1_11target_archE942ELNS1_3gpuE9ELNS1_3repE0EEENS1_30default_config_static_selectorELNS0_4arch9wavefront6targetE1EEEvT1_,comdat
	.protected	_ZN7rocprim17ROCPRIM_400000_NS6detail17trampoline_kernelINS0_14default_configENS1_35adjacent_difference_config_selectorILb0EfEEZNS1_24adjacent_difference_implIS3_Lb0ELb0EPfS7_N6thrust23THRUST_200600_302600_NS5minusIfEEEE10hipError_tPvRmT2_T3_mT4_P12ihipStream_tbEUlT_E_NS1_11comp_targetILNS1_3genE5ELNS1_11target_archE942ELNS1_3gpuE9ELNS1_3repE0EEENS1_30default_config_static_selectorELNS0_4arch9wavefront6targetE1EEEvT1_ ; -- Begin function _ZN7rocprim17ROCPRIM_400000_NS6detail17trampoline_kernelINS0_14default_configENS1_35adjacent_difference_config_selectorILb0EfEEZNS1_24adjacent_difference_implIS3_Lb0ELb0EPfS7_N6thrust23THRUST_200600_302600_NS5minusIfEEEE10hipError_tPvRmT2_T3_mT4_P12ihipStream_tbEUlT_E_NS1_11comp_targetILNS1_3genE5ELNS1_11target_archE942ELNS1_3gpuE9ELNS1_3repE0EEENS1_30default_config_static_selectorELNS0_4arch9wavefront6targetE1EEEvT1_
	.globl	_ZN7rocprim17ROCPRIM_400000_NS6detail17trampoline_kernelINS0_14default_configENS1_35adjacent_difference_config_selectorILb0EfEEZNS1_24adjacent_difference_implIS3_Lb0ELb0EPfS7_N6thrust23THRUST_200600_302600_NS5minusIfEEEE10hipError_tPvRmT2_T3_mT4_P12ihipStream_tbEUlT_E_NS1_11comp_targetILNS1_3genE5ELNS1_11target_archE942ELNS1_3gpuE9ELNS1_3repE0EEENS1_30default_config_static_selectorELNS0_4arch9wavefront6targetE1EEEvT1_
	.p2align	8
	.type	_ZN7rocprim17ROCPRIM_400000_NS6detail17trampoline_kernelINS0_14default_configENS1_35adjacent_difference_config_selectorILb0EfEEZNS1_24adjacent_difference_implIS3_Lb0ELb0EPfS7_N6thrust23THRUST_200600_302600_NS5minusIfEEEE10hipError_tPvRmT2_T3_mT4_P12ihipStream_tbEUlT_E_NS1_11comp_targetILNS1_3genE5ELNS1_11target_archE942ELNS1_3gpuE9ELNS1_3repE0EEENS1_30default_config_static_selectorELNS0_4arch9wavefront6targetE1EEEvT1_,@function
_ZN7rocprim17ROCPRIM_400000_NS6detail17trampoline_kernelINS0_14default_configENS1_35adjacent_difference_config_selectorILb0EfEEZNS1_24adjacent_difference_implIS3_Lb0ELb0EPfS7_N6thrust23THRUST_200600_302600_NS5minusIfEEEE10hipError_tPvRmT2_T3_mT4_P12ihipStream_tbEUlT_E_NS1_11comp_targetILNS1_3genE5ELNS1_11target_archE942ELNS1_3gpuE9ELNS1_3repE0EEENS1_30default_config_static_selectorELNS0_4arch9wavefront6targetE1EEEvT1_: ; @_ZN7rocprim17ROCPRIM_400000_NS6detail17trampoline_kernelINS0_14default_configENS1_35adjacent_difference_config_selectorILb0EfEEZNS1_24adjacent_difference_implIS3_Lb0ELb0EPfS7_N6thrust23THRUST_200600_302600_NS5minusIfEEEE10hipError_tPvRmT2_T3_mT4_P12ihipStream_tbEUlT_E_NS1_11comp_targetILNS1_3genE5ELNS1_11target_archE942ELNS1_3gpuE9ELNS1_3repE0EEENS1_30default_config_static_selectorELNS0_4arch9wavefront6targetE1EEEvT1_
; %bb.0:
	.section	.rodata,"a",@progbits
	.p2align	6, 0x0
	.amdhsa_kernel _ZN7rocprim17ROCPRIM_400000_NS6detail17trampoline_kernelINS0_14default_configENS1_35adjacent_difference_config_selectorILb0EfEEZNS1_24adjacent_difference_implIS3_Lb0ELb0EPfS7_N6thrust23THRUST_200600_302600_NS5minusIfEEEE10hipError_tPvRmT2_T3_mT4_P12ihipStream_tbEUlT_E_NS1_11comp_targetILNS1_3genE5ELNS1_11target_archE942ELNS1_3gpuE9ELNS1_3repE0EEENS1_30default_config_static_selectorELNS0_4arch9wavefront6targetE1EEEvT1_
		.amdhsa_group_segment_fixed_size 0
		.amdhsa_private_segment_fixed_size 0
		.amdhsa_kernarg_size 56
		.amdhsa_user_sgpr_count 6
		.amdhsa_user_sgpr_private_segment_buffer 1
		.amdhsa_user_sgpr_dispatch_ptr 0
		.amdhsa_user_sgpr_queue_ptr 0
		.amdhsa_user_sgpr_kernarg_segment_ptr 1
		.amdhsa_user_sgpr_dispatch_id 0
		.amdhsa_user_sgpr_flat_scratch_init 0
		.amdhsa_user_sgpr_kernarg_preload_length 0
		.amdhsa_user_sgpr_kernarg_preload_offset 0
		.amdhsa_user_sgpr_private_segment_size 0
		.amdhsa_uses_dynamic_stack 0
		.amdhsa_system_sgpr_private_segment_wavefront_offset 0
		.amdhsa_system_sgpr_workgroup_id_x 1
		.amdhsa_system_sgpr_workgroup_id_y 0
		.amdhsa_system_sgpr_workgroup_id_z 0
		.amdhsa_system_sgpr_workgroup_info 0
		.amdhsa_system_vgpr_workitem_id 0
		.amdhsa_next_free_vgpr 1
		.amdhsa_next_free_sgpr 0
		.amdhsa_accum_offset 4
		.amdhsa_reserve_vcc 0
		.amdhsa_reserve_flat_scratch 0
		.amdhsa_float_round_mode_32 0
		.amdhsa_float_round_mode_16_64 0
		.amdhsa_float_denorm_mode_32 3
		.amdhsa_float_denorm_mode_16_64 3
		.amdhsa_dx10_clamp 1
		.amdhsa_ieee_mode 1
		.amdhsa_fp16_overflow 0
		.amdhsa_tg_split 0
		.amdhsa_exception_fp_ieee_invalid_op 0
		.amdhsa_exception_fp_denorm_src 0
		.amdhsa_exception_fp_ieee_div_zero 0
		.amdhsa_exception_fp_ieee_overflow 0
		.amdhsa_exception_fp_ieee_underflow 0
		.amdhsa_exception_fp_ieee_inexact 0
		.amdhsa_exception_int_div_zero 0
	.end_amdhsa_kernel
	.section	.text._ZN7rocprim17ROCPRIM_400000_NS6detail17trampoline_kernelINS0_14default_configENS1_35adjacent_difference_config_selectorILb0EfEEZNS1_24adjacent_difference_implIS3_Lb0ELb0EPfS7_N6thrust23THRUST_200600_302600_NS5minusIfEEEE10hipError_tPvRmT2_T3_mT4_P12ihipStream_tbEUlT_E_NS1_11comp_targetILNS1_3genE5ELNS1_11target_archE942ELNS1_3gpuE9ELNS1_3repE0EEENS1_30default_config_static_selectorELNS0_4arch9wavefront6targetE1EEEvT1_,"axG",@progbits,_ZN7rocprim17ROCPRIM_400000_NS6detail17trampoline_kernelINS0_14default_configENS1_35adjacent_difference_config_selectorILb0EfEEZNS1_24adjacent_difference_implIS3_Lb0ELb0EPfS7_N6thrust23THRUST_200600_302600_NS5minusIfEEEE10hipError_tPvRmT2_T3_mT4_P12ihipStream_tbEUlT_E_NS1_11comp_targetILNS1_3genE5ELNS1_11target_archE942ELNS1_3gpuE9ELNS1_3repE0EEENS1_30default_config_static_selectorELNS0_4arch9wavefront6targetE1EEEvT1_,comdat
.Lfunc_end155:
	.size	_ZN7rocprim17ROCPRIM_400000_NS6detail17trampoline_kernelINS0_14default_configENS1_35adjacent_difference_config_selectorILb0EfEEZNS1_24adjacent_difference_implIS3_Lb0ELb0EPfS7_N6thrust23THRUST_200600_302600_NS5minusIfEEEE10hipError_tPvRmT2_T3_mT4_P12ihipStream_tbEUlT_E_NS1_11comp_targetILNS1_3genE5ELNS1_11target_archE942ELNS1_3gpuE9ELNS1_3repE0EEENS1_30default_config_static_selectorELNS0_4arch9wavefront6targetE1EEEvT1_, .Lfunc_end155-_ZN7rocprim17ROCPRIM_400000_NS6detail17trampoline_kernelINS0_14default_configENS1_35adjacent_difference_config_selectorILb0EfEEZNS1_24adjacent_difference_implIS3_Lb0ELb0EPfS7_N6thrust23THRUST_200600_302600_NS5minusIfEEEE10hipError_tPvRmT2_T3_mT4_P12ihipStream_tbEUlT_E_NS1_11comp_targetILNS1_3genE5ELNS1_11target_archE942ELNS1_3gpuE9ELNS1_3repE0EEENS1_30default_config_static_selectorELNS0_4arch9wavefront6targetE1EEEvT1_
                                        ; -- End function
	.section	.AMDGPU.csdata,"",@progbits
; Kernel info:
; codeLenInByte = 0
; NumSgprs: 4
; NumVgprs: 0
; NumAgprs: 0
; TotalNumVgprs: 0
; ScratchSize: 0
; MemoryBound: 0
; FloatMode: 240
; IeeeMode: 1
; LDSByteSize: 0 bytes/workgroup (compile time only)
; SGPRBlocks: 0
; VGPRBlocks: 0
; NumSGPRsForWavesPerEU: 4
; NumVGPRsForWavesPerEU: 1
; AccumOffset: 4
; Occupancy: 8
; WaveLimiterHint : 0
; COMPUTE_PGM_RSRC2:SCRATCH_EN: 0
; COMPUTE_PGM_RSRC2:USER_SGPR: 6
; COMPUTE_PGM_RSRC2:TRAP_HANDLER: 0
; COMPUTE_PGM_RSRC2:TGID_X_EN: 1
; COMPUTE_PGM_RSRC2:TGID_Y_EN: 0
; COMPUTE_PGM_RSRC2:TGID_Z_EN: 0
; COMPUTE_PGM_RSRC2:TIDIG_COMP_CNT: 0
; COMPUTE_PGM_RSRC3_GFX90A:ACCUM_OFFSET: 0
; COMPUTE_PGM_RSRC3_GFX90A:TG_SPLIT: 0
	.section	.text._ZN7rocprim17ROCPRIM_400000_NS6detail17trampoline_kernelINS0_14default_configENS1_35adjacent_difference_config_selectorILb0EfEEZNS1_24adjacent_difference_implIS3_Lb0ELb0EPfS7_N6thrust23THRUST_200600_302600_NS5minusIfEEEE10hipError_tPvRmT2_T3_mT4_P12ihipStream_tbEUlT_E_NS1_11comp_targetILNS1_3genE4ELNS1_11target_archE910ELNS1_3gpuE8ELNS1_3repE0EEENS1_30default_config_static_selectorELNS0_4arch9wavefront6targetE1EEEvT1_,"axG",@progbits,_ZN7rocprim17ROCPRIM_400000_NS6detail17trampoline_kernelINS0_14default_configENS1_35adjacent_difference_config_selectorILb0EfEEZNS1_24adjacent_difference_implIS3_Lb0ELb0EPfS7_N6thrust23THRUST_200600_302600_NS5minusIfEEEE10hipError_tPvRmT2_T3_mT4_P12ihipStream_tbEUlT_E_NS1_11comp_targetILNS1_3genE4ELNS1_11target_archE910ELNS1_3gpuE8ELNS1_3repE0EEENS1_30default_config_static_selectorELNS0_4arch9wavefront6targetE1EEEvT1_,comdat
	.protected	_ZN7rocprim17ROCPRIM_400000_NS6detail17trampoline_kernelINS0_14default_configENS1_35adjacent_difference_config_selectorILb0EfEEZNS1_24adjacent_difference_implIS3_Lb0ELb0EPfS7_N6thrust23THRUST_200600_302600_NS5minusIfEEEE10hipError_tPvRmT2_T3_mT4_P12ihipStream_tbEUlT_E_NS1_11comp_targetILNS1_3genE4ELNS1_11target_archE910ELNS1_3gpuE8ELNS1_3repE0EEENS1_30default_config_static_selectorELNS0_4arch9wavefront6targetE1EEEvT1_ ; -- Begin function _ZN7rocprim17ROCPRIM_400000_NS6detail17trampoline_kernelINS0_14default_configENS1_35adjacent_difference_config_selectorILb0EfEEZNS1_24adjacent_difference_implIS3_Lb0ELb0EPfS7_N6thrust23THRUST_200600_302600_NS5minusIfEEEE10hipError_tPvRmT2_T3_mT4_P12ihipStream_tbEUlT_E_NS1_11comp_targetILNS1_3genE4ELNS1_11target_archE910ELNS1_3gpuE8ELNS1_3repE0EEENS1_30default_config_static_selectorELNS0_4arch9wavefront6targetE1EEEvT1_
	.globl	_ZN7rocprim17ROCPRIM_400000_NS6detail17trampoline_kernelINS0_14default_configENS1_35adjacent_difference_config_selectorILb0EfEEZNS1_24adjacent_difference_implIS3_Lb0ELb0EPfS7_N6thrust23THRUST_200600_302600_NS5minusIfEEEE10hipError_tPvRmT2_T3_mT4_P12ihipStream_tbEUlT_E_NS1_11comp_targetILNS1_3genE4ELNS1_11target_archE910ELNS1_3gpuE8ELNS1_3repE0EEENS1_30default_config_static_selectorELNS0_4arch9wavefront6targetE1EEEvT1_
	.p2align	8
	.type	_ZN7rocprim17ROCPRIM_400000_NS6detail17trampoline_kernelINS0_14default_configENS1_35adjacent_difference_config_selectorILb0EfEEZNS1_24adjacent_difference_implIS3_Lb0ELb0EPfS7_N6thrust23THRUST_200600_302600_NS5minusIfEEEE10hipError_tPvRmT2_T3_mT4_P12ihipStream_tbEUlT_E_NS1_11comp_targetILNS1_3genE4ELNS1_11target_archE910ELNS1_3gpuE8ELNS1_3repE0EEENS1_30default_config_static_selectorELNS0_4arch9wavefront6targetE1EEEvT1_,@function
_ZN7rocprim17ROCPRIM_400000_NS6detail17trampoline_kernelINS0_14default_configENS1_35adjacent_difference_config_selectorILb0EfEEZNS1_24adjacent_difference_implIS3_Lb0ELb0EPfS7_N6thrust23THRUST_200600_302600_NS5minusIfEEEE10hipError_tPvRmT2_T3_mT4_P12ihipStream_tbEUlT_E_NS1_11comp_targetILNS1_3genE4ELNS1_11target_archE910ELNS1_3gpuE8ELNS1_3repE0EEENS1_30default_config_static_selectorELNS0_4arch9wavefront6targetE1EEEvT1_: ; @_ZN7rocprim17ROCPRIM_400000_NS6detail17trampoline_kernelINS0_14default_configENS1_35adjacent_difference_config_selectorILb0EfEEZNS1_24adjacent_difference_implIS3_Lb0ELb0EPfS7_N6thrust23THRUST_200600_302600_NS5minusIfEEEE10hipError_tPvRmT2_T3_mT4_P12ihipStream_tbEUlT_E_NS1_11comp_targetILNS1_3genE4ELNS1_11target_archE910ELNS1_3gpuE8ELNS1_3repE0EEENS1_30default_config_static_selectorELNS0_4arch9wavefront6targetE1EEEvT1_
; %bb.0:
	s_load_dwordx8 s[8:15], s[4:5], 0x0
	s_mov_b32 s2, 0x59999780
	s_movk_i32 s7, 0xa00
	s_load_dwordx2 s[0:1], s[4:5], 0x30
	s_mul_i32 s4, s6, 0xa00
	s_waitcnt lgkmcnt(0)
	s_lshl_b64 s[10:11], s[10:11], 2
	s_add_u32 s20, s8, s10
	s_addc_u32 s21, s9, s11
	s_add_u32 s2, 0xe0, s2
	s_addc_u32 s8, 0, 0
	v_add_co_u32_e64 v1, s[2:3], s2, 2.0
	s_cmp_lg_u64 s[2:3], 0
	s_addc_u32 s2, s8, 0x199999
	v_readfirstlane_b32 s8, v1
	s_mul_hi_u32 s9, s8, 0xfffff600
	s_mul_i32 s3, s2, 0xfffff600
	s_sub_i32 s9, s9, s8
	s_add_i32 s9, s9, s3
	s_mul_i32 s17, s8, 0xfffff600
	s_mul_hi_u32 s3, s8, s9
	s_mul_i32 s16, s8, s9
	s_mul_hi_u32 s8, s8, s17
	s_add_u32 s8, s8, s16
	s_addc_u32 s3, 0, s3
	s_mul_hi_u32 s18, s2, s17
	s_mul_i32 s17, s2, s17
	s_add_u32 s8, s8, s17
	s_mul_hi_u32 s16, s2, s9
	s_addc_u32 s3, s3, s18
	s_addc_u32 s8, s16, 0
	s_mul_i32 s9, s2, s9
	s_add_u32 s3, s3, s9
	s_addc_u32 s8, 0, s8
	v_add_co_u32_e32 v1, vcc, s3, v1
	s_cmp_lg_u64 vcc, 0
	s_addc_u32 s2, s2, s8
	v_readfirstlane_b32 s9, v1
	s_mul_i32 s8, s14, s2
	s_mul_hi_u32 s16, s14, s9
	s_mul_hi_u32 s3, s14, s2
	s_add_u32 s8, s16, s8
	s_addc_u32 s3, 0, s3
	s_mul_hi_u32 s17, s15, s9
	s_mul_i32 s9, s15, s9
	s_add_u32 s8, s8, s9
	s_mul_hi_u32 s16, s15, s2
	s_addc_u32 s3, s3, s17
	s_addc_u32 s8, s16, 0
	s_mul_i32 s2, s15, s2
	s_add_u32 s2, s3, s2
	s_addc_u32 s3, 0, s8
	s_add_u32 s8, s2, 1
	s_addc_u32 s9, s3, 0
	s_add_u32 s16, s2, 2
	s_mul_i32 s18, s3, 0xa00
	s_mul_hi_u32 s19, s2, 0xa00
	s_addc_u32 s17, s3, 0
	s_add_i32 s19, s19, s18
	s_mul_i32 s18, s2, 0xa00
	v_mov_b32_e32 v1, s18
	v_sub_co_u32_e32 v1, vcc, s14, v1
	s_cmp_lg_u64 vcc, 0
	s_subb_u32 s18, s15, s19
	v_subrev_co_u32_e32 v2, vcc, s7, v1
	s_cmp_lg_u64 vcc, 0
	s_subb_u32 s7, s18, 0
	v_readfirstlane_b32 s19, v2
	s_cmpk_gt_u32 s19, 0x9ff
	s_cselect_b32 s19, -1, 0
	s_cmp_eq_u32 s7, 0
	s_cselect_b32 s7, s19, -1
	s_cmp_lg_u32 s7, 0
	s_cselect_b32 s7, s16, s8
	s_cselect_b32 s8, s17, s9
	v_readfirstlane_b32 s9, v1
	s_cmpk_gt_u32 s9, 0x9ff
	s_cselect_b32 s9, -1, 0
	s_cmp_eq_u32 s18, 0
	s_cselect_b32 s9, s9, -1
	s_cmp_lg_u32 s9, 0
	s_cselect_b32 s8, s8, s3
	s_cselect_b32 s7, s7, s2
	s_mul_i32 s2, s8, 0xa00
	s_mul_hi_u32 s3, s7, 0xa00
	s_add_i32 s3, s3, s2
	s_mul_i32 s2, s7, 0xa00
	s_sub_u32 s2, s14, s2
	s_subb_u32 s3, s15, s3
	s_cmp_lg_u64 s[2:3], 0
	s_cselect_b64 s[2:3], -1, 0
	v_cndmask_b32_e64 v1, 0, 1, s[2:3]
	v_readfirstlane_b32 s2, v1
	s_add_u32 s2, s7, s2
	s_addc_u32 s3, s8, 0
	s_add_u32 s6, s0, s6
	s_addc_u32 s7, s1, 0
	s_add_u32 s8, s2, -1
	s_addc_u32 s9, s3, -1
	v_pk_mov_b32 v[2:3], s[8:9], s[8:9] op_sel:[0,1]
	v_cmp_ge_u64_e64 s[0:1], s[6:7], v[2:3]
	s_mov_b32 s5, 0
	s_mov_b64 s[16:17], -1
	s_and_b64 vcc, exec, s[0:1]
	s_mul_i32 s15, s8, 0xfffff600
	s_cbranch_vccz .LBB156_12
; %bb.1:
	s_add_i32 s22, s15, s14
	s_lshl_b64 s[16:17], s[4:5], 2
	s_add_u32 s16, s20, s16
	s_addc_u32 s17, s21, s17
	v_cmp_gt_u32_e32 vcc, s22, v0
                                        ; implicit-def: $vgpr2_vgpr3_vgpr4_vgpr5_vgpr6
	s_and_saveexec_b64 s[18:19], vcc
	s_cbranch_execz .LBB156_3
; %bb.2:
	v_lshlrev_b32_e32 v1, 2, v0
	global_load_dword v2, v1, s[16:17]
.LBB156_3:
	s_or_b64 exec, exec, s[18:19]
	v_or_b32_e32 v1, 0x200, v0
	v_cmp_gt_u32_e32 vcc, s22, v1
	s_and_saveexec_b64 s[18:19], vcc
	s_cbranch_execz .LBB156_5
; %bb.4:
	v_lshlrev_b32_e32 v1, 2, v0
	global_load_dword v3, v1, s[16:17] offset:2048
.LBB156_5:
	s_or_b64 exec, exec, s[18:19]
	v_or_b32_e32 v1, 0x400, v0
	v_cmp_gt_u32_e32 vcc, s22, v1
	s_and_saveexec_b64 s[18:19], vcc
	s_cbranch_execz .LBB156_7
; %bb.6:
	v_lshlrev_b32_e32 v1, 2, v1
	global_load_dword v4, v1, s[16:17]
.LBB156_7:
	s_or_b64 exec, exec, s[18:19]
	v_or_b32_e32 v1, 0x600, v0
	v_cmp_gt_u32_e32 vcc, s22, v1
	s_and_saveexec_b64 s[18:19], vcc
	s_cbranch_execz .LBB156_9
; %bb.8:
	v_lshlrev_b32_e32 v1, 2, v1
	global_load_dword v5, v1, s[16:17]
.LBB156_9:
	;; [unrolled: 9-line block ×3, first 2 shown]
	s_or_b64 exec, exec, s[18:19]
	v_lshlrev_b32_e32 v1, 2, v0
	s_mov_b64 s[16:17], 0
	s_waitcnt vmcnt(0)
	ds_write2st64_b32 v1, v2, v3 offset1:8
	ds_write2st64_b32 v1, v4, v5 offset0:16 offset1:24
	ds_write_b32 v1, v6 offset:8192
	s_waitcnt lgkmcnt(0)
	s_barrier
.LBB156_12:
	s_and_b64 vcc, exec, s[16:17]
	v_lshlrev_b32_e32 v1, 2, v0
	s_cbranch_vccz .LBB156_14
; %bb.13:
	s_lshl_b64 s[16:17], s[4:5], 2
	s_add_u32 s16, s20, s16
	s_addc_u32 s17, s21, s17
	v_mov_b32_e32 v2, s17
	v_add_co_u32_e32 v4, vcc, s16, v1
	v_addc_co_u32_e32 v5, vcc, 0, v2, vcc
	v_add_co_u32_e32 v2, vcc, 0x1000, v4
	v_addc_co_u32_e32 v3, vcc, 0, v5, vcc
	global_load_dword v6, v1, s[16:17]
	global_load_dword v7, v1, s[16:17] offset:2048
	global_load_dword v8, v[2:3], off
	global_load_dword v9, v[2:3], off offset:2048
	v_add_co_u32_e32 v2, vcc, 0x2000, v4
	v_addc_co_u32_e32 v3, vcc, 0, v5, vcc
	global_load_dword v2, v[2:3], off
	s_waitcnt vmcnt(3)
	ds_write2st64_b32 v1, v6, v7 offset1:8
	s_waitcnt vmcnt(1)
	ds_write2st64_b32 v1, v8, v9 offset0:16 offset1:24
	s_waitcnt vmcnt(0)
	ds_write_b32 v1, v2 offset:8192
	s_waitcnt lgkmcnt(0)
	s_barrier
.LBB156_14:
	v_mul_u32_u24_e32 v2, 5, v0
	v_lshlrev_b32_e32 v3, 2, v2
	ds_read_b32 v2, v3
	ds_read2_b32 v[4:5], v3 offset0:1 offset1:2
	ds_read2_b32 v[6:7], v3 offset0:3 offset1:4
	s_cmp_eq_u64 s[6:7], 0
	s_waitcnt lgkmcnt(0)
	s_barrier
	s_cbranch_scc1 .LBB156_19
; %bb.15:
	s_lshl_b64 s[16:17], s[4:5], 2
	s_add_u32 s5, s20, s16
	s_addc_u32 s17, s21, s17
	s_add_u32 s16, s5, -4
	s_addc_u32 s17, s17, -1
	s_load_dword s5, s[16:17], 0x0
	s_cmp_eq_u64 s[6:7], s[8:9]
	s_cbranch_scc1 .LBB156_21
; %bb.16:
	v_cmp_ne_u32_e32 vcc, 0, v0
	s_waitcnt lgkmcnt(0)
	v_mov_b32_e32 v8, s5
	ds_write_b32 v1, v7
	s_waitcnt lgkmcnt(0)
	s_barrier
	s_and_saveexec_b64 s[8:9], vcc
	s_cbranch_execz .LBB156_18
; %bb.17:
	v_add_u32_e32 v3, -4, v1
	ds_read_b32 v8, v3
.LBB156_18:
	s_or_b64 exec, exec, s[8:9]
	v_mov_b32_e32 v10, v5
	v_mov_b32_e32 v11, v6
	;; [unrolled: 1-line block ×3, first 2 shown]
	v_pk_add_f32 v[10:11], v[6:7], v[10:11] neg_lo:[0,1] neg_hi:[0,1]
	v_pk_add_f32 v[12:13], v[4:5], v[2:3] neg_lo:[0,1] neg_hi:[0,1]
	s_waitcnt lgkmcnt(0)
	v_sub_f32_e32 v8, v2, v8
	s_branch .LBB156_25
.LBB156_19:
	s_mov_b64 s[6:7], 0
                                        ; implicit-def: $vgpr11
                                        ; implicit-def: $vgpr13
                                        ; implicit-def: $vgpr8
	s_branch .LBB156_26
.LBB156_20:
                                        ; implicit-def: $vgpr2_vgpr3_vgpr4_vgpr5_vgpr6
	s_branch .LBB156_34
.LBB156_21:
                                        ; implicit-def: $vgpr11
                                        ; implicit-def: $vgpr13
                                        ; implicit-def: $vgpr8
	s_cbranch_execz .LBB156_25
; %bb.22:
	v_mul_u32_u24_e32 v3, 5, v0
	v_cmp_ne_u32_e32 vcc, 0, v0
	s_waitcnt lgkmcnt(0)
	v_mov_b32_e32 v8, s5
	ds_write_b32 v1, v7
	s_waitcnt lgkmcnt(0)
	s_barrier
	s_and_saveexec_b64 s[8:9], vcc
	s_cbranch_execz .LBB156_24
; %bb.23:
	v_add_u32_e32 v8, -4, v1
	ds_read_b32 v8, v8
.LBB156_24:
	s_or_b64 exec, exec, s[8:9]
	s_mul_i32 s5, s6, 0xfffff600
	s_add_i32 s5, s5, s14
	v_add_u32_e32 v9, 4, v3
	v_mov_b32_e32 v10, v7
	v_pk_add_f32 v[10:11], v[10:11], v[6:7] neg_lo:[0,1] neg_hi:[0,1]
	v_cmp_gt_u32_e32 vcc, s5, v9
	v_add_u32_e32 v9, 3, v3
	v_mov_b32_e32 v12, v5
	v_cndmask_b32_e32 v11, v7, v10, vcc
	v_pk_add_f32 v[14:15], v[6:7], v[12:13] neg_lo:[0,1] neg_hi:[0,1]
	v_cmp_gt_u32_e32 vcc, s5, v9
	v_add_u32_e32 v9, 2, v3
	v_cndmask_b32_e32 v10, v6, v14, vcc
	v_pk_add_f32 v[12:13], v[12:13], v[4:5] neg_lo:[0,1] neg_hi:[0,1]
	v_cmp_gt_u32_e32 vcc, s5, v9
	v_add_u32_e32 v9, 1, v3
	v_cndmask_b32_e32 v13, v5, v12, vcc
	v_sub_f32_e32 v12, v4, v2
	v_cmp_gt_u32_e32 vcc, s5, v9
	v_cndmask_b32_e32 v12, v4, v12, vcc
	s_waitcnt lgkmcnt(0)
	v_sub_f32_e32 v8, v2, v8
	v_cmp_gt_u32_e32 vcc, s5, v3
	v_cndmask_b32_e32 v8, v2, v8, vcc
.LBB156_25:
	s_mov_b64 s[6:7], -1
	s_cbranch_execnz .LBB156_20
.LBB156_26:
	s_cmp_lg_u64 s[2:3], 1
	v_cmp_ne_u32_e32 vcc, 0, v0
	s_cbranch_scc0 .LBB156_30
; %bb.27:
	v_mov_b32_e32 v8, v5
	v_mov_b32_e32 v9, v6
	;; [unrolled: 1-line block ×3, first 2 shown]
	v_pk_add_f32 v[10:11], v[6:7], v[8:9] neg_lo:[0,1] neg_hi:[0,1]
	v_pk_add_f32 v[12:13], v[4:5], v[2:3] neg_lo:[0,1] neg_hi:[0,1]
	ds_write_b32 v1, v7
	s_waitcnt lgkmcnt(0)
	s_barrier
	s_waitcnt lgkmcnt(0)
                                        ; implicit-def: $vgpr8
	s_and_saveexec_b64 s[2:3], vcc
	s_cbranch_execz .LBB156_29
; %bb.28:
	v_add_u32_e32 v3, -4, v1
	ds_read_b32 v3, v3
	s_or_b64 s[6:7], s[6:7], exec
	s_waitcnt lgkmcnt(0)
	v_sub_f32_e32 v8, v2, v3
.LBB156_29:
	s_or_b64 exec, exec, s[2:3]
	s_branch .LBB156_34
.LBB156_30:
                                        ; implicit-def: $vgpr11
                                        ; implicit-def: $vgpr13
                                        ; implicit-def: $vgpr8
	s_cbranch_execz .LBB156_34
; %bb.31:
	v_mad_u32_u24 v10, v0, 5, 4
	v_mov_b32_e32 v8, v7
	v_pk_add_f32 v[8:9], v[8:9], v[6:7] neg_lo:[0,1] neg_hi:[0,1]
	v_cmp_gt_u32_e32 vcc, s14, v10
	v_cndmask_b32_e32 v11, v7, v8, vcc
	v_mad_u32_u24 v9, v0, 5, 3
	v_mov_b32_e32 v8, v5
	v_pk_add_f32 v[12:13], v[6:7], v[8:9] neg_lo:[0,1] neg_hi:[0,1]
	v_cmp_gt_u32_e32 vcc, s14, v9
	v_mad_u32_u24 v9, v0, 5, 2
	ds_write_b32 v1, v7
	v_cndmask_b32_e32 v10, v6, v12, vcc
	v_pk_add_f32 v[6:7], v[8:9], v[4:5] neg_lo:[0,1] neg_hi:[0,1]
	v_cmp_gt_u32_e32 vcc, s14, v9
	v_cndmask_b32_e32 v13, v5, v6, vcc
	v_mad_u32_u24 v5, v0, 5, 1
	v_mul_u32_u24_e32 v3, 5, v0
	v_sub_f32_e32 v6, v4, v2
	v_cmp_gt_u32_e32 vcc, s14, v5
	v_cndmask_b32_e32 v12, v4, v6, vcc
	v_cmp_ne_u32_e32 vcc, 0, v0
	v_cmp_gt_u32_e64 s[2:3], s14, v3
	s_and_b64 s[8:9], vcc, s[2:3]
	s_waitcnt lgkmcnt(0)
	s_barrier
	s_waitcnt lgkmcnt(0)
                                        ; implicit-def: $vgpr8
	s_and_saveexec_b64 s[2:3], s[8:9]
	s_cbranch_execz .LBB156_33
; %bb.32:
	v_add_u32_e32 v3, -4, v1
	ds_read_b32 v3, v3
	s_or_b64 s[6:7], s[6:7], exec
	s_waitcnt lgkmcnt(0)
	v_sub_f32_e32 v8, v2, v3
                                        ; implicit-def: $vgpr2_vgpr3_vgpr4_vgpr5_vgpr6
.LBB156_33:
	s_or_b64 exec, exec, s[2:3]
.LBB156_34:
	s_and_saveexec_b64 s[2:3], s[6:7]
; %bb.35:
	v_mov_b32_e32 v2, v8
	v_mov_b32_e32 v3, v9
	;; [unrolled: 1-line block ×5, first 2 shown]
; %bb.36:
	s_or_b64 exec, exec, s[2:3]
	s_add_u32 s6, s12, s10
	s_addc_u32 s7, s13, s11
	s_and_b64 vcc, exec, s[0:1]
	v_mul_u32_u24_e32 v3, 20, v0
	v_lshlrev_b32_e32 v14, 4, v0
                                        ; kill: def $vgpr4 killed $vgpr11 killed $exec
	s_waitcnt lgkmcnt(0)
	s_barrier
	s_cbranch_vccz .LBB156_46
; %bb.37:
	s_mov_b32 s5, 0
	s_add_i32 s15, s15, s14
	s_lshl_b64 s[0:1], s[4:5], 2
	v_sub_u32_e32 v4, v3, v14
	s_add_u32 s0, s6, s0
	ds_write2_b32 v3, v2, v12 offset1:1
	ds_write2_b32 v3, v13, v10 offset0:2 offset1:3
	ds_write_b32 v3, v11 offset:16
	s_waitcnt lgkmcnt(0)
	s_barrier
	ds_read2st64_b32 v[8:9], v4 offset0:8 offset1:16
	ds_read2st64_b32 v[4:5], v4 offset0:24 offset1:32
	s_addc_u32 s1, s7, s1
	v_mov_b32_e32 v7, s1
	v_add_co_u32_e32 v6, vcc, s0, v1
	v_addc_co_u32_e32 v7, vcc, 0, v7, vcc
	v_cmp_gt_u32_e32 vcc, s15, v0
	s_and_saveexec_b64 s[0:1], vcc
	s_cbranch_execz .LBB156_39
; %bb.38:
	v_sub_u32_e32 v15, 0, v14
	v_add_u32_e32 v15, v3, v15
	ds_read_b32 v15, v15
	s_waitcnt lgkmcnt(0)
	global_store_dword v[6:7], v15, off
.LBB156_39:
	s_or_b64 exec, exec, s[0:1]
	v_or_b32_e32 v15, 0x200, v0
	v_cmp_gt_u32_e32 vcc, s15, v15
	s_and_saveexec_b64 s[0:1], vcc
	s_cbranch_execz .LBB156_41
; %bb.40:
	s_waitcnt lgkmcnt(1)
	global_store_dword v[6:7], v8, off offset:2048
.LBB156_41:
	s_or_b64 exec, exec, s[0:1]
	s_waitcnt lgkmcnt(1)
	v_or_b32_e32 v8, 0x400, v0
	v_cmp_gt_u32_e32 vcc, s15, v8
	s_and_saveexec_b64 s[0:1], vcc
	s_cbranch_execz .LBB156_43
; %bb.42:
	v_add_co_u32_e32 v16, vcc, 0x1000, v6
	v_addc_co_u32_e32 v17, vcc, 0, v7, vcc
	global_store_dword v[16:17], v9, off
.LBB156_43:
	s_or_b64 exec, exec, s[0:1]
	v_or_b32_e32 v8, 0x600, v0
	v_cmp_gt_u32_e32 vcc, s15, v8
	s_and_saveexec_b64 s[0:1], vcc
	s_cbranch_execz .LBB156_45
; %bb.44:
	v_add_co_u32_e32 v8, vcc, 0x1000, v6
	v_addc_co_u32_e32 v9, vcc, 0, v7, vcc
	s_waitcnt lgkmcnt(0)
	global_store_dword v[8:9], v4, off offset:2048
.LBB156_45:
	s_or_b64 exec, exec, s[0:1]
	v_or_b32_e32 v0, 0x800, v0
	v_cmp_gt_u32_e64 s[0:1], s15, v0
	s_branch .LBB156_48
.LBB156_46:
	s_mov_b64 s[0:1], 0
                                        ; implicit-def: $vgpr5
                                        ; implicit-def: $vgpr6_vgpr7
	s_cbranch_execz .LBB156_48
; %bb.47:
	s_mov_b32 s5, 0
	s_lshl_b64 s[2:3], s[4:5], 2
	s_add_u32 s2, s6, s2
	s_addc_u32 s3, s7, s3
	v_sub_u32_e32 v0, v3, v14
	ds_write2_b32 v3, v2, v12 offset1:1
	ds_write2_b32 v3, v13, v10 offset0:2 offset1:3
	ds_write_b32 v3, v11 offset:16
	s_waitcnt lgkmcnt(0)
	s_barrier
	ds_read2st64_b32 v[2:3], v0 offset1:8
	ds_read2st64_b32 v[8:9], v0 offset0:16 offset1:24
	ds_read_b32 v5, v0 offset:8192
	v_mov_b32_e32 v0, s3
	v_add_co_u32_e32 v6, vcc, s2, v1
	v_addc_co_u32_e32 v7, vcc, 0, v0, vcc
	v_add_co_u32_e32 v0, vcc, 0x1000, v6
	s_waitcnt lgkmcnt(2)
	global_store_dword v1, v2, s[2:3]
	global_store_dword v1, v3, s[2:3] offset:2048
	v_addc_co_u32_e32 v1, vcc, 0, v7, vcc
	s_or_b64 s[0:1], s[0:1], exec
	s_waitcnt lgkmcnt(1)
	global_store_dword v[0:1], v8, off
	global_store_dword v[0:1], v9, off offset:2048
.LBB156_48:
	s_and_saveexec_b64 s[2:3], s[0:1]
	s_cbranch_execnz .LBB156_50
; %bb.49:
	s_endpgm
.LBB156_50:
	v_add_co_u32_e32 v0, vcc, 0x2000, v6
	v_addc_co_u32_e32 v1, vcc, 0, v7, vcc
	s_waitcnt lgkmcnt(0)
	global_store_dword v[0:1], v5, off
	s_endpgm
	.section	.rodata,"a",@progbits
	.p2align	6, 0x0
	.amdhsa_kernel _ZN7rocprim17ROCPRIM_400000_NS6detail17trampoline_kernelINS0_14default_configENS1_35adjacent_difference_config_selectorILb0EfEEZNS1_24adjacent_difference_implIS3_Lb0ELb0EPfS7_N6thrust23THRUST_200600_302600_NS5minusIfEEEE10hipError_tPvRmT2_T3_mT4_P12ihipStream_tbEUlT_E_NS1_11comp_targetILNS1_3genE4ELNS1_11target_archE910ELNS1_3gpuE8ELNS1_3repE0EEENS1_30default_config_static_selectorELNS0_4arch9wavefront6targetE1EEEvT1_
		.amdhsa_group_segment_fixed_size 10240
		.amdhsa_private_segment_fixed_size 0
		.amdhsa_kernarg_size 56
		.amdhsa_user_sgpr_count 6
		.amdhsa_user_sgpr_private_segment_buffer 1
		.amdhsa_user_sgpr_dispatch_ptr 0
		.amdhsa_user_sgpr_queue_ptr 0
		.amdhsa_user_sgpr_kernarg_segment_ptr 1
		.amdhsa_user_sgpr_dispatch_id 0
		.amdhsa_user_sgpr_flat_scratch_init 0
		.amdhsa_user_sgpr_kernarg_preload_length 0
		.amdhsa_user_sgpr_kernarg_preload_offset 0
		.amdhsa_user_sgpr_private_segment_size 0
		.amdhsa_uses_dynamic_stack 0
		.amdhsa_system_sgpr_private_segment_wavefront_offset 0
		.amdhsa_system_sgpr_workgroup_id_x 1
		.amdhsa_system_sgpr_workgroup_id_y 0
		.amdhsa_system_sgpr_workgroup_id_z 0
		.amdhsa_system_sgpr_workgroup_info 0
		.amdhsa_system_vgpr_workitem_id 0
		.amdhsa_next_free_vgpr 18
		.amdhsa_next_free_sgpr 23
		.amdhsa_accum_offset 20
		.amdhsa_reserve_vcc 1
		.amdhsa_reserve_flat_scratch 0
		.amdhsa_float_round_mode_32 0
		.amdhsa_float_round_mode_16_64 0
		.amdhsa_float_denorm_mode_32 3
		.amdhsa_float_denorm_mode_16_64 3
		.amdhsa_dx10_clamp 1
		.amdhsa_ieee_mode 1
		.amdhsa_fp16_overflow 0
		.amdhsa_tg_split 0
		.amdhsa_exception_fp_ieee_invalid_op 0
		.amdhsa_exception_fp_denorm_src 0
		.amdhsa_exception_fp_ieee_div_zero 0
		.amdhsa_exception_fp_ieee_overflow 0
		.amdhsa_exception_fp_ieee_underflow 0
		.amdhsa_exception_fp_ieee_inexact 0
		.amdhsa_exception_int_div_zero 0
	.end_amdhsa_kernel
	.section	.text._ZN7rocprim17ROCPRIM_400000_NS6detail17trampoline_kernelINS0_14default_configENS1_35adjacent_difference_config_selectorILb0EfEEZNS1_24adjacent_difference_implIS3_Lb0ELb0EPfS7_N6thrust23THRUST_200600_302600_NS5minusIfEEEE10hipError_tPvRmT2_T3_mT4_P12ihipStream_tbEUlT_E_NS1_11comp_targetILNS1_3genE4ELNS1_11target_archE910ELNS1_3gpuE8ELNS1_3repE0EEENS1_30default_config_static_selectorELNS0_4arch9wavefront6targetE1EEEvT1_,"axG",@progbits,_ZN7rocprim17ROCPRIM_400000_NS6detail17trampoline_kernelINS0_14default_configENS1_35adjacent_difference_config_selectorILb0EfEEZNS1_24adjacent_difference_implIS3_Lb0ELb0EPfS7_N6thrust23THRUST_200600_302600_NS5minusIfEEEE10hipError_tPvRmT2_T3_mT4_P12ihipStream_tbEUlT_E_NS1_11comp_targetILNS1_3genE4ELNS1_11target_archE910ELNS1_3gpuE8ELNS1_3repE0EEENS1_30default_config_static_selectorELNS0_4arch9wavefront6targetE1EEEvT1_,comdat
.Lfunc_end156:
	.size	_ZN7rocprim17ROCPRIM_400000_NS6detail17trampoline_kernelINS0_14default_configENS1_35adjacent_difference_config_selectorILb0EfEEZNS1_24adjacent_difference_implIS3_Lb0ELb0EPfS7_N6thrust23THRUST_200600_302600_NS5minusIfEEEE10hipError_tPvRmT2_T3_mT4_P12ihipStream_tbEUlT_E_NS1_11comp_targetILNS1_3genE4ELNS1_11target_archE910ELNS1_3gpuE8ELNS1_3repE0EEENS1_30default_config_static_selectorELNS0_4arch9wavefront6targetE1EEEvT1_, .Lfunc_end156-_ZN7rocprim17ROCPRIM_400000_NS6detail17trampoline_kernelINS0_14default_configENS1_35adjacent_difference_config_selectorILb0EfEEZNS1_24adjacent_difference_implIS3_Lb0ELb0EPfS7_N6thrust23THRUST_200600_302600_NS5minusIfEEEE10hipError_tPvRmT2_T3_mT4_P12ihipStream_tbEUlT_E_NS1_11comp_targetILNS1_3genE4ELNS1_11target_archE910ELNS1_3gpuE8ELNS1_3repE0EEENS1_30default_config_static_selectorELNS0_4arch9wavefront6targetE1EEEvT1_
                                        ; -- End function
	.section	.AMDGPU.csdata,"",@progbits
; Kernel info:
; codeLenInByte = 2060
; NumSgprs: 27
; NumVgprs: 18
; NumAgprs: 0
; TotalNumVgprs: 18
; ScratchSize: 0
; MemoryBound: 0
; FloatMode: 240
; IeeeMode: 1
; LDSByteSize: 10240 bytes/workgroup (compile time only)
; SGPRBlocks: 3
; VGPRBlocks: 2
; NumSGPRsForWavesPerEU: 27
; NumVGPRsForWavesPerEU: 18
; AccumOffset: 20
; Occupancy: 8
; WaveLimiterHint : 1
; COMPUTE_PGM_RSRC2:SCRATCH_EN: 0
; COMPUTE_PGM_RSRC2:USER_SGPR: 6
; COMPUTE_PGM_RSRC2:TRAP_HANDLER: 0
; COMPUTE_PGM_RSRC2:TGID_X_EN: 1
; COMPUTE_PGM_RSRC2:TGID_Y_EN: 0
; COMPUTE_PGM_RSRC2:TGID_Z_EN: 0
; COMPUTE_PGM_RSRC2:TIDIG_COMP_CNT: 0
; COMPUTE_PGM_RSRC3_GFX90A:ACCUM_OFFSET: 4
; COMPUTE_PGM_RSRC3_GFX90A:TG_SPLIT: 0
	.section	.text._ZN7rocprim17ROCPRIM_400000_NS6detail17trampoline_kernelINS0_14default_configENS1_35adjacent_difference_config_selectorILb0EfEEZNS1_24adjacent_difference_implIS3_Lb0ELb0EPfS7_N6thrust23THRUST_200600_302600_NS5minusIfEEEE10hipError_tPvRmT2_T3_mT4_P12ihipStream_tbEUlT_E_NS1_11comp_targetILNS1_3genE3ELNS1_11target_archE908ELNS1_3gpuE7ELNS1_3repE0EEENS1_30default_config_static_selectorELNS0_4arch9wavefront6targetE1EEEvT1_,"axG",@progbits,_ZN7rocprim17ROCPRIM_400000_NS6detail17trampoline_kernelINS0_14default_configENS1_35adjacent_difference_config_selectorILb0EfEEZNS1_24adjacent_difference_implIS3_Lb0ELb0EPfS7_N6thrust23THRUST_200600_302600_NS5minusIfEEEE10hipError_tPvRmT2_T3_mT4_P12ihipStream_tbEUlT_E_NS1_11comp_targetILNS1_3genE3ELNS1_11target_archE908ELNS1_3gpuE7ELNS1_3repE0EEENS1_30default_config_static_selectorELNS0_4arch9wavefront6targetE1EEEvT1_,comdat
	.protected	_ZN7rocprim17ROCPRIM_400000_NS6detail17trampoline_kernelINS0_14default_configENS1_35adjacent_difference_config_selectorILb0EfEEZNS1_24adjacent_difference_implIS3_Lb0ELb0EPfS7_N6thrust23THRUST_200600_302600_NS5minusIfEEEE10hipError_tPvRmT2_T3_mT4_P12ihipStream_tbEUlT_E_NS1_11comp_targetILNS1_3genE3ELNS1_11target_archE908ELNS1_3gpuE7ELNS1_3repE0EEENS1_30default_config_static_selectorELNS0_4arch9wavefront6targetE1EEEvT1_ ; -- Begin function _ZN7rocprim17ROCPRIM_400000_NS6detail17trampoline_kernelINS0_14default_configENS1_35adjacent_difference_config_selectorILb0EfEEZNS1_24adjacent_difference_implIS3_Lb0ELb0EPfS7_N6thrust23THRUST_200600_302600_NS5minusIfEEEE10hipError_tPvRmT2_T3_mT4_P12ihipStream_tbEUlT_E_NS1_11comp_targetILNS1_3genE3ELNS1_11target_archE908ELNS1_3gpuE7ELNS1_3repE0EEENS1_30default_config_static_selectorELNS0_4arch9wavefront6targetE1EEEvT1_
	.globl	_ZN7rocprim17ROCPRIM_400000_NS6detail17trampoline_kernelINS0_14default_configENS1_35adjacent_difference_config_selectorILb0EfEEZNS1_24adjacent_difference_implIS3_Lb0ELb0EPfS7_N6thrust23THRUST_200600_302600_NS5minusIfEEEE10hipError_tPvRmT2_T3_mT4_P12ihipStream_tbEUlT_E_NS1_11comp_targetILNS1_3genE3ELNS1_11target_archE908ELNS1_3gpuE7ELNS1_3repE0EEENS1_30default_config_static_selectorELNS0_4arch9wavefront6targetE1EEEvT1_
	.p2align	8
	.type	_ZN7rocprim17ROCPRIM_400000_NS6detail17trampoline_kernelINS0_14default_configENS1_35adjacent_difference_config_selectorILb0EfEEZNS1_24adjacent_difference_implIS3_Lb0ELb0EPfS7_N6thrust23THRUST_200600_302600_NS5minusIfEEEE10hipError_tPvRmT2_T3_mT4_P12ihipStream_tbEUlT_E_NS1_11comp_targetILNS1_3genE3ELNS1_11target_archE908ELNS1_3gpuE7ELNS1_3repE0EEENS1_30default_config_static_selectorELNS0_4arch9wavefront6targetE1EEEvT1_,@function
_ZN7rocprim17ROCPRIM_400000_NS6detail17trampoline_kernelINS0_14default_configENS1_35adjacent_difference_config_selectorILb0EfEEZNS1_24adjacent_difference_implIS3_Lb0ELb0EPfS7_N6thrust23THRUST_200600_302600_NS5minusIfEEEE10hipError_tPvRmT2_T3_mT4_P12ihipStream_tbEUlT_E_NS1_11comp_targetILNS1_3genE3ELNS1_11target_archE908ELNS1_3gpuE7ELNS1_3repE0EEENS1_30default_config_static_selectorELNS0_4arch9wavefront6targetE1EEEvT1_: ; @_ZN7rocprim17ROCPRIM_400000_NS6detail17trampoline_kernelINS0_14default_configENS1_35adjacent_difference_config_selectorILb0EfEEZNS1_24adjacent_difference_implIS3_Lb0ELb0EPfS7_N6thrust23THRUST_200600_302600_NS5minusIfEEEE10hipError_tPvRmT2_T3_mT4_P12ihipStream_tbEUlT_E_NS1_11comp_targetILNS1_3genE3ELNS1_11target_archE908ELNS1_3gpuE7ELNS1_3repE0EEENS1_30default_config_static_selectorELNS0_4arch9wavefront6targetE1EEEvT1_
; %bb.0:
	.section	.rodata,"a",@progbits
	.p2align	6, 0x0
	.amdhsa_kernel _ZN7rocprim17ROCPRIM_400000_NS6detail17trampoline_kernelINS0_14default_configENS1_35adjacent_difference_config_selectorILb0EfEEZNS1_24adjacent_difference_implIS3_Lb0ELb0EPfS7_N6thrust23THRUST_200600_302600_NS5minusIfEEEE10hipError_tPvRmT2_T3_mT4_P12ihipStream_tbEUlT_E_NS1_11comp_targetILNS1_3genE3ELNS1_11target_archE908ELNS1_3gpuE7ELNS1_3repE0EEENS1_30default_config_static_selectorELNS0_4arch9wavefront6targetE1EEEvT1_
		.amdhsa_group_segment_fixed_size 0
		.amdhsa_private_segment_fixed_size 0
		.amdhsa_kernarg_size 56
		.amdhsa_user_sgpr_count 6
		.amdhsa_user_sgpr_private_segment_buffer 1
		.amdhsa_user_sgpr_dispatch_ptr 0
		.amdhsa_user_sgpr_queue_ptr 0
		.amdhsa_user_sgpr_kernarg_segment_ptr 1
		.amdhsa_user_sgpr_dispatch_id 0
		.amdhsa_user_sgpr_flat_scratch_init 0
		.amdhsa_user_sgpr_kernarg_preload_length 0
		.amdhsa_user_sgpr_kernarg_preload_offset 0
		.amdhsa_user_sgpr_private_segment_size 0
		.amdhsa_uses_dynamic_stack 0
		.amdhsa_system_sgpr_private_segment_wavefront_offset 0
		.amdhsa_system_sgpr_workgroup_id_x 1
		.amdhsa_system_sgpr_workgroup_id_y 0
		.amdhsa_system_sgpr_workgroup_id_z 0
		.amdhsa_system_sgpr_workgroup_info 0
		.amdhsa_system_vgpr_workitem_id 0
		.amdhsa_next_free_vgpr 1
		.amdhsa_next_free_sgpr 0
		.amdhsa_accum_offset 4
		.amdhsa_reserve_vcc 0
		.amdhsa_reserve_flat_scratch 0
		.amdhsa_float_round_mode_32 0
		.amdhsa_float_round_mode_16_64 0
		.amdhsa_float_denorm_mode_32 3
		.amdhsa_float_denorm_mode_16_64 3
		.amdhsa_dx10_clamp 1
		.amdhsa_ieee_mode 1
		.amdhsa_fp16_overflow 0
		.amdhsa_tg_split 0
		.amdhsa_exception_fp_ieee_invalid_op 0
		.amdhsa_exception_fp_denorm_src 0
		.amdhsa_exception_fp_ieee_div_zero 0
		.amdhsa_exception_fp_ieee_overflow 0
		.amdhsa_exception_fp_ieee_underflow 0
		.amdhsa_exception_fp_ieee_inexact 0
		.amdhsa_exception_int_div_zero 0
	.end_amdhsa_kernel
	.section	.text._ZN7rocprim17ROCPRIM_400000_NS6detail17trampoline_kernelINS0_14default_configENS1_35adjacent_difference_config_selectorILb0EfEEZNS1_24adjacent_difference_implIS3_Lb0ELb0EPfS7_N6thrust23THRUST_200600_302600_NS5minusIfEEEE10hipError_tPvRmT2_T3_mT4_P12ihipStream_tbEUlT_E_NS1_11comp_targetILNS1_3genE3ELNS1_11target_archE908ELNS1_3gpuE7ELNS1_3repE0EEENS1_30default_config_static_selectorELNS0_4arch9wavefront6targetE1EEEvT1_,"axG",@progbits,_ZN7rocprim17ROCPRIM_400000_NS6detail17trampoline_kernelINS0_14default_configENS1_35adjacent_difference_config_selectorILb0EfEEZNS1_24adjacent_difference_implIS3_Lb0ELb0EPfS7_N6thrust23THRUST_200600_302600_NS5minusIfEEEE10hipError_tPvRmT2_T3_mT4_P12ihipStream_tbEUlT_E_NS1_11comp_targetILNS1_3genE3ELNS1_11target_archE908ELNS1_3gpuE7ELNS1_3repE0EEENS1_30default_config_static_selectorELNS0_4arch9wavefront6targetE1EEEvT1_,comdat
.Lfunc_end157:
	.size	_ZN7rocprim17ROCPRIM_400000_NS6detail17trampoline_kernelINS0_14default_configENS1_35adjacent_difference_config_selectorILb0EfEEZNS1_24adjacent_difference_implIS3_Lb0ELb0EPfS7_N6thrust23THRUST_200600_302600_NS5minusIfEEEE10hipError_tPvRmT2_T3_mT4_P12ihipStream_tbEUlT_E_NS1_11comp_targetILNS1_3genE3ELNS1_11target_archE908ELNS1_3gpuE7ELNS1_3repE0EEENS1_30default_config_static_selectorELNS0_4arch9wavefront6targetE1EEEvT1_, .Lfunc_end157-_ZN7rocprim17ROCPRIM_400000_NS6detail17trampoline_kernelINS0_14default_configENS1_35adjacent_difference_config_selectorILb0EfEEZNS1_24adjacent_difference_implIS3_Lb0ELb0EPfS7_N6thrust23THRUST_200600_302600_NS5minusIfEEEE10hipError_tPvRmT2_T3_mT4_P12ihipStream_tbEUlT_E_NS1_11comp_targetILNS1_3genE3ELNS1_11target_archE908ELNS1_3gpuE7ELNS1_3repE0EEENS1_30default_config_static_selectorELNS0_4arch9wavefront6targetE1EEEvT1_
                                        ; -- End function
	.section	.AMDGPU.csdata,"",@progbits
; Kernel info:
; codeLenInByte = 0
; NumSgprs: 4
; NumVgprs: 0
; NumAgprs: 0
; TotalNumVgprs: 0
; ScratchSize: 0
; MemoryBound: 0
; FloatMode: 240
; IeeeMode: 1
; LDSByteSize: 0 bytes/workgroup (compile time only)
; SGPRBlocks: 0
; VGPRBlocks: 0
; NumSGPRsForWavesPerEU: 4
; NumVGPRsForWavesPerEU: 1
; AccumOffset: 4
; Occupancy: 8
; WaveLimiterHint : 0
; COMPUTE_PGM_RSRC2:SCRATCH_EN: 0
; COMPUTE_PGM_RSRC2:USER_SGPR: 6
; COMPUTE_PGM_RSRC2:TRAP_HANDLER: 0
; COMPUTE_PGM_RSRC2:TGID_X_EN: 1
; COMPUTE_PGM_RSRC2:TGID_Y_EN: 0
; COMPUTE_PGM_RSRC2:TGID_Z_EN: 0
; COMPUTE_PGM_RSRC2:TIDIG_COMP_CNT: 0
; COMPUTE_PGM_RSRC3_GFX90A:ACCUM_OFFSET: 0
; COMPUTE_PGM_RSRC3_GFX90A:TG_SPLIT: 0
	.section	.text._ZN7rocprim17ROCPRIM_400000_NS6detail17trampoline_kernelINS0_14default_configENS1_35adjacent_difference_config_selectorILb0EfEEZNS1_24adjacent_difference_implIS3_Lb0ELb0EPfS7_N6thrust23THRUST_200600_302600_NS5minusIfEEEE10hipError_tPvRmT2_T3_mT4_P12ihipStream_tbEUlT_E_NS1_11comp_targetILNS1_3genE2ELNS1_11target_archE906ELNS1_3gpuE6ELNS1_3repE0EEENS1_30default_config_static_selectorELNS0_4arch9wavefront6targetE1EEEvT1_,"axG",@progbits,_ZN7rocprim17ROCPRIM_400000_NS6detail17trampoline_kernelINS0_14default_configENS1_35adjacent_difference_config_selectorILb0EfEEZNS1_24adjacent_difference_implIS3_Lb0ELb0EPfS7_N6thrust23THRUST_200600_302600_NS5minusIfEEEE10hipError_tPvRmT2_T3_mT4_P12ihipStream_tbEUlT_E_NS1_11comp_targetILNS1_3genE2ELNS1_11target_archE906ELNS1_3gpuE6ELNS1_3repE0EEENS1_30default_config_static_selectorELNS0_4arch9wavefront6targetE1EEEvT1_,comdat
	.protected	_ZN7rocprim17ROCPRIM_400000_NS6detail17trampoline_kernelINS0_14default_configENS1_35adjacent_difference_config_selectorILb0EfEEZNS1_24adjacent_difference_implIS3_Lb0ELb0EPfS7_N6thrust23THRUST_200600_302600_NS5minusIfEEEE10hipError_tPvRmT2_T3_mT4_P12ihipStream_tbEUlT_E_NS1_11comp_targetILNS1_3genE2ELNS1_11target_archE906ELNS1_3gpuE6ELNS1_3repE0EEENS1_30default_config_static_selectorELNS0_4arch9wavefront6targetE1EEEvT1_ ; -- Begin function _ZN7rocprim17ROCPRIM_400000_NS6detail17trampoline_kernelINS0_14default_configENS1_35adjacent_difference_config_selectorILb0EfEEZNS1_24adjacent_difference_implIS3_Lb0ELb0EPfS7_N6thrust23THRUST_200600_302600_NS5minusIfEEEE10hipError_tPvRmT2_T3_mT4_P12ihipStream_tbEUlT_E_NS1_11comp_targetILNS1_3genE2ELNS1_11target_archE906ELNS1_3gpuE6ELNS1_3repE0EEENS1_30default_config_static_selectorELNS0_4arch9wavefront6targetE1EEEvT1_
	.globl	_ZN7rocprim17ROCPRIM_400000_NS6detail17trampoline_kernelINS0_14default_configENS1_35adjacent_difference_config_selectorILb0EfEEZNS1_24adjacent_difference_implIS3_Lb0ELb0EPfS7_N6thrust23THRUST_200600_302600_NS5minusIfEEEE10hipError_tPvRmT2_T3_mT4_P12ihipStream_tbEUlT_E_NS1_11comp_targetILNS1_3genE2ELNS1_11target_archE906ELNS1_3gpuE6ELNS1_3repE0EEENS1_30default_config_static_selectorELNS0_4arch9wavefront6targetE1EEEvT1_
	.p2align	8
	.type	_ZN7rocprim17ROCPRIM_400000_NS6detail17trampoline_kernelINS0_14default_configENS1_35adjacent_difference_config_selectorILb0EfEEZNS1_24adjacent_difference_implIS3_Lb0ELb0EPfS7_N6thrust23THRUST_200600_302600_NS5minusIfEEEE10hipError_tPvRmT2_T3_mT4_P12ihipStream_tbEUlT_E_NS1_11comp_targetILNS1_3genE2ELNS1_11target_archE906ELNS1_3gpuE6ELNS1_3repE0EEENS1_30default_config_static_selectorELNS0_4arch9wavefront6targetE1EEEvT1_,@function
_ZN7rocprim17ROCPRIM_400000_NS6detail17trampoline_kernelINS0_14default_configENS1_35adjacent_difference_config_selectorILb0EfEEZNS1_24adjacent_difference_implIS3_Lb0ELb0EPfS7_N6thrust23THRUST_200600_302600_NS5minusIfEEEE10hipError_tPvRmT2_T3_mT4_P12ihipStream_tbEUlT_E_NS1_11comp_targetILNS1_3genE2ELNS1_11target_archE906ELNS1_3gpuE6ELNS1_3repE0EEENS1_30default_config_static_selectorELNS0_4arch9wavefront6targetE1EEEvT1_: ; @_ZN7rocprim17ROCPRIM_400000_NS6detail17trampoline_kernelINS0_14default_configENS1_35adjacent_difference_config_selectorILb0EfEEZNS1_24adjacent_difference_implIS3_Lb0ELb0EPfS7_N6thrust23THRUST_200600_302600_NS5minusIfEEEE10hipError_tPvRmT2_T3_mT4_P12ihipStream_tbEUlT_E_NS1_11comp_targetILNS1_3genE2ELNS1_11target_archE906ELNS1_3gpuE6ELNS1_3repE0EEENS1_30default_config_static_selectorELNS0_4arch9wavefront6targetE1EEEvT1_
; %bb.0:
	.section	.rodata,"a",@progbits
	.p2align	6, 0x0
	.amdhsa_kernel _ZN7rocprim17ROCPRIM_400000_NS6detail17trampoline_kernelINS0_14default_configENS1_35adjacent_difference_config_selectorILb0EfEEZNS1_24adjacent_difference_implIS3_Lb0ELb0EPfS7_N6thrust23THRUST_200600_302600_NS5minusIfEEEE10hipError_tPvRmT2_T3_mT4_P12ihipStream_tbEUlT_E_NS1_11comp_targetILNS1_3genE2ELNS1_11target_archE906ELNS1_3gpuE6ELNS1_3repE0EEENS1_30default_config_static_selectorELNS0_4arch9wavefront6targetE1EEEvT1_
		.amdhsa_group_segment_fixed_size 0
		.amdhsa_private_segment_fixed_size 0
		.amdhsa_kernarg_size 56
		.amdhsa_user_sgpr_count 6
		.amdhsa_user_sgpr_private_segment_buffer 1
		.amdhsa_user_sgpr_dispatch_ptr 0
		.amdhsa_user_sgpr_queue_ptr 0
		.amdhsa_user_sgpr_kernarg_segment_ptr 1
		.amdhsa_user_sgpr_dispatch_id 0
		.amdhsa_user_sgpr_flat_scratch_init 0
		.amdhsa_user_sgpr_kernarg_preload_length 0
		.amdhsa_user_sgpr_kernarg_preload_offset 0
		.amdhsa_user_sgpr_private_segment_size 0
		.amdhsa_uses_dynamic_stack 0
		.amdhsa_system_sgpr_private_segment_wavefront_offset 0
		.amdhsa_system_sgpr_workgroup_id_x 1
		.amdhsa_system_sgpr_workgroup_id_y 0
		.amdhsa_system_sgpr_workgroup_id_z 0
		.amdhsa_system_sgpr_workgroup_info 0
		.amdhsa_system_vgpr_workitem_id 0
		.amdhsa_next_free_vgpr 1
		.amdhsa_next_free_sgpr 0
		.amdhsa_accum_offset 4
		.amdhsa_reserve_vcc 0
		.amdhsa_reserve_flat_scratch 0
		.amdhsa_float_round_mode_32 0
		.amdhsa_float_round_mode_16_64 0
		.amdhsa_float_denorm_mode_32 3
		.amdhsa_float_denorm_mode_16_64 3
		.amdhsa_dx10_clamp 1
		.amdhsa_ieee_mode 1
		.amdhsa_fp16_overflow 0
		.amdhsa_tg_split 0
		.amdhsa_exception_fp_ieee_invalid_op 0
		.amdhsa_exception_fp_denorm_src 0
		.amdhsa_exception_fp_ieee_div_zero 0
		.amdhsa_exception_fp_ieee_overflow 0
		.amdhsa_exception_fp_ieee_underflow 0
		.amdhsa_exception_fp_ieee_inexact 0
		.amdhsa_exception_int_div_zero 0
	.end_amdhsa_kernel
	.section	.text._ZN7rocprim17ROCPRIM_400000_NS6detail17trampoline_kernelINS0_14default_configENS1_35adjacent_difference_config_selectorILb0EfEEZNS1_24adjacent_difference_implIS3_Lb0ELb0EPfS7_N6thrust23THRUST_200600_302600_NS5minusIfEEEE10hipError_tPvRmT2_T3_mT4_P12ihipStream_tbEUlT_E_NS1_11comp_targetILNS1_3genE2ELNS1_11target_archE906ELNS1_3gpuE6ELNS1_3repE0EEENS1_30default_config_static_selectorELNS0_4arch9wavefront6targetE1EEEvT1_,"axG",@progbits,_ZN7rocprim17ROCPRIM_400000_NS6detail17trampoline_kernelINS0_14default_configENS1_35adjacent_difference_config_selectorILb0EfEEZNS1_24adjacent_difference_implIS3_Lb0ELb0EPfS7_N6thrust23THRUST_200600_302600_NS5minusIfEEEE10hipError_tPvRmT2_T3_mT4_P12ihipStream_tbEUlT_E_NS1_11comp_targetILNS1_3genE2ELNS1_11target_archE906ELNS1_3gpuE6ELNS1_3repE0EEENS1_30default_config_static_selectorELNS0_4arch9wavefront6targetE1EEEvT1_,comdat
.Lfunc_end158:
	.size	_ZN7rocprim17ROCPRIM_400000_NS6detail17trampoline_kernelINS0_14default_configENS1_35adjacent_difference_config_selectorILb0EfEEZNS1_24adjacent_difference_implIS3_Lb0ELb0EPfS7_N6thrust23THRUST_200600_302600_NS5minusIfEEEE10hipError_tPvRmT2_T3_mT4_P12ihipStream_tbEUlT_E_NS1_11comp_targetILNS1_3genE2ELNS1_11target_archE906ELNS1_3gpuE6ELNS1_3repE0EEENS1_30default_config_static_selectorELNS0_4arch9wavefront6targetE1EEEvT1_, .Lfunc_end158-_ZN7rocprim17ROCPRIM_400000_NS6detail17trampoline_kernelINS0_14default_configENS1_35adjacent_difference_config_selectorILb0EfEEZNS1_24adjacent_difference_implIS3_Lb0ELb0EPfS7_N6thrust23THRUST_200600_302600_NS5minusIfEEEE10hipError_tPvRmT2_T3_mT4_P12ihipStream_tbEUlT_E_NS1_11comp_targetILNS1_3genE2ELNS1_11target_archE906ELNS1_3gpuE6ELNS1_3repE0EEENS1_30default_config_static_selectorELNS0_4arch9wavefront6targetE1EEEvT1_
                                        ; -- End function
	.section	.AMDGPU.csdata,"",@progbits
; Kernel info:
; codeLenInByte = 0
; NumSgprs: 4
; NumVgprs: 0
; NumAgprs: 0
; TotalNumVgprs: 0
; ScratchSize: 0
; MemoryBound: 0
; FloatMode: 240
; IeeeMode: 1
; LDSByteSize: 0 bytes/workgroup (compile time only)
; SGPRBlocks: 0
; VGPRBlocks: 0
; NumSGPRsForWavesPerEU: 4
; NumVGPRsForWavesPerEU: 1
; AccumOffset: 4
; Occupancy: 8
; WaveLimiterHint : 0
; COMPUTE_PGM_RSRC2:SCRATCH_EN: 0
; COMPUTE_PGM_RSRC2:USER_SGPR: 6
; COMPUTE_PGM_RSRC2:TRAP_HANDLER: 0
; COMPUTE_PGM_RSRC2:TGID_X_EN: 1
; COMPUTE_PGM_RSRC2:TGID_Y_EN: 0
; COMPUTE_PGM_RSRC2:TGID_Z_EN: 0
; COMPUTE_PGM_RSRC2:TIDIG_COMP_CNT: 0
; COMPUTE_PGM_RSRC3_GFX90A:ACCUM_OFFSET: 0
; COMPUTE_PGM_RSRC3_GFX90A:TG_SPLIT: 0
	.section	.text._ZN7rocprim17ROCPRIM_400000_NS6detail17trampoline_kernelINS0_14default_configENS1_35adjacent_difference_config_selectorILb0EfEEZNS1_24adjacent_difference_implIS3_Lb0ELb0EPfS7_N6thrust23THRUST_200600_302600_NS5minusIfEEEE10hipError_tPvRmT2_T3_mT4_P12ihipStream_tbEUlT_E_NS1_11comp_targetILNS1_3genE9ELNS1_11target_archE1100ELNS1_3gpuE3ELNS1_3repE0EEENS1_30default_config_static_selectorELNS0_4arch9wavefront6targetE1EEEvT1_,"axG",@progbits,_ZN7rocprim17ROCPRIM_400000_NS6detail17trampoline_kernelINS0_14default_configENS1_35adjacent_difference_config_selectorILb0EfEEZNS1_24adjacent_difference_implIS3_Lb0ELb0EPfS7_N6thrust23THRUST_200600_302600_NS5minusIfEEEE10hipError_tPvRmT2_T3_mT4_P12ihipStream_tbEUlT_E_NS1_11comp_targetILNS1_3genE9ELNS1_11target_archE1100ELNS1_3gpuE3ELNS1_3repE0EEENS1_30default_config_static_selectorELNS0_4arch9wavefront6targetE1EEEvT1_,comdat
	.protected	_ZN7rocprim17ROCPRIM_400000_NS6detail17trampoline_kernelINS0_14default_configENS1_35adjacent_difference_config_selectorILb0EfEEZNS1_24adjacent_difference_implIS3_Lb0ELb0EPfS7_N6thrust23THRUST_200600_302600_NS5minusIfEEEE10hipError_tPvRmT2_T3_mT4_P12ihipStream_tbEUlT_E_NS1_11comp_targetILNS1_3genE9ELNS1_11target_archE1100ELNS1_3gpuE3ELNS1_3repE0EEENS1_30default_config_static_selectorELNS0_4arch9wavefront6targetE1EEEvT1_ ; -- Begin function _ZN7rocprim17ROCPRIM_400000_NS6detail17trampoline_kernelINS0_14default_configENS1_35adjacent_difference_config_selectorILb0EfEEZNS1_24adjacent_difference_implIS3_Lb0ELb0EPfS7_N6thrust23THRUST_200600_302600_NS5minusIfEEEE10hipError_tPvRmT2_T3_mT4_P12ihipStream_tbEUlT_E_NS1_11comp_targetILNS1_3genE9ELNS1_11target_archE1100ELNS1_3gpuE3ELNS1_3repE0EEENS1_30default_config_static_selectorELNS0_4arch9wavefront6targetE1EEEvT1_
	.globl	_ZN7rocprim17ROCPRIM_400000_NS6detail17trampoline_kernelINS0_14default_configENS1_35adjacent_difference_config_selectorILb0EfEEZNS1_24adjacent_difference_implIS3_Lb0ELb0EPfS7_N6thrust23THRUST_200600_302600_NS5minusIfEEEE10hipError_tPvRmT2_T3_mT4_P12ihipStream_tbEUlT_E_NS1_11comp_targetILNS1_3genE9ELNS1_11target_archE1100ELNS1_3gpuE3ELNS1_3repE0EEENS1_30default_config_static_selectorELNS0_4arch9wavefront6targetE1EEEvT1_
	.p2align	8
	.type	_ZN7rocprim17ROCPRIM_400000_NS6detail17trampoline_kernelINS0_14default_configENS1_35adjacent_difference_config_selectorILb0EfEEZNS1_24adjacent_difference_implIS3_Lb0ELb0EPfS7_N6thrust23THRUST_200600_302600_NS5minusIfEEEE10hipError_tPvRmT2_T3_mT4_P12ihipStream_tbEUlT_E_NS1_11comp_targetILNS1_3genE9ELNS1_11target_archE1100ELNS1_3gpuE3ELNS1_3repE0EEENS1_30default_config_static_selectorELNS0_4arch9wavefront6targetE1EEEvT1_,@function
_ZN7rocprim17ROCPRIM_400000_NS6detail17trampoline_kernelINS0_14default_configENS1_35adjacent_difference_config_selectorILb0EfEEZNS1_24adjacent_difference_implIS3_Lb0ELb0EPfS7_N6thrust23THRUST_200600_302600_NS5minusIfEEEE10hipError_tPvRmT2_T3_mT4_P12ihipStream_tbEUlT_E_NS1_11comp_targetILNS1_3genE9ELNS1_11target_archE1100ELNS1_3gpuE3ELNS1_3repE0EEENS1_30default_config_static_selectorELNS0_4arch9wavefront6targetE1EEEvT1_: ; @_ZN7rocprim17ROCPRIM_400000_NS6detail17trampoline_kernelINS0_14default_configENS1_35adjacent_difference_config_selectorILb0EfEEZNS1_24adjacent_difference_implIS3_Lb0ELb0EPfS7_N6thrust23THRUST_200600_302600_NS5minusIfEEEE10hipError_tPvRmT2_T3_mT4_P12ihipStream_tbEUlT_E_NS1_11comp_targetILNS1_3genE9ELNS1_11target_archE1100ELNS1_3gpuE3ELNS1_3repE0EEENS1_30default_config_static_selectorELNS0_4arch9wavefront6targetE1EEEvT1_
; %bb.0:
	.section	.rodata,"a",@progbits
	.p2align	6, 0x0
	.amdhsa_kernel _ZN7rocprim17ROCPRIM_400000_NS6detail17trampoline_kernelINS0_14default_configENS1_35adjacent_difference_config_selectorILb0EfEEZNS1_24adjacent_difference_implIS3_Lb0ELb0EPfS7_N6thrust23THRUST_200600_302600_NS5minusIfEEEE10hipError_tPvRmT2_T3_mT4_P12ihipStream_tbEUlT_E_NS1_11comp_targetILNS1_3genE9ELNS1_11target_archE1100ELNS1_3gpuE3ELNS1_3repE0EEENS1_30default_config_static_selectorELNS0_4arch9wavefront6targetE1EEEvT1_
		.amdhsa_group_segment_fixed_size 0
		.amdhsa_private_segment_fixed_size 0
		.amdhsa_kernarg_size 56
		.amdhsa_user_sgpr_count 6
		.amdhsa_user_sgpr_private_segment_buffer 1
		.amdhsa_user_sgpr_dispatch_ptr 0
		.amdhsa_user_sgpr_queue_ptr 0
		.amdhsa_user_sgpr_kernarg_segment_ptr 1
		.amdhsa_user_sgpr_dispatch_id 0
		.amdhsa_user_sgpr_flat_scratch_init 0
		.amdhsa_user_sgpr_kernarg_preload_length 0
		.amdhsa_user_sgpr_kernarg_preload_offset 0
		.amdhsa_user_sgpr_private_segment_size 0
		.amdhsa_uses_dynamic_stack 0
		.amdhsa_system_sgpr_private_segment_wavefront_offset 0
		.amdhsa_system_sgpr_workgroup_id_x 1
		.amdhsa_system_sgpr_workgroup_id_y 0
		.amdhsa_system_sgpr_workgroup_id_z 0
		.amdhsa_system_sgpr_workgroup_info 0
		.amdhsa_system_vgpr_workitem_id 0
		.amdhsa_next_free_vgpr 1
		.amdhsa_next_free_sgpr 0
		.amdhsa_accum_offset 4
		.amdhsa_reserve_vcc 0
		.amdhsa_reserve_flat_scratch 0
		.amdhsa_float_round_mode_32 0
		.amdhsa_float_round_mode_16_64 0
		.amdhsa_float_denorm_mode_32 3
		.amdhsa_float_denorm_mode_16_64 3
		.amdhsa_dx10_clamp 1
		.amdhsa_ieee_mode 1
		.amdhsa_fp16_overflow 0
		.amdhsa_tg_split 0
		.amdhsa_exception_fp_ieee_invalid_op 0
		.amdhsa_exception_fp_denorm_src 0
		.amdhsa_exception_fp_ieee_div_zero 0
		.amdhsa_exception_fp_ieee_overflow 0
		.amdhsa_exception_fp_ieee_underflow 0
		.amdhsa_exception_fp_ieee_inexact 0
		.amdhsa_exception_int_div_zero 0
	.end_amdhsa_kernel
	.section	.text._ZN7rocprim17ROCPRIM_400000_NS6detail17trampoline_kernelINS0_14default_configENS1_35adjacent_difference_config_selectorILb0EfEEZNS1_24adjacent_difference_implIS3_Lb0ELb0EPfS7_N6thrust23THRUST_200600_302600_NS5minusIfEEEE10hipError_tPvRmT2_T3_mT4_P12ihipStream_tbEUlT_E_NS1_11comp_targetILNS1_3genE9ELNS1_11target_archE1100ELNS1_3gpuE3ELNS1_3repE0EEENS1_30default_config_static_selectorELNS0_4arch9wavefront6targetE1EEEvT1_,"axG",@progbits,_ZN7rocprim17ROCPRIM_400000_NS6detail17trampoline_kernelINS0_14default_configENS1_35adjacent_difference_config_selectorILb0EfEEZNS1_24adjacent_difference_implIS3_Lb0ELb0EPfS7_N6thrust23THRUST_200600_302600_NS5minusIfEEEE10hipError_tPvRmT2_T3_mT4_P12ihipStream_tbEUlT_E_NS1_11comp_targetILNS1_3genE9ELNS1_11target_archE1100ELNS1_3gpuE3ELNS1_3repE0EEENS1_30default_config_static_selectorELNS0_4arch9wavefront6targetE1EEEvT1_,comdat
.Lfunc_end159:
	.size	_ZN7rocprim17ROCPRIM_400000_NS6detail17trampoline_kernelINS0_14default_configENS1_35adjacent_difference_config_selectorILb0EfEEZNS1_24adjacent_difference_implIS3_Lb0ELb0EPfS7_N6thrust23THRUST_200600_302600_NS5minusIfEEEE10hipError_tPvRmT2_T3_mT4_P12ihipStream_tbEUlT_E_NS1_11comp_targetILNS1_3genE9ELNS1_11target_archE1100ELNS1_3gpuE3ELNS1_3repE0EEENS1_30default_config_static_selectorELNS0_4arch9wavefront6targetE1EEEvT1_, .Lfunc_end159-_ZN7rocprim17ROCPRIM_400000_NS6detail17trampoline_kernelINS0_14default_configENS1_35adjacent_difference_config_selectorILb0EfEEZNS1_24adjacent_difference_implIS3_Lb0ELb0EPfS7_N6thrust23THRUST_200600_302600_NS5minusIfEEEE10hipError_tPvRmT2_T3_mT4_P12ihipStream_tbEUlT_E_NS1_11comp_targetILNS1_3genE9ELNS1_11target_archE1100ELNS1_3gpuE3ELNS1_3repE0EEENS1_30default_config_static_selectorELNS0_4arch9wavefront6targetE1EEEvT1_
                                        ; -- End function
	.section	.AMDGPU.csdata,"",@progbits
; Kernel info:
; codeLenInByte = 0
; NumSgprs: 4
; NumVgprs: 0
; NumAgprs: 0
; TotalNumVgprs: 0
; ScratchSize: 0
; MemoryBound: 0
; FloatMode: 240
; IeeeMode: 1
; LDSByteSize: 0 bytes/workgroup (compile time only)
; SGPRBlocks: 0
; VGPRBlocks: 0
; NumSGPRsForWavesPerEU: 4
; NumVGPRsForWavesPerEU: 1
; AccumOffset: 4
; Occupancy: 8
; WaveLimiterHint : 0
; COMPUTE_PGM_RSRC2:SCRATCH_EN: 0
; COMPUTE_PGM_RSRC2:USER_SGPR: 6
; COMPUTE_PGM_RSRC2:TRAP_HANDLER: 0
; COMPUTE_PGM_RSRC2:TGID_X_EN: 1
; COMPUTE_PGM_RSRC2:TGID_Y_EN: 0
; COMPUTE_PGM_RSRC2:TGID_Z_EN: 0
; COMPUTE_PGM_RSRC2:TIDIG_COMP_CNT: 0
; COMPUTE_PGM_RSRC3_GFX90A:ACCUM_OFFSET: 0
; COMPUTE_PGM_RSRC3_GFX90A:TG_SPLIT: 0
	.section	.text._ZN7rocprim17ROCPRIM_400000_NS6detail17trampoline_kernelINS0_14default_configENS1_35adjacent_difference_config_selectorILb0EfEEZNS1_24adjacent_difference_implIS3_Lb0ELb0EPfS7_N6thrust23THRUST_200600_302600_NS5minusIfEEEE10hipError_tPvRmT2_T3_mT4_P12ihipStream_tbEUlT_E_NS1_11comp_targetILNS1_3genE8ELNS1_11target_archE1030ELNS1_3gpuE2ELNS1_3repE0EEENS1_30default_config_static_selectorELNS0_4arch9wavefront6targetE1EEEvT1_,"axG",@progbits,_ZN7rocprim17ROCPRIM_400000_NS6detail17trampoline_kernelINS0_14default_configENS1_35adjacent_difference_config_selectorILb0EfEEZNS1_24adjacent_difference_implIS3_Lb0ELb0EPfS7_N6thrust23THRUST_200600_302600_NS5minusIfEEEE10hipError_tPvRmT2_T3_mT4_P12ihipStream_tbEUlT_E_NS1_11comp_targetILNS1_3genE8ELNS1_11target_archE1030ELNS1_3gpuE2ELNS1_3repE0EEENS1_30default_config_static_selectorELNS0_4arch9wavefront6targetE1EEEvT1_,comdat
	.protected	_ZN7rocprim17ROCPRIM_400000_NS6detail17trampoline_kernelINS0_14default_configENS1_35adjacent_difference_config_selectorILb0EfEEZNS1_24adjacent_difference_implIS3_Lb0ELb0EPfS7_N6thrust23THRUST_200600_302600_NS5minusIfEEEE10hipError_tPvRmT2_T3_mT4_P12ihipStream_tbEUlT_E_NS1_11comp_targetILNS1_3genE8ELNS1_11target_archE1030ELNS1_3gpuE2ELNS1_3repE0EEENS1_30default_config_static_selectorELNS0_4arch9wavefront6targetE1EEEvT1_ ; -- Begin function _ZN7rocprim17ROCPRIM_400000_NS6detail17trampoline_kernelINS0_14default_configENS1_35adjacent_difference_config_selectorILb0EfEEZNS1_24adjacent_difference_implIS3_Lb0ELb0EPfS7_N6thrust23THRUST_200600_302600_NS5minusIfEEEE10hipError_tPvRmT2_T3_mT4_P12ihipStream_tbEUlT_E_NS1_11comp_targetILNS1_3genE8ELNS1_11target_archE1030ELNS1_3gpuE2ELNS1_3repE0EEENS1_30default_config_static_selectorELNS0_4arch9wavefront6targetE1EEEvT1_
	.globl	_ZN7rocprim17ROCPRIM_400000_NS6detail17trampoline_kernelINS0_14default_configENS1_35adjacent_difference_config_selectorILb0EfEEZNS1_24adjacent_difference_implIS3_Lb0ELb0EPfS7_N6thrust23THRUST_200600_302600_NS5minusIfEEEE10hipError_tPvRmT2_T3_mT4_P12ihipStream_tbEUlT_E_NS1_11comp_targetILNS1_3genE8ELNS1_11target_archE1030ELNS1_3gpuE2ELNS1_3repE0EEENS1_30default_config_static_selectorELNS0_4arch9wavefront6targetE1EEEvT1_
	.p2align	8
	.type	_ZN7rocprim17ROCPRIM_400000_NS6detail17trampoline_kernelINS0_14default_configENS1_35adjacent_difference_config_selectorILb0EfEEZNS1_24adjacent_difference_implIS3_Lb0ELb0EPfS7_N6thrust23THRUST_200600_302600_NS5minusIfEEEE10hipError_tPvRmT2_T3_mT4_P12ihipStream_tbEUlT_E_NS1_11comp_targetILNS1_3genE8ELNS1_11target_archE1030ELNS1_3gpuE2ELNS1_3repE0EEENS1_30default_config_static_selectorELNS0_4arch9wavefront6targetE1EEEvT1_,@function
_ZN7rocprim17ROCPRIM_400000_NS6detail17trampoline_kernelINS0_14default_configENS1_35adjacent_difference_config_selectorILb0EfEEZNS1_24adjacent_difference_implIS3_Lb0ELb0EPfS7_N6thrust23THRUST_200600_302600_NS5minusIfEEEE10hipError_tPvRmT2_T3_mT4_P12ihipStream_tbEUlT_E_NS1_11comp_targetILNS1_3genE8ELNS1_11target_archE1030ELNS1_3gpuE2ELNS1_3repE0EEENS1_30default_config_static_selectorELNS0_4arch9wavefront6targetE1EEEvT1_: ; @_ZN7rocprim17ROCPRIM_400000_NS6detail17trampoline_kernelINS0_14default_configENS1_35adjacent_difference_config_selectorILb0EfEEZNS1_24adjacent_difference_implIS3_Lb0ELb0EPfS7_N6thrust23THRUST_200600_302600_NS5minusIfEEEE10hipError_tPvRmT2_T3_mT4_P12ihipStream_tbEUlT_E_NS1_11comp_targetILNS1_3genE8ELNS1_11target_archE1030ELNS1_3gpuE2ELNS1_3repE0EEENS1_30default_config_static_selectorELNS0_4arch9wavefront6targetE1EEEvT1_
; %bb.0:
	.section	.rodata,"a",@progbits
	.p2align	6, 0x0
	.amdhsa_kernel _ZN7rocprim17ROCPRIM_400000_NS6detail17trampoline_kernelINS0_14default_configENS1_35adjacent_difference_config_selectorILb0EfEEZNS1_24adjacent_difference_implIS3_Lb0ELb0EPfS7_N6thrust23THRUST_200600_302600_NS5minusIfEEEE10hipError_tPvRmT2_T3_mT4_P12ihipStream_tbEUlT_E_NS1_11comp_targetILNS1_3genE8ELNS1_11target_archE1030ELNS1_3gpuE2ELNS1_3repE0EEENS1_30default_config_static_selectorELNS0_4arch9wavefront6targetE1EEEvT1_
		.amdhsa_group_segment_fixed_size 0
		.amdhsa_private_segment_fixed_size 0
		.amdhsa_kernarg_size 56
		.amdhsa_user_sgpr_count 6
		.amdhsa_user_sgpr_private_segment_buffer 1
		.amdhsa_user_sgpr_dispatch_ptr 0
		.amdhsa_user_sgpr_queue_ptr 0
		.amdhsa_user_sgpr_kernarg_segment_ptr 1
		.amdhsa_user_sgpr_dispatch_id 0
		.amdhsa_user_sgpr_flat_scratch_init 0
		.amdhsa_user_sgpr_kernarg_preload_length 0
		.amdhsa_user_sgpr_kernarg_preload_offset 0
		.amdhsa_user_sgpr_private_segment_size 0
		.amdhsa_uses_dynamic_stack 0
		.amdhsa_system_sgpr_private_segment_wavefront_offset 0
		.amdhsa_system_sgpr_workgroup_id_x 1
		.amdhsa_system_sgpr_workgroup_id_y 0
		.amdhsa_system_sgpr_workgroup_id_z 0
		.amdhsa_system_sgpr_workgroup_info 0
		.amdhsa_system_vgpr_workitem_id 0
		.amdhsa_next_free_vgpr 1
		.amdhsa_next_free_sgpr 0
		.amdhsa_accum_offset 4
		.amdhsa_reserve_vcc 0
		.amdhsa_reserve_flat_scratch 0
		.amdhsa_float_round_mode_32 0
		.amdhsa_float_round_mode_16_64 0
		.amdhsa_float_denorm_mode_32 3
		.amdhsa_float_denorm_mode_16_64 3
		.amdhsa_dx10_clamp 1
		.amdhsa_ieee_mode 1
		.amdhsa_fp16_overflow 0
		.amdhsa_tg_split 0
		.amdhsa_exception_fp_ieee_invalid_op 0
		.amdhsa_exception_fp_denorm_src 0
		.amdhsa_exception_fp_ieee_div_zero 0
		.amdhsa_exception_fp_ieee_overflow 0
		.amdhsa_exception_fp_ieee_underflow 0
		.amdhsa_exception_fp_ieee_inexact 0
		.amdhsa_exception_int_div_zero 0
	.end_amdhsa_kernel
	.section	.text._ZN7rocprim17ROCPRIM_400000_NS6detail17trampoline_kernelINS0_14default_configENS1_35adjacent_difference_config_selectorILb0EfEEZNS1_24adjacent_difference_implIS3_Lb0ELb0EPfS7_N6thrust23THRUST_200600_302600_NS5minusIfEEEE10hipError_tPvRmT2_T3_mT4_P12ihipStream_tbEUlT_E_NS1_11comp_targetILNS1_3genE8ELNS1_11target_archE1030ELNS1_3gpuE2ELNS1_3repE0EEENS1_30default_config_static_selectorELNS0_4arch9wavefront6targetE1EEEvT1_,"axG",@progbits,_ZN7rocprim17ROCPRIM_400000_NS6detail17trampoline_kernelINS0_14default_configENS1_35adjacent_difference_config_selectorILb0EfEEZNS1_24adjacent_difference_implIS3_Lb0ELb0EPfS7_N6thrust23THRUST_200600_302600_NS5minusIfEEEE10hipError_tPvRmT2_T3_mT4_P12ihipStream_tbEUlT_E_NS1_11comp_targetILNS1_3genE8ELNS1_11target_archE1030ELNS1_3gpuE2ELNS1_3repE0EEENS1_30default_config_static_selectorELNS0_4arch9wavefront6targetE1EEEvT1_,comdat
.Lfunc_end160:
	.size	_ZN7rocprim17ROCPRIM_400000_NS6detail17trampoline_kernelINS0_14default_configENS1_35adjacent_difference_config_selectorILb0EfEEZNS1_24adjacent_difference_implIS3_Lb0ELb0EPfS7_N6thrust23THRUST_200600_302600_NS5minusIfEEEE10hipError_tPvRmT2_T3_mT4_P12ihipStream_tbEUlT_E_NS1_11comp_targetILNS1_3genE8ELNS1_11target_archE1030ELNS1_3gpuE2ELNS1_3repE0EEENS1_30default_config_static_selectorELNS0_4arch9wavefront6targetE1EEEvT1_, .Lfunc_end160-_ZN7rocprim17ROCPRIM_400000_NS6detail17trampoline_kernelINS0_14default_configENS1_35adjacent_difference_config_selectorILb0EfEEZNS1_24adjacent_difference_implIS3_Lb0ELb0EPfS7_N6thrust23THRUST_200600_302600_NS5minusIfEEEE10hipError_tPvRmT2_T3_mT4_P12ihipStream_tbEUlT_E_NS1_11comp_targetILNS1_3genE8ELNS1_11target_archE1030ELNS1_3gpuE2ELNS1_3repE0EEENS1_30default_config_static_selectorELNS0_4arch9wavefront6targetE1EEEvT1_
                                        ; -- End function
	.section	.AMDGPU.csdata,"",@progbits
; Kernel info:
; codeLenInByte = 0
; NumSgprs: 4
; NumVgprs: 0
; NumAgprs: 0
; TotalNumVgprs: 0
; ScratchSize: 0
; MemoryBound: 0
; FloatMode: 240
; IeeeMode: 1
; LDSByteSize: 0 bytes/workgroup (compile time only)
; SGPRBlocks: 0
; VGPRBlocks: 0
; NumSGPRsForWavesPerEU: 4
; NumVGPRsForWavesPerEU: 1
; AccumOffset: 4
; Occupancy: 8
; WaveLimiterHint : 0
; COMPUTE_PGM_RSRC2:SCRATCH_EN: 0
; COMPUTE_PGM_RSRC2:USER_SGPR: 6
; COMPUTE_PGM_RSRC2:TRAP_HANDLER: 0
; COMPUTE_PGM_RSRC2:TGID_X_EN: 1
; COMPUTE_PGM_RSRC2:TGID_Y_EN: 0
; COMPUTE_PGM_RSRC2:TGID_Z_EN: 0
; COMPUTE_PGM_RSRC2:TIDIG_COMP_CNT: 0
; COMPUTE_PGM_RSRC3_GFX90A:ACCUM_OFFSET: 0
; COMPUTE_PGM_RSRC3_GFX90A:TG_SPLIT: 0
	.section	.text._ZN7rocprim17ROCPRIM_400000_NS6detail17trampoline_kernelINS0_14default_configENS1_25transform_config_selectorIfLb0EEEZNS1_14transform_implILb0ES3_S5_NS0_18transform_iteratorINS0_17counting_iteratorImlEEZNS1_24adjacent_difference_implIS3_Lb1ELb0EPfSB_N6thrust23THRUST_200600_302600_NS5minusIfEEEE10hipError_tPvRmT2_T3_mT4_P12ihipStream_tbEUlmE_fEESB_NS0_8identityIvEEEESG_SJ_SK_mSL_SN_bEUlT_E_NS1_11comp_targetILNS1_3genE0ELNS1_11target_archE4294967295ELNS1_3gpuE0ELNS1_3repE0EEENS1_30default_config_static_selectorELNS0_4arch9wavefront6targetE1EEEvT1_,"axG",@progbits,_ZN7rocprim17ROCPRIM_400000_NS6detail17trampoline_kernelINS0_14default_configENS1_25transform_config_selectorIfLb0EEEZNS1_14transform_implILb0ES3_S5_NS0_18transform_iteratorINS0_17counting_iteratorImlEEZNS1_24adjacent_difference_implIS3_Lb1ELb0EPfSB_N6thrust23THRUST_200600_302600_NS5minusIfEEEE10hipError_tPvRmT2_T3_mT4_P12ihipStream_tbEUlmE_fEESB_NS0_8identityIvEEEESG_SJ_SK_mSL_SN_bEUlT_E_NS1_11comp_targetILNS1_3genE0ELNS1_11target_archE4294967295ELNS1_3gpuE0ELNS1_3repE0EEENS1_30default_config_static_selectorELNS0_4arch9wavefront6targetE1EEEvT1_,comdat
	.protected	_ZN7rocprim17ROCPRIM_400000_NS6detail17trampoline_kernelINS0_14default_configENS1_25transform_config_selectorIfLb0EEEZNS1_14transform_implILb0ES3_S5_NS0_18transform_iteratorINS0_17counting_iteratorImlEEZNS1_24adjacent_difference_implIS3_Lb1ELb0EPfSB_N6thrust23THRUST_200600_302600_NS5minusIfEEEE10hipError_tPvRmT2_T3_mT4_P12ihipStream_tbEUlmE_fEESB_NS0_8identityIvEEEESG_SJ_SK_mSL_SN_bEUlT_E_NS1_11comp_targetILNS1_3genE0ELNS1_11target_archE4294967295ELNS1_3gpuE0ELNS1_3repE0EEENS1_30default_config_static_selectorELNS0_4arch9wavefront6targetE1EEEvT1_ ; -- Begin function _ZN7rocprim17ROCPRIM_400000_NS6detail17trampoline_kernelINS0_14default_configENS1_25transform_config_selectorIfLb0EEEZNS1_14transform_implILb0ES3_S5_NS0_18transform_iteratorINS0_17counting_iteratorImlEEZNS1_24adjacent_difference_implIS3_Lb1ELb0EPfSB_N6thrust23THRUST_200600_302600_NS5minusIfEEEE10hipError_tPvRmT2_T3_mT4_P12ihipStream_tbEUlmE_fEESB_NS0_8identityIvEEEESG_SJ_SK_mSL_SN_bEUlT_E_NS1_11comp_targetILNS1_3genE0ELNS1_11target_archE4294967295ELNS1_3gpuE0ELNS1_3repE0EEENS1_30default_config_static_selectorELNS0_4arch9wavefront6targetE1EEEvT1_
	.globl	_ZN7rocprim17ROCPRIM_400000_NS6detail17trampoline_kernelINS0_14default_configENS1_25transform_config_selectorIfLb0EEEZNS1_14transform_implILb0ES3_S5_NS0_18transform_iteratorINS0_17counting_iteratorImlEEZNS1_24adjacent_difference_implIS3_Lb1ELb0EPfSB_N6thrust23THRUST_200600_302600_NS5minusIfEEEE10hipError_tPvRmT2_T3_mT4_P12ihipStream_tbEUlmE_fEESB_NS0_8identityIvEEEESG_SJ_SK_mSL_SN_bEUlT_E_NS1_11comp_targetILNS1_3genE0ELNS1_11target_archE4294967295ELNS1_3gpuE0ELNS1_3repE0EEENS1_30default_config_static_selectorELNS0_4arch9wavefront6targetE1EEEvT1_
	.p2align	8
	.type	_ZN7rocprim17ROCPRIM_400000_NS6detail17trampoline_kernelINS0_14default_configENS1_25transform_config_selectorIfLb0EEEZNS1_14transform_implILb0ES3_S5_NS0_18transform_iteratorINS0_17counting_iteratorImlEEZNS1_24adjacent_difference_implIS3_Lb1ELb0EPfSB_N6thrust23THRUST_200600_302600_NS5minusIfEEEE10hipError_tPvRmT2_T3_mT4_P12ihipStream_tbEUlmE_fEESB_NS0_8identityIvEEEESG_SJ_SK_mSL_SN_bEUlT_E_NS1_11comp_targetILNS1_3genE0ELNS1_11target_archE4294967295ELNS1_3gpuE0ELNS1_3repE0EEENS1_30default_config_static_selectorELNS0_4arch9wavefront6targetE1EEEvT1_,@function
_ZN7rocprim17ROCPRIM_400000_NS6detail17trampoline_kernelINS0_14default_configENS1_25transform_config_selectorIfLb0EEEZNS1_14transform_implILb0ES3_S5_NS0_18transform_iteratorINS0_17counting_iteratorImlEEZNS1_24adjacent_difference_implIS3_Lb1ELb0EPfSB_N6thrust23THRUST_200600_302600_NS5minusIfEEEE10hipError_tPvRmT2_T3_mT4_P12ihipStream_tbEUlmE_fEESB_NS0_8identityIvEEEESG_SJ_SK_mSL_SN_bEUlT_E_NS1_11comp_targetILNS1_3genE0ELNS1_11target_archE4294967295ELNS1_3gpuE0ELNS1_3repE0EEENS1_30default_config_static_selectorELNS0_4arch9wavefront6targetE1EEEvT1_: ; @_ZN7rocprim17ROCPRIM_400000_NS6detail17trampoline_kernelINS0_14default_configENS1_25transform_config_selectorIfLb0EEEZNS1_14transform_implILb0ES3_S5_NS0_18transform_iteratorINS0_17counting_iteratorImlEEZNS1_24adjacent_difference_implIS3_Lb1ELb0EPfSB_N6thrust23THRUST_200600_302600_NS5minusIfEEEE10hipError_tPvRmT2_T3_mT4_P12ihipStream_tbEUlmE_fEESB_NS0_8identityIvEEEESG_SJ_SK_mSL_SN_bEUlT_E_NS1_11comp_targetILNS1_3genE0ELNS1_11target_archE4294967295ELNS1_3gpuE0ELNS1_3repE0EEENS1_30default_config_static_selectorELNS0_4arch9wavefront6targetE1EEEvT1_
; %bb.0:
	.section	.rodata,"a",@progbits
	.p2align	6, 0x0
	.amdhsa_kernel _ZN7rocprim17ROCPRIM_400000_NS6detail17trampoline_kernelINS0_14default_configENS1_25transform_config_selectorIfLb0EEEZNS1_14transform_implILb0ES3_S5_NS0_18transform_iteratorINS0_17counting_iteratorImlEEZNS1_24adjacent_difference_implIS3_Lb1ELb0EPfSB_N6thrust23THRUST_200600_302600_NS5minusIfEEEE10hipError_tPvRmT2_T3_mT4_P12ihipStream_tbEUlmE_fEESB_NS0_8identityIvEEEESG_SJ_SK_mSL_SN_bEUlT_E_NS1_11comp_targetILNS1_3genE0ELNS1_11target_archE4294967295ELNS1_3gpuE0ELNS1_3repE0EEENS1_30default_config_static_selectorELNS0_4arch9wavefront6targetE1EEEvT1_
		.amdhsa_group_segment_fixed_size 0
		.amdhsa_private_segment_fixed_size 0
		.amdhsa_kernarg_size 56
		.amdhsa_user_sgpr_count 6
		.amdhsa_user_sgpr_private_segment_buffer 1
		.amdhsa_user_sgpr_dispatch_ptr 0
		.amdhsa_user_sgpr_queue_ptr 0
		.amdhsa_user_sgpr_kernarg_segment_ptr 1
		.amdhsa_user_sgpr_dispatch_id 0
		.amdhsa_user_sgpr_flat_scratch_init 0
		.amdhsa_user_sgpr_kernarg_preload_length 0
		.amdhsa_user_sgpr_kernarg_preload_offset 0
		.amdhsa_user_sgpr_private_segment_size 0
		.amdhsa_uses_dynamic_stack 0
		.amdhsa_system_sgpr_private_segment_wavefront_offset 0
		.amdhsa_system_sgpr_workgroup_id_x 1
		.amdhsa_system_sgpr_workgroup_id_y 0
		.amdhsa_system_sgpr_workgroup_id_z 0
		.amdhsa_system_sgpr_workgroup_info 0
		.amdhsa_system_vgpr_workitem_id 0
		.amdhsa_next_free_vgpr 1
		.amdhsa_next_free_sgpr 0
		.amdhsa_accum_offset 4
		.amdhsa_reserve_vcc 0
		.amdhsa_reserve_flat_scratch 0
		.amdhsa_float_round_mode_32 0
		.amdhsa_float_round_mode_16_64 0
		.amdhsa_float_denorm_mode_32 3
		.amdhsa_float_denorm_mode_16_64 3
		.amdhsa_dx10_clamp 1
		.amdhsa_ieee_mode 1
		.amdhsa_fp16_overflow 0
		.amdhsa_tg_split 0
		.amdhsa_exception_fp_ieee_invalid_op 0
		.amdhsa_exception_fp_denorm_src 0
		.amdhsa_exception_fp_ieee_div_zero 0
		.amdhsa_exception_fp_ieee_overflow 0
		.amdhsa_exception_fp_ieee_underflow 0
		.amdhsa_exception_fp_ieee_inexact 0
		.amdhsa_exception_int_div_zero 0
	.end_amdhsa_kernel
	.section	.text._ZN7rocprim17ROCPRIM_400000_NS6detail17trampoline_kernelINS0_14default_configENS1_25transform_config_selectorIfLb0EEEZNS1_14transform_implILb0ES3_S5_NS0_18transform_iteratorINS0_17counting_iteratorImlEEZNS1_24adjacent_difference_implIS3_Lb1ELb0EPfSB_N6thrust23THRUST_200600_302600_NS5minusIfEEEE10hipError_tPvRmT2_T3_mT4_P12ihipStream_tbEUlmE_fEESB_NS0_8identityIvEEEESG_SJ_SK_mSL_SN_bEUlT_E_NS1_11comp_targetILNS1_3genE0ELNS1_11target_archE4294967295ELNS1_3gpuE0ELNS1_3repE0EEENS1_30default_config_static_selectorELNS0_4arch9wavefront6targetE1EEEvT1_,"axG",@progbits,_ZN7rocprim17ROCPRIM_400000_NS6detail17trampoline_kernelINS0_14default_configENS1_25transform_config_selectorIfLb0EEEZNS1_14transform_implILb0ES3_S5_NS0_18transform_iteratorINS0_17counting_iteratorImlEEZNS1_24adjacent_difference_implIS3_Lb1ELb0EPfSB_N6thrust23THRUST_200600_302600_NS5minusIfEEEE10hipError_tPvRmT2_T3_mT4_P12ihipStream_tbEUlmE_fEESB_NS0_8identityIvEEEESG_SJ_SK_mSL_SN_bEUlT_E_NS1_11comp_targetILNS1_3genE0ELNS1_11target_archE4294967295ELNS1_3gpuE0ELNS1_3repE0EEENS1_30default_config_static_selectorELNS0_4arch9wavefront6targetE1EEEvT1_,comdat
.Lfunc_end161:
	.size	_ZN7rocprim17ROCPRIM_400000_NS6detail17trampoline_kernelINS0_14default_configENS1_25transform_config_selectorIfLb0EEEZNS1_14transform_implILb0ES3_S5_NS0_18transform_iteratorINS0_17counting_iteratorImlEEZNS1_24adjacent_difference_implIS3_Lb1ELb0EPfSB_N6thrust23THRUST_200600_302600_NS5minusIfEEEE10hipError_tPvRmT2_T3_mT4_P12ihipStream_tbEUlmE_fEESB_NS0_8identityIvEEEESG_SJ_SK_mSL_SN_bEUlT_E_NS1_11comp_targetILNS1_3genE0ELNS1_11target_archE4294967295ELNS1_3gpuE0ELNS1_3repE0EEENS1_30default_config_static_selectorELNS0_4arch9wavefront6targetE1EEEvT1_, .Lfunc_end161-_ZN7rocprim17ROCPRIM_400000_NS6detail17trampoline_kernelINS0_14default_configENS1_25transform_config_selectorIfLb0EEEZNS1_14transform_implILb0ES3_S5_NS0_18transform_iteratorINS0_17counting_iteratorImlEEZNS1_24adjacent_difference_implIS3_Lb1ELb0EPfSB_N6thrust23THRUST_200600_302600_NS5minusIfEEEE10hipError_tPvRmT2_T3_mT4_P12ihipStream_tbEUlmE_fEESB_NS0_8identityIvEEEESG_SJ_SK_mSL_SN_bEUlT_E_NS1_11comp_targetILNS1_3genE0ELNS1_11target_archE4294967295ELNS1_3gpuE0ELNS1_3repE0EEENS1_30default_config_static_selectorELNS0_4arch9wavefront6targetE1EEEvT1_
                                        ; -- End function
	.section	.AMDGPU.csdata,"",@progbits
; Kernel info:
; codeLenInByte = 0
; NumSgprs: 4
; NumVgprs: 0
; NumAgprs: 0
; TotalNumVgprs: 0
; ScratchSize: 0
; MemoryBound: 0
; FloatMode: 240
; IeeeMode: 1
; LDSByteSize: 0 bytes/workgroup (compile time only)
; SGPRBlocks: 0
; VGPRBlocks: 0
; NumSGPRsForWavesPerEU: 4
; NumVGPRsForWavesPerEU: 1
; AccumOffset: 4
; Occupancy: 8
; WaveLimiterHint : 0
; COMPUTE_PGM_RSRC2:SCRATCH_EN: 0
; COMPUTE_PGM_RSRC2:USER_SGPR: 6
; COMPUTE_PGM_RSRC2:TRAP_HANDLER: 0
; COMPUTE_PGM_RSRC2:TGID_X_EN: 1
; COMPUTE_PGM_RSRC2:TGID_Y_EN: 0
; COMPUTE_PGM_RSRC2:TGID_Z_EN: 0
; COMPUTE_PGM_RSRC2:TIDIG_COMP_CNT: 0
; COMPUTE_PGM_RSRC3_GFX90A:ACCUM_OFFSET: 0
; COMPUTE_PGM_RSRC3_GFX90A:TG_SPLIT: 0
	.section	.text._ZN7rocprim17ROCPRIM_400000_NS6detail17trampoline_kernelINS0_14default_configENS1_25transform_config_selectorIfLb0EEEZNS1_14transform_implILb0ES3_S5_NS0_18transform_iteratorINS0_17counting_iteratorImlEEZNS1_24adjacent_difference_implIS3_Lb1ELb0EPfSB_N6thrust23THRUST_200600_302600_NS5minusIfEEEE10hipError_tPvRmT2_T3_mT4_P12ihipStream_tbEUlmE_fEESB_NS0_8identityIvEEEESG_SJ_SK_mSL_SN_bEUlT_E_NS1_11comp_targetILNS1_3genE5ELNS1_11target_archE942ELNS1_3gpuE9ELNS1_3repE0EEENS1_30default_config_static_selectorELNS0_4arch9wavefront6targetE1EEEvT1_,"axG",@progbits,_ZN7rocprim17ROCPRIM_400000_NS6detail17trampoline_kernelINS0_14default_configENS1_25transform_config_selectorIfLb0EEEZNS1_14transform_implILb0ES3_S5_NS0_18transform_iteratorINS0_17counting_iteratorImlEEZNS1_24adjacent_difference_implIS3_Lb1ELb0EPfSB_N6thrust23THRUST_200600_302600_NS5minusIfEEEE10hipError_tPvRmT2_T3_mT4_P12ihipStream_tbEUlmE_fEESB_NS0_8identityIvEEEESG_SJ_SK_mSL_SN_bEUlT_E_NS1_11comp_targetILNS1_3genE5ELNS1_11target_archE942ELNS1_3gpuE9ELNS1_3repE0EEENS1_30default_config_static_selectorELNS0_4arch9wavefront6targetE1EEEvT1_,comdat
	.protected	_ZN7rocprim17ROCPRIM_400000_NS6detail17trampoline_kernelINS0_14default_configENS1_25transform_config_selectorIfLb0EEEZNS1_14transform_implILb0ES3_S5_NS0_18transform_iteratorINS0_17counting_iteratorImlEEZNS1_24adjacent_difference_implIS3_Lb1ELb0EPfSB_N6thrust23THRUST_200600_302600_NS5minusIfEEEE10hipError_tPvRmT2_T3_mT4_P12ihipStream_tbEUlmE_fEESB_NS0_8identityIvEEEESG_SJ_SK_mSL_SN_bEUlT_E_NS1_11comp_targetILNS1_3genE5ELNS1_11target_archE942ELNS1_3gpuE9ELNS1_3repE0EEENS1_30default_config_static_selectorELNS0_4arch9wavefront6targetE1EEEvT1_ ; -- Begin function _ZN7rocprim17ROCPRIM_400000_NS6detail17trampoline_kernelINS0_14default_configENS1_25transform_config_selectorIfLb0EEEZNS1_14transform_implILb0ES3_S5_NS0_18transform_iteratorINS0_17counting_iteratorImlEEZNS1_24adjacent_difference_implIS3_Lb1ELb0EPfSB_N6thrust23THRUST_200600_302600_NS5minusIfEEEE10hipError_tPvRmT2_T3_mT4_P12ihipStream_tbEUlmE_fEESB_NS0_8identityIvEEEESG_SJ_SK_mSL_SN_bEUlT_E_NS1_11comp_targetILNS1_3genE5ELNS1_11target_archE942ELNS1_3gpuE9ELNS1_3repE0EEENS1_30default_config_static_selectorELNS0_4arch9wavefront6targetE1EEEvT1_
	.globl	_ZN7rocprim17ROCPRIM_400000_NS6detail17trampoline_kernelINS0_14default_configENS1_25transform_config_selectorIfLb0EEEZNS1_14transform_implILb0ES3_S5_NS0_18transform_iteratorINS0_17counting_iteratorImlEEZNS1_24adjacent_difference_implIS3_Lb1ELb0EPfSB_N6thrust23THRUST_200600_302600_NS5minusIfEEEE10hipError_tPvRmT2_T3_mT4_P12ihipStream_tbEUlmE_fEESB_NS0_8identityIvEEEESG_SJ_SK_mSL_SN_bEUlT_E_NS1_11comp_targetILNS1_3genE5ELNS1_11target_archE942ELNS1_3gpuE9ELNS1_3repE0EEENS1_30default_config_static_selectorELNS0_4arch9wavefront6targetE1EEEvT1_
	.p2align	8
	.type	_ZN7rocprim17ROCPRIM_400000_NS6detail17trampoline_kernelINS0_14default_configENS1_25transform_config_selectorIfLb0EEEZNS1_14transform_implILb0ES3_S5_NS0_18transform_iteratorINS0_17counting_iteratorImlEEZNS1_24adjacent_difference_implIS3_Lb1ELb0EPfSB_N6thrust23THRUST_200600_302600_NS5minusIfEEEE10hipError_tPvRmT2_T3_mT4_P12ihipStream_tbEUlmE_fEESB_NS0_8identityIvEEEESG_SJ_SK_mSL_SN_bEUlT_E_NS1_11comp_targetILNS1_3genE5ELNS1_11target_archE942ELNS1_3gpuE9ELNS1_3repE0EEENS1_30default_config_static_selectorELNS0_4arch9wavefront6targetE1EEEvT1_,@function
_ZN7rocprim17ROCPRIM_400000_NS6detail17trampoline_kernelINS0_14default_configENS1_25transform_config_selectorIfLb0EEEZNS1_14transform_implILb0ES3_S5_NS0_18transform_iteratorINS0_17counting_iteratorImlEEZNS1_24adjacent_difference_implIS3_Lb1ELb0EPfSB_N6thrust23THRUST_200600_302600_NS5minusIfEEEE10hipError_tPvRmT2_T3_mT4_P12ihipStream_tbEUlmE_fEESB_NS0_8identityIvEEEESG_SJ_SK_mSL_SN_bEUlT_E_NS1_11comp_targetILNS1_3genE5ELNS1_11target_archE942ELNS1_3gpuE9ELNS1_3repE0EEENS1_30default_config_static_selectorELNS0_4arch9wavefront6targetE1EEEvT1_: ; @_ZN7rocprim17ROCPRIM_400000_NS6detail17trampoline_kernelINS0_14default_configENS1_25transform_config_selectorIfLb0EEEZNS1_14transform_implILb0ES3_S5_NS0_18transform_iteratorINS0_17counting_iteratorImlEEZNS1_24adjacent_difference_implIS3_Lb1ELb0EPfSB_N6thrust23THRUST_200600_302600_NS5minusIfEEEE10hipError_tPvRmT2_T3_mT4_P12ihipStream_tbEUlmE_fEESB_NS0_8identityIvEEEESG_SJ_SK_mSL_SN_bEUlT_E_NS1_11comp_targetILNS1_3genE5ELNS1_11target_archE942ELNS1_3gpuE9ELNS1_3repE0EEENS1_30default_config_static_selectorELNS0_4arch9wavefront6targetE1EEEvT1_
; %bb.0:
	.section	.rodata,"a",@progbits
	.p2align	6, 0x0
	.amdhsa_kernel _ZN7rocprim17ROCPRIM_400000_NS6detail17trampoline_kernelINS0_14default_configENS1_25transform_config_selectorIfLb0EEEZNS1_14transform_implILb0ES3_S5_NS0_18transform_iteratorINS0_17counting_iteratorImlEEZNS1_24adjacent_difference_implIS3_Lb1ELb0EPfSB_N6thrust23THRUST_200600_302600_NS5minusIfEEEE10hipError_tPvRmT2_T3_mT4_P12ihipStream_tbEUlmE_fEESB_NS0_8identityIvEEEESG_SJ_SK_mSL_SN_bEUlT_E_NS1_11comp_targetILNS1_3genE5ELNS1_11target_archE942ELNS1_3gpuE9ELNS1_3repE0EEENS1_30default_config_static_selectorELNS0_4arch9wavefront6targetE1EEEvT1_
		.amdhsa_group_segment_fixed_size 0
		.amdhsa_private_segment_fixed_size 0
		.amdhsa_kernarg_size 56
		.amdhsa_user_sgpr_count 6
		.amdhsa_user_sgpr_private_segment_buffer 1
		.amdhsa_user_sgpr_dispatch_ptr 0
		.amdhsa_user_sgpr_queue_ptr 0
		.amdhsa_user_sgpr_kernarg_segment_ptr 1
		.amdhsa_user_sgpr_dispatch_id 0
		.amdhsa_user_sgpr_flat_scratch_init 0
		.amdhsa_user_sgpr_kernarg_preload_length 0
		.amdhsa_user_sgpr_kernarg_preload_offset 0
		.amdhsa_user_sgpr_private_segment_size 0
		.amdhsa_uses_dynamic_stack 0
		.amdhsa_system_sgpr_private_segment_wavefront_offset 0
		.amdhsa_system_sgpr_workgroup_id_x 1
		.amdhsa_system_sgpr_workgroup_id_y 0
		.amdhsa_system_sgpr_workgroup_id_z 0
		.amdhsa_system_sgpr_workgroup_info 0
		.amdhsa_system_vgpr_workitem_id 0
		.amdhsa_next_free_vgpr 1
		.amdhsa_next_free_sgpr 0
		.amdhsa_accum_offset 4
		.amdhsa_reserve_vcc 0
		.amdhsa_reserve_flat_scratch 0
		.amdhsa_float_round_mode_32 0
		.amdhsa_float_round_mode_16_64 0
		.amdhsa_float_denorm_mode_32 3
		.amdhsa_float_denorm_mode_16_64 3
		.amdhsa_dx10_clamp 1
		.amdhsa_ieee_mode 1
		.amdhsa_fp16_overflow 0
		.amdhsa_tg_split 0
		.amdhsa_exception_fp_ieee_invalid_op 0
		.amdhsa_exception_fp_denorm_src 0
		.amdhsa_exception_fp_ieee_div_zero 0
		.amdhsa_exception_fp_ieee_overflow 0
		.amdhsa_exception_fp_ieee_underflow 0
		.amdhsa_exception_fp_ieee_inexact 0
		.amdhsa_exception_int_div_zero 0
	.end_amdhsa_kernel
	.section	.text._ZN7rocprim17ROCPRIM_400000_NS6detail17trampoline_kernelINS0_14default_configENS1_25transform_config_selectorIfLb0EEEZNS1_14transform_implILb0ES3_S5_NS0_18transform_iteratorINS0_17counting_iteratorImlEEZNS1_24adjacent_difference_implIS3_Lb1ELb0EPfSB_N6thrust23THRUST_200600_302600_NS5minusIfEEEE10hipError_tPvRmT2_T3_mT4_P12ihipStream_tbEUlmE_fEESB_NS0_8identityIvEEEESG_SJ_SK_mSL_SN_bEUlT_E_NS1_11comp_targetILNS1_3genE5ELNS1_11target_archE942ELNS1_3gpuE9ELNS1_3repE0EEENS1_30default_config_static_selectorELNS0_4arch9wavefront6targetE1EEEvT1_,"axG",@progbits,_ZN7rocprim17ROCPRIM_400000_NS6detail17trampoline_kernelINS0_14default_configENS1_25transform_config_selectorIfLb0EEEZNS1_14transform_implILb0ES3_S5_NS0_18transform_iteratorINS0_17counting_iteratorImlEEZNS1_24adjacent_difference_implIS3_Lb1ELb0EPfSB_N6thrust23THRUST_200600_302600_NS5minusIfEEEE10hipError_tPvRmT2_T3_mT4_P12ihipStream_tbEUlmE_fEESB_NS0_8identityIvEEEESG_SJ_SK_mSL_SN_bEUlT_E_NS1_11comp_targetILNS1_3genE5ELNS1_11target_archE942ELNS1_3gpuE9ELNS1_3repE0EEENS1_30default_config_static_selectorELNS0_4arch9wavefront6targetE1EEEvT1_,comdat
.Lfunc_end162:
	.size	_ZN7rocprim17ROCPRIM_400000_NS6detail17trampoline_kernelINS0_14default_configENS1_25transform_config_selectorIfLb0EEEZNS1_14transform_implILb0ES3_S5_NS0_18transform_iteratorINS0_17counting_iteratorImlEEZNS1_24adjacent_difference_implIS3_Lb1ELb0EPfSB_N6thrust23THRUST_200600_302600_NS5minusIfEEEE10hipError_tPvRmT2_T3_mT4_P12ihipStream_tbEUlmE_fEESB_NS0_8identityIvEEEESG_SJ_SK_mSL_SN_bEUlT_E_NS1_11comp_targetILNS1_3genE5ELNS1_11target_archE942ELNS1_3gpuE9ELNS1_3repE0EEENS1_30default_config_static_selectorELNS0_4arch9wavefront6targetE1EEEvT1_, .Lfunc_end162-_ZN7rocprim17ROCPRIM_400000_NS6detail17trampoline_kernelINS0_14default_configENS1_25transform_config_selectorIfLb0EEEZNS1_14transform_implILb0ES3_S5_NS0_18transform_iteratorINS0_17counting_iteratorImlEEZNS1_24adjacent_difference_implIS3_Lb1ELb0EPfSB_N6thrust23THRUST_200600_302600_NS5minusIfEEEE10hipError_tPvRmT2_T3_mT4_P12ihipStream_tbEUlmE_fEESB_NS0_8identityIvEEEESG_SJ_SK_mSL_SN_bEUlT_E_NS1_11comp_targetILNS1_3genE5ELNS1_11target_archE942ELNS1_3gpuE9ELNS1_3repE0EEENS1_30default_config_static_selectorELNS0_4arch9wavefront6targetE1EEEvT1_
                                        ; -- End function
	.section	.AMDGPU.csdata,"",@progbits
; Kernel info:
; codeLenInByte = 0
; NumSgprs: 4
; NumVgprs: 0
; NumAgprs: 0
; TotalNumVgprs: 0
; ScratchSize: 0
; MemoryBound: 0
; FloatMode: 240
; IeeeMode: 1
; LDSByteSize: 0 bytes/workgroup (compile time only)
; SGPRBlocks: 0
; VGPRBlocks: 0
; NumSGPRsForWavesPerEU: 4
; NumVGPRsForWavesPerEU: 1
; AccumOffset: 4
; Occupancy: 8
; WaveLimiterHint : 0
; COMPUTE_PGM_RSRC2:SCRATCH_EN: 0
; COMPUTE_PGM_RSRC2:USER_SGPR: 6
; COMPUTE_PGM_RSRC2:TRAP_HANDLER: 0
; COMPUTE_PGM_RSRC2:TGID_X_EN: 1
; COMPUTE_PGM_RSRC2:TGID_Y_EN: 0
; COMPUTE_PGM_RSRC2:TGID_Z_EN: 0
; COMPUTE_PGM_RSRC2:TIDIG_COMP_CNT: 0
; COMPUTE_PGM_RSRC3_GFX90A:ACCUM_OFFSET: 0
; COMPUTE_PGM_RSRC3_GFX90A:TG_SPLIT: 0
	.section	.text._ZN7rocprim17ROCPRIM_400000_NS6detail17trampoline_kernelINS0_14default_configENS1_25transform_config_selectorIfLb0EEEZNS1_14transform_implILb0ES3_S5_NS0_18transform_iteratorINS0_17counting_iteratorImlEEZNS1_24adjacent_difference_implIS3_Lb1ELb0EPfSB_N6thrust23THRUST_200600_302600_NS5minusIfEEEE10hipError_tPvRmT2_T3_mT4_P12ihipStream_tbEUlmE_fEESB_NS0_8identityIvEEEESG_SJ_SK_mSL_SN_bEUlT_E_NS1_11comp_targetILNS1_3genE4ELNS1_11target_archE910ELNS1_3gpuE8ELNS1_3repE0EEENS1_30default_config_static_selectorELNS0_4arch9wavefront6targetE1EEEvT1_,"axG",@progbits,_ZN7rocprim17ROCPRIM_400000_NS6detail17trampoline_kernelINS0_14default_configENS1_25transform_config_selectorIfLb0EEEZNS1_14transform_implILb0ES3_S5_NS0_18transform_iteratorINS0_17counting_iteratorImlEEZNS1_24adjacent_difference_implIS3_Lb1ELb0EPfSB_N6thrust23THRUST_200600_302600_NS5minusIfEEEE10hipError_tPvRmT2_T3_mT4_P12ihipStream_tbEUlmE_fEESB_NS0_8identityIvEEEESG_SJ_SK_mSL_SN_bEUlT_E_NS1_11comp_targetILNS1_3genE4ELNS1_11target_archE910ELNS1_3gpuE8ELNS1_3repE0EEENS1_30default_config_static_selectorELNS0_4arch9wavefront6targetE1EEEvT1_,comdat
	.protected	_ZN7rocprim17ROCPRIM_400000_NS6detail17trampoline_kernelINS0_14default_configENS1_25transform_config_selectorIfLb0EEEZNS1_14transform_implILb0ES3_S5_NS0_18transform_iteratorINS0_17counting_iteratorImlEEZNS1_24adjacent_difference_implIS3_Lb1ELb0EPfSB_N6thrust23THRUST_200600_302600_NS5minusIfEEEE10hipError_tPvRmT2_T3_mT4_P12ihipStream_tbEUlmE_fEESB_NS0_8identityIvEEEESG_SJ_SK_mSL_SN_bEUlT_E_NS1_11comp_targetILNS1_3genE4ELNS1_11target_archE910ELNS1_3gpuE8ELNS1_3repE0EEENS1_30default_config_static_selectorELNS0_4arch9wavefront6targetE1EEEvT1_ ; -- Begin function _ZN7rocprim17ROCPRIM_400000_NS6detail17trampoline_kernelINS0_14default_configENS1_25transform_config_selectorIfLb0EEEZNS1_14transform_implILb0ES3_S5_NS0_18transform_iteratorINS0_17counting_iteratorImlEEZNS1_24adjacent_difference_implIS3_Lb1ELb0EPfSB_N6thrust23THRUST_200600_302600_NS5minusIfEEEE10hipError_tPvRmT2_T3_mT4_P12ihipStream_tbEUlmE_fEESB_NS0_8identityIvEEEESG_SJ_SK_mSL_SN_bEUlT_E_NS1_11comp_targetILNS1_3genE4ELNS1_11target_archE910ELNS1_3gpuE8ELNS1_3repE0EEENS1_30default_config_static_selectorELNS0_4arch9wavefront6targetE1EEEvT1_
	.globl	_ZN7rocprim17ROCPRIM_400000_NS6detail17trampoline_kernelINS0_14default_configENS1_25transform_config_selectorIfLb0EEEZNS1_14transform_implILb0ES3_S5_NS0_18transform_iteratorINS0_17counting_iteratorImlEEZNS1_24adjacent_difference_implIS3_Lb1ELb0EPfSB_N6thrust23THRUST_200600_302600_NS5minusIfEEEE10hipError_tPvRmT2_T3_mT4_P12ihipStream_tbEUlmE_fEESB_NS0_8identityIvEEEESG_SJ_SK_mSL_SN_bEUlT_E_NS1_11comp_targetILNS1_3genE4ELNS1_11target_archE910ELNS1_3gpuE8ELNS1_3repE0EEENS1_30default_config_static_selectorELNS0_4arch9wavefront6targetE1EEEvT1_
	.p2align	8
	.type	_ZN7rocprim17ROCPRIM_400000_NS6detail17trampoline_kernelINS0_14default_configENS1_25transform_config_selectorIfLb0EEEZNS1_14transform_implILb0ES3_S5_NS0_18transform_iteratorINS0_17counting_iteratorImlEEZNS1_24adjacent_difference_implIS3_Lb1ELb0EPfSB_N6thrust23THRUST_200600_302600_NS5minusIfEEEE10hipError_tPvRmT2_T3_mT4_P12ihipStream_tbEUlmE_fEESB_NS0_8identityIvEEEESG_SJ_SK_mSL_SN_bEUlT_E_NS1_11comp_targetILNS1_3genE4ELNS1_11target_archE910ELNS1_3gpuE8ELNS1_3repE0EEENS1_30default_config_static_selectorELNS0_4arch9wavefront6targetE1EEEvT1_,@function
_ZN7rocprim17ROCPRIM_400000_NS6detail17trampoline_kernelINS0_14default_configENS1_25transform_config_selectorIfLb0EEEZNS1_14transform_implILb0ES3_S5_NS0_18transform_iteratorINS0_17counting_iteratorImlEEZNS1_24adjacent_difference_implIS3_Lb1ELb0EPfSB_N6thrust23THRUST_200600_302600_NS5minusIfEEEE10hipError_tPvRmT2_T3_mT4_P12ihipStream_tbEUlmE_fEESB_NS0_8identityIvEEEESG_SJ_SK_mSL_SN_bEUlT_E_NS1_11comp_targetILNS1_3genE4ELNS1_11target_archE910ELNS1_3gpuE8ELNS1_3repE0EEENS1_30default_config_static_selectorELNS0_4arch9wavefront6targetE1EEEvT1_: ; @_ZN7rocprim17ROCPRIM_400000_NS6detail17trampoline_kernelINS0_14default_configENS1_25transform_config_selectorIfLb0EEEZNS1_14transform_implILb0ES3_S5_NS0_18transform_iteratorINS0_17counting_iteratorImlEEZNS1_24adjacent_difference_implIS3_Lb1ELb0EPfSB_N6thrust23THRUST_200600_302600_NS5minusIfEEEE10hipError_tPvRmT2_T3_mT4_P12ihipStream_tbEUlmE_fEESB_NS0_8identityIvEEEESG_SJ_SK_mSL_SN_bEUlT_E_NS1_11comp_targetILNS1_3genE4ELNS1_11target_archE910ELNS1_3gpuE8ELNS1_3repE0EEENS1_30default_config_static_selectorELNS0_4arch9wavefront6targetE1EEEvT1_
; %bb.0:
	s_load_dwordx4 s[0:3], s[4:5], 0x18
	s_load_dwordx2 s[14:15], s[4:5], 0x28
	s_load_dwordx4 s[8:11], s[4:5], 0x0
	s_load_dword s12, s[4:5], 0x10
	s_waitcnt lgkmcnt(0)
	s_load_dword s3, s[4:5], 0x38
                                        ; kill: killed $sgpr4_sgpr5
	s_lshl_b64 s[4:5], s[0:1], 2
	s_add_u32 s14, s14, s4
	s_addc_u32 s15, s15, s5
	s_lshl_b32 s4, s6, 11
	s_waitcnt lgkmcnt(0)
	s_add_i32 s3, s3, -1
	s_add_u32 s7, s8, s4
	s_addc_u32 s8, s9, 0
	s_add_u32 s16, s7, s0
	s_addc_u32 s17, s8, s1
	s_mov_b32 s5, 0
	s_cmp_lg_u32 s6, s3
	v_lshlrev_b32_e32 v1, 2, v0
	s_cbranch_scc0 .LBB163_2
; %bb.1:
	v_mov_b32_e32 v2, s17
	v_add_co_u32_e32 v3, vcc, s16, v0
	v_addc_co_u32_e32 v5, vcc, 0, v2, vcc
	v_mad_u64_u32 v[2:3], s[0:1], v3, s12, 0
	v_mov_b32_e32 v4, v3
	v_mad_u64_u32 v[4:5], s[0:1], v5, s12, v[4:5]
	v_mov_b32_e32 v3, v4
	v_lshlrev_b64 v[2:3], 2, v[2:3]
	s_mov_b32 s13, s5
	v_mov_b32_e32 v4, s11
	v_add_co_u32_e32 v2, vcc, s10, v2
	v_addc_co_u32_e32 v3, vcc, v4, v3, vcc
	s_lshl_b64 s[0:1], s[12:13], 12
	global_load_dword v6, v[2:3], off
	v_mov_b32_e32 v4, s1
	v_add_co_u32_e32 v2, vcc, s0, v2
	v_addc_co_u32_e32 v3, vcc, v3, v4, vcc
	global_load_dword v3, v[2:3], off
	s_lshl_b64 s[6:7], s[4:5], 2
	s_add_u32 s6, s14, s6
	s_addc_u32 s7, s15, s7
	v_mov_b32_e32 v2, s7
	v_add_co_u32_e32 v4, vcc, s6, v1
	v_addc_co_u32_e32 v5, vcc, 0, v2, vcc
	s_waitcnt vmcnt(1)
	global_store_dword v1, v6, s[6:7]
	s_mov_b64 s[6:7], -1
	s_cbranch_execz .LBB163_3
	s_branch .LBB163_12
.LBB163_2:
	s_mov_b64 s[6:7], 0
                                        ; implicit-def: $vgpr3
                                        ; implicit-def: $vgpr4_vgpr5
.LBB163_3:
	s_sub_i32 s8, s2, s4
	v_cmp_gt_u32_e32 vcc, s8, v0
                                        ; implicit-def: $vgpr2_vgpr3
	s_and_saveexec_b64 s[2:3], vcc
	s_cbranch_execz .LBB163_5
; %bb.4:
	v_mov_b32_e32 v2, s17
	s_waitcnt vmcnt(1)
	v_add_co_u32_e64 v3, s[0:1], s16, v0
	v_addc_co_u32_e64 v5, s[0:1], 0, v2, s[0:1]
	v_mad_u64_u32 v[2:3], s[0:1], v3, s12, 0
	v_mov_b32_e32 v4, v3
	v_mad_u64_u32 v[4:5], s[0:1], v5, s12, v[4:5]
	v_mov_b32_e32 v3, v4
	v_lshlrev_b64 v[2:3], 2, v[2:3]
	v_mov_b32_e32 v4, s11
	v_add_co_u32_e64 v2, s[0:1], s10, v2
	v_addc_co_u32_e64 v3, s[0:1], v4, v3, s[0:1]
	global_load_dword v2, v[2:3], off
.LBB163_5:
	s_or_b64 exec, exec, s[2:3]
	v_or_b32_e32 v0, 0x400, v0
	v_cmp_gt_u32_e64 s[0:1], s8, v0
	s_and_saveexec_b64 s[8:9], s[0:1]
	s_cbranch_execz .LBB163_7
; %bb.6:
	s_waitcnt vmcnt(1)
	v_mov_b32_e32 v3, s17
	v_add_co_u32_e64 v0, s[2:3], s16, v0
	v_addc_co_u32_e64 v3, s[2:3], 0, v3, s[2:3]
	v_mad_u64_u32 v[4:5], s[2:3], v0, s12, 0
	v_mov_b32_e32 v0, v5
	v_mad_u64_u32 v[6:7], s[2:3], v3, s12, v[0:1]
	v_mov_b32_e32 v5, v6
	v_lshlrev_b64 v[4:5], 2, v[4:5]
	v_mov_b32_e32 v0, s11
	v_add_co_u32_e64 v4, s[2:3], s10, v4
	v_addc_co_u32_e64 v5, s[2:3], v0, v5, s[2:3]
	global_load_dword v3, v[4:5], off
.LBB163_7:
	s_or_b64 exec, exec, s[8:9]
	s_lshl_b64 s[2:3], s[4:5], 2
	s_add_u32 s2, s14, s2
	s_addc_u32 s3, s15, s3
	v_mov_b32_e32 v0, s3
	v_add_co_u32_e64 v4, s[2:3], s2, v1
	v_addc_co_u32_e64 v5, s[2:3], 0, v0, s[2:3]
	s_and_saveexec_b64 s[2:3], vcc
	s_cbranch_execz .LBB163_9
; %bb.8:
	s_waitcnt vmcnt(0)
	global_store_dword v[4:5], v2, off
.LBB163_9:
	s_or_b64 exec, exec, s[2:3]
	s_and_saveexec_b64 s[2:3], s[0:1]
; %bb.10:
	s_or_b64 s[6:7], s[6:7], exec
; %bb.11:
	s_or_b64 exec, exec, s[2:3]
.LBB163_12:
	s_and_saveexec_b64 s[0:1], s[6:7]
	s_cbranch_execnz .LBB163_14
; %bb.13:
	s_endpgm
.LBB163_14:
	v_add_co_u32_e32 v0, vcc, 0x1000, v4
	v_addc_co_u32_e32 v1, vcc, 0, v5, vcc
	s_waitcnt vmcnt(0)
	global_store_dword v[0:1], v3, off
	s_endpgm
	.section	.rodata,"a",@progbits
	.p2align	6, 0x0
	.amdhsa_kernel _ZN7rocprim17ROCPRIM_400000_NS6detail17trampoline_kernelINS0_14default_configENS1_25transform_config_selectorIfLb0EEEZNS1_14transform_implILb0ES3_S5_NS0_18transform_iteratorINS0_17counting_iteratorImlEEZNS1_24adjacent_difference_implIS3_Lb1ELb0EPfSB_N6thrust23THRUST_200600_302600_NS5minusIfEEEE10hipError_tPvRmT2_T3_mT4_P12ihipStream_tbEUlmE_fEESB_NS0_8identityIvEEEESG_SJ_SK_mSL_SN_bEUlT_E_NS1_11comp_targetILNS1_3genE4ELNS1_11target_archE910ELNS1_3gpuE8ELNS1_3repE0EEENS1_30default_config_static_selectorELNS0_4arch9wavefront6targetE1EEEvT1_
		.amdhsa_group_segment_fixed_size 0
		.amdhsa_private_segment_fixed_size 0
		.amdhsa_kernarg_size 312
		.amdhsa_user_sgpr_count 6
		.amdhsa_user_sgpr_private_segment_buffer 1
		.amdhsa_user_sgpr_dispatch_ptr 0
		.amdhsa_user_sgpr_queue_ptr 0
		.amdhsa_user_sgpr_kernarg_segment_ptr 1
		.amdhsa_user_sgpr_dispatch_id 0
		.amdhsa_user_sgpr_flat_scratch_init 0
		.amdhsa_user_sgpr_kernarg_preload_length 0
		.amdhsa_user_sgpr_kernarg_preload_offset 0
		.amdhsa_user_sgpr_private_segment_size 0
		.amdhsa_uses_dynamic_stack 0
		.amdhsa_system_sgpr_private_segment_wavefront_offset 0
		.amdhsa_system_sgpr_workgroup_id_x 1
		.amdhsa_system_sgpr_workgroup_id_y 0
		.amdhsa_system_sgpr_workgroup_id_z 0
		.amdhsa_system_sgpr_workgroup_info 0
		.amdhsa_system_vgpr_workitem_id 0
		.amdhsa_next_free_vgpr 8
		.amdhsa_next_free_sgpr 18
		.amdhsa_accum_offset 8
		.amdhsa_reserve_vcc 1
		.amdhsa_reserve_flat_scratch 0
		.amdhsa_float_round_mode_32 0
		.amdhsa_float_round_mode_16_64 0
		.amdhsa_float_denorm_mode_32 3
		.amdhsa_float_denorm_mode_16_64 3
		.amdhsa_dx10_clamp 1
		.amdhsa_ieee_mode 1
		.amdhsa_fp16_overflow 0
		.amdhsa_tg_split 0
		.amdhsa_exception_fp_ieee_invalid_op 0
		.amdhsa_exception_fp_denorm_src 0
		.amdhsa_exception_fp_ieee_div_zero 0
		.amdhsa_exception_fp_ieee_overflow 0
		.amdhsa_exception_fp_ieee_underflow 0
		.amdhsa_exception_fp_ieee_inexact 0
		.amdhsa_exception_int_div_zero 0
	.end_amdhsa_kernel
	.section	.text._ZN7rocprim17ROCPRIM_400000_NS6detail17trampoline_kernelINS0_14default_configENS1_25transform_config_selectorIfLb0EEEZNS1_14transform_implILb0ES3_S5_NS0_18transform_iteratorINS0_17counting_iteratorImlEEZNS1_24adjacent_difference_implIS3_Lb1ELb0EPfSB_N6thrust23THRUST_200600_302600_NS5minusIfEEEE10hipError_tPvRmT2_T3_mT4_P12ihipStream_tbEUlmE_fEESB_NS0_8identityIvEEEESG_SJ_SK_mSL_SN_bEUlT_E_NS1_11comp_targetILNS1_3genE4ELNS1_11target_archE910ELNS1_3gpuE8ELNS1_3repE0EEENS1_30default_config_static_selectorELNS0_4arch9wavefront6targetE1EEEvT1_,"axG",@progbits,_ZN7rocprim17ROCPRIM_400000_NS6detail17trampoline_kernelINS0_14default_configENS1_25transform_config_selectorIfLb0EEEZNS1_14transform_implILb0ES3_S5_NS0_18transform_iteratorINS0_17counting_iteratorImlEEZNS1_24adjacent_difference_implIS3_Lb1ELb0EPfSB_N6thrust23THRUST_200600_302600_NS5minusIfEEEE10hipError_tPvRmT2_T3_mT4_P12ihipStream_tbEUlmE_fEESB_NS0_8identityIvEEEESG_SJ_SK_mSL_SN_bEUlT_E_NS1_11comp_targetILNS1_3genE4ELNS1_11target_archE910ELNS1_3gpuE8ELNS1_3repE0EEENS1_30default_config_static_selectorELNS0_4arch9wavefront6targetE1EEEvT1_,comdat
.Lfunc_end163:
	.size	_ZN7rocprim17ROCPRIM_400000_NS6detail17trampoline_kernelINS0_14default_configENS1_25transform_config_selectorIfLb0EEEZNS1_14transform_implILb0ES3_S5_NS0_18transform_iteratorINS0_17counting_iteratorImlEEZNS1_24adjacent_difference_implIS3_Lb1ELb0EPfSB_N6thrust23THRUST_200600_302600_NS5minusIfEEEE10hipError_tPvRmT2_T3_mT4_P12ihipStream_tbEUlmE_fEESB_NS0_8identityIvEEEESG_SJ_SK_mSL_SN_bEUlT_E_NS1_11comp_targetILNS1_3genE4ELNS1_11target_archE910ELNS1_3gpuE8ELNS1_3repE0EEENS1_30default_config_static_selectorELNS0_4arch9wavefront6targetE1EEEvT1_, .Lfunc_end163-_ZN7rocprim17ROCPRIM_400000_NS6detail17trampoline_kernelINS0_14default_configENS1_25transform_config_selectorIfLb0EEEZNS1_14transform_implILb0ES3_S5_NS0_18transform_iteratorINS0_17counting_iteratorImlEEZNS1_24adjacent_difference_implIS3_Lb1ELb0EPfSB_N6thrust23THRUST_200600_302600_NS5minusIfEEEE10hipError_tPvRmT2_T3_mT4_P12ihipStream_tbEUlmE_fEESB_NS0_8identityIvEEEESG_SJ_SK_mSL_SN_bEUlT_E_NS1_11comp_targetILNS1_3genE4ELNS1_11target_archE910ELNS1_3gpuE8ELNS1_3repE0EEENS1_30default_config_static_selectorELNS0_4arch9wavefront6targetE1EEEvT1_
                                        ; -- End function
	.section	.AMDGPU.csdata,"",@progbits
; Kernel info:
; codeLenInByte = 568
; NumSgprs: 22
; NumVgprs: 8
; NumAgprs: 0
; TotalNumVgprs: 8
; ScratchSize: 0
; MemoryBound: 0
; FloatMode: 240
; IeeeMode: 1
; LDSByteSize: 0 bytes/workgroup (compile time only)
; SGPRBlocks: 2
; VGPRBlocks: 0
; NumSGPRsForWavesPerEU: 22
; NumVGPRsForWavesPerEU: 8
; AccumOffset: 8
; Occupancy: 8
; WaveLimiterHint : 0
; COMPUTE_PGM_RSRC2:SCRATCH_EN: 0
; COMPUTE_PGM_RSRC2:USER_SGPR: 6
; COMPUTE_PGM_RSRC2:TRAP_HANDLER: 0
; COMPUTE_PGM_RSRC2:TGID_X_EN: 1
; COMPUTE_PGM_RSRC2:TGID_Y_EN: 0
; COMPUTE_PGM_RSRC2:TGID_Z_EN: 0
; COMPUTE_PGM_RSRC2:TIDIG_COMP_CNT: 0
; COMPUTE_PGM_RSRC3_GFX90A:ACCUM_OFFSET: 1
; COMPUTE_PGM_RSRC3_GFX90A:TG_SPLIT: 0
	.section	.text._ZN7rocprim17ROCPRIM_400000_NS6detail17trampoline_kernelINS0_14default_configENS1_25transform_config_selectorIfLb0EEEZNS1_14transform_implILb0ES3_S5_NS0_18transform_iteratorINS0_17counting_iteratorImlEEZNS1_24adjacent_difference_implIS3_Lb1ELb0EPfSB_N6thrust23THRUST_200600_302600_NS5minusIfEEEE10hipError_tPvRmT2_T3_mT4_P12ihipStream_tbEUlmE_fEESB_NS0_8identityIvEEEESG_SJ_SK_mSL_SN_bEUlT_E_NS1_11comp_targetILNS1_3genE3ELNS1_11target_archE908ELNS1_3gpuE7ELNS1_3repE0EEENS1_30default_config_static_selectorELNS0_4arch9wavefront6targetE1EEEvT1_,"axG",@progbits,_ZN7rocprim17ROCPRIM_400000_NS6detail17trampoline_kernelINS0_14default_configENS1_25transform_config_selectorIfLb0EEEZNS1_14transform_implILb0ES3_S5_NS0_18transform_iteratorINS0_17counting_iteratorImlEEZNS1_24adjacent_difference_implIS3_Lb1ELb0EPfSB_N6thrust23THRUST_200600_302600_NS5minusIfEEEE10hipError_tPvRmT2_T3_mT4_P12ihipStream_tbEUlmE_fEESB_NS0_8identityIvEEEESG_SJ_SK_mSL_SN_bEUlT_E_NS1_11comp_targetILNS1_3genE3ELNS1_11target_archE908ELNS1_3gpuE7ELNS1_3repE0EEENS1_30default_config_static_selectorELNS0_4arch9wavefront6targetE1EEEvT1_,comdat
	.protected	_ZN7rocprim17ROCPRIM_400000_NS6detail17trampoline_kernelINS0_14default_configENS1_25transform_config_selectorIfLb0EEEZNS1_14transform_implILb0ES3_S5_NS0_18transform_iteratorINS0_17counting_iteratorImlEEZNS1_24adjacent_difference_implIS3_Lb1ELb0EPfSB_N6thrust23THRUST_200600_302600_NS5minusIfEEEE10hipError_tPvRmT2_T3_mT4_P12ihipStream_tbEUlmE_fEESB_NS0_8identityIvEEEESG_SJ_SK_mSL_SN_bEUlT_E_NS1_11comp_targetILNS1_3genE3ELNS1_11target_archE908ELNS1_3gpuE7ELNS1_3repE0EEENS1_30default_config_static_selectorELNS0_4arch9wavefront6targetE1EEEvT1_ ; -- Begin function _ZN7rocprim17ROCPRIM_400000_NS6detail17trampoline_kernelINS0_14default_configENS1_25transform_config_selectorIfLb0EEEZNS1_14transform_implILb0ES3_S5_NS0_18transform_iteratorINS0_17counting_iteratorImlEEZNS1_24adjacent_difference_implIS3_Lb1ELb0EPfSB_N6thrust23THRUST_200600_302600_NS5minusIfEEEE10hipError_tPvRmT2_T3_mT4_P12ihipStream_tbEUlmE_fEESB_NS0_8identityIvEEEESG_SJ_SK_mSL_SN_bEUlT_E_NS1_11comp_targetILNS1_3genE3ELNS1_11target_archE908ELNS1_3gpuE7ELNS1_3repE0EEENS1_30default_config_static_selectorELNS0_4arch9wavefront6targetE1EEEvT1_
	.globl	_ZN7rocprim17ROCPRIM_400000_NS6detail17trampoline_kernelINS0_14default_configENS1_25transform_config_selectorIfLb0EEEZNS1_14transform_implILb0ES3_S5_NS0_18transform_iteratorINS0_17counting_iteratorImlEEZNS1_24adjacent_difference_implIS3_Lb1ELb0EPfSB_N6thrust23THRUST_200600_302600_NS5minusIfEEEE10hipError_tPvRmT2_T3_mT4_P12ihipStream_tbEUlmE_fEESB_NS0_8identityIvEEEESG_SJ_SK_mSL_SN_bEUlT_E_NS1_11comp_targetILNS1_3genE3ELNS1_11target_archE908ELNS1_3gpuE7ELNS1_3repE0EEENS1_30default_config_static_selectorELNS0_4arch9wavefront6targetE1EEEvT1_
	.p2align	8
	.type	_ZN7rocprim17ROCPRIM_400000_NS6detail17trampoline_kernelINS0_14default_configENS1_25transform_config_selectorIfLb0EEEZNS1_14transform_implILb0ES3_S5_NS0_18transform_iteratorINS0_17counting_iteratorImlEEZNS1_24adjacent_difference_implIS3_Lb1ELb0EPfSB_N6thrust23THRUST_200600_302600_NS5minusIfEEEE10hipError_tPvRmT2_T3_mT4_P12ihipStream_tbEUlmE_fEESB_NS0_8identityIvEEEESG_SJ_SK_mSL_SN_bEUlT_E_NS1_11comp_targetILNS1_3genE3ELNS1_11target_archE908ELNS1_3gpuE7ELNS1_3repE0EEENS1_30default_config_static_selectorELNS0_4arch9wavefront6targetE1EEEvT1_,@function
_ZN7rocprim17ROCPRIM_400000_NS6detail17trampoline_kernelINS0_14default_configENS1_25transform_config_selectorIfLb0EEEZNS1_14transform_implILb0ES3_S5_NS0_18transform_iteratorINS0_17counting_iteratorImlEEZNS1_24adjacent_difference_implIS3_Lb1ELb0EPfSB_N6thrust23THRUST_200600_302600_NS5minusIfEEEE10hipError_tPvRmT2_T3_mT4_P12ihipStream_tbEUlmE_fEESB_NS0_8identityIvEEEESG_SJ_SK_mSL_SN_bEUlT_E_NS1_11comp_targetILNS1_3genE3ELNS1_11target_archE908ELNS1_3gpuE7ELNS1_3repE0EEENS1_30default_config_static_selectorELNS0_4arch9wavefront6targetE1EEEvT1_: ; @_ZN7rocprim17ROCPRIM_400000_NS6detail17trampoline_kernelINS0_14default_configENS1_25transform_config_selectorIfLb0EEEZNS1_14transform_implILb0ES3_S5_NS0_18transform_iteratorINS0_17counting_iteratorImlEEZNS1_24adjacent_difference_implIS3_Lb1ELb0EPfSB_N6thrust23THRUST_200600_302600_NS5minusIfEEEE10hipError_tPvRmT2_T3_mT4_P12ihipStream_tbEUlmE_fEESB_NS0_8identityIvEEEESG_SJ_SK_mSL_SN_bEUlT_E_NS1_11comp_targetILNS1_3genE3ELNS1_11target_archE908ELNS1_3gpuE7ELNS1_3repE0EEENS1_30default_config_static_selectorELNS0_4arch9wavefront6targetE1EEEvT1_
; %bb.0:
	.section	.rodata,"a",@progbits
	.p2align	6, 0x0
	.amdhsa_kernel _ZN7rocprim17ROCPRIM_400000_NS6detail17trampoline_kernelINS0_14default_configENS1_25transform_config_selectorIfLb0EEEZNS1_14transform_implILb0ES3_S5_NS0_18transform_iteratorINS0_17counting_iteratorImlEEZNS1_24adjacent_difference_implIS3_Lb1ELb0EPfSB_N6thrust23THRUST_200600_302600_NS5minusIfEEEE10hipError_tPvRmT2_T3_mT4_P12ihipStream_tbEUlmE_fEESB_NS0_8identityIvEEEESG_SJ_SK_mSL_SN_bEUlT_E_NS1_11comp_targetILNS1_3genE3ELNS1_11target_archE908ELNS1_3gpuE7ELNS1_3repE0EEENS1_30default_config_static_selectorELNS0_4arch9wavefront6targetE1EEEvT1_
		.amdhsa_group_segment_fixed_size 0
		.amdhsa_private_segment_fixed_size 0
		.amdhsa_kernarg_size 56
		.amdhsa_user_sgpr_count 6
		.amdhsa_user_sgpr_private_segment_buffer 1
		.amdhsa_user_sgpr_dispatch_ptr 0
		.amdhsa_user_sgpr_queue_ptr 0
		.amdhsa_user_sgpr_kernarg_segment_ptr 1
		.amdhsa_user_sgpr_dispatch_id 0
		.amdhsa_user_sgpr_flat_scratch_init 0
		.amdhsa_user_sgpr_kernarg_preload_length 0
		.amdhsa_user_sgpr_kernarg_preload_offset 0
		.amdhsa_user_sgpr_private_segment_size 0
		.amdhsa_uses_dynamic_stack 0
		.amdhsa_system_sgpr_private_segment_wavefront_offset 0
		.amdhsa_system_sgpr_workgroup_id_x 1
		.amdhsa_system_sgpr_workgroup_id_y 0
		.amdhsa_system_sgpr_workgroup_id_z 0
		.amdhsa_system_sgpr_workgroup_info 0
		.amdhsa_system_vgpr_workitem_id 0
		.amdhsa_next_free_vgpr 1
		.amdhsa_next_free_sgpr 0
		.amdhsa_accum_offset 4
		.amdhsa_reserve_vcc 0
		.amdhsa_reserve_flat_scratch 0
		.amdhsa_float_round_mode_32 0
		.amdhsa_float_round_mode_16_64 0
		.amdhsa_float_denorm_mode_32 3
		.amdhsa_float_denorm_mode_16_64 3
		.amdhsa_dx10_clamp 1
		.amdhsa_ieee_mode 1
		.amdhsa_fp16_overflow 0
		.amdhsa_tg_split 0
		.amdhsa_exception_fp_ieee_invalid_op 0
		.amdhsa_exception_fp_denorm_src 0
		.amdhsa_exception_fp_ieee_div_zero 0
		.amdhsa_exception_fp_ieee_overflow 0
		.amdhsa_exception_fp_ieee_underflow 0
		.amdhsa_exception_fp_ieee_inexact 0
		.amdhsa_exception_int_div_zero 0
	.end_amdhsa_kernel
	.section	.text._ZN7rocprim17ROCPRIM_400000_NS6detail17trampoline_kernelINS0_14default_configENS1_25transform_config_selectorIfLb0EEEZNS1_14transform_implILb0ES3_S5_NS0_18transform_iteratorINS0_17counting_iteratorImlEEZNS1_24adjacent_difference_implIS3_Lb1ELb0EPfSB_N6thrust23THRUST_200600_302600_NS5minusIfEEEE10hipError_tPvRmT2_T3_mT4_P12ihipStream_tbEUlmE_fEESB_NS0_8identityIvEEEESG_SJ_SK_mSL_SN_bEUlT_E_NS1_11comp_targetILNS1_3genE3ELNS1_11target_archE908ELNS1_3gpuE7ELNS1_3repE0EEENS1_30default_config_static_selectorELNS0_4arch9wavefront6targetE1EEEvT1_,"axG",@progbits,_ZN7rocprim17ROCPRIM_400000_NS6detail17trampoline_kernelINS0_14default_configENS1_25transform_config_selectorIfLb0EEEZNS1_14transform_implILb0ES3_S5_NS0_18transform_iteratorINS0_17counting_iteratorImlEEZNS1_24adjacent_difference_implIS3_Lb1ELb0EPfSB_N6thrust23THRUST_200600_302600_NS5minusIfEEEE10hipError_tPvRmT2_T3_mT4_P12ihipStream_tbEUlmE_fEESB_NS0_8identityIvEEEESG_SJ_SK_mSL_SN_bEUlT_E_NS1_11comp_targetILNS1_3genE3ELNS1_11target_archE908ELNS1_3gpuE7ELNS1_3repE0EEENS1_30default_config_static_selectorELNS0_4arch9wavefront6targetE1EEEvT1_,comdat
.Lfunc_end164:
	.size	_ZN7rocprim17ROCPRIM_400000_NS6detail17trampoline_kernelINS0_14default_configENS1_25transform_config_selectorIfLb0EEEZNS1_14transform_implILb0ES3_S5_NS0_18transform_iteratorINS0_17counting_iteratorImlEEZNS1_24adjacent_difference_implIS3_Lb1ELb0EPfSB_N6thrust23THRUST_200600_302600_NS5minusIfEEEE10hipError_tPvRmT2_T3_mT4_P12ihipStream_tbEUlmE_fEESB_NS0_8identityIvEEEESG_SJ_SK_mSL_SN_bEUlT_E_NS1_11comp_targetILNS1_3genE3ELNS1_11target_archE908ELNS1_3gpuE7ELNS1_3repE0EEENS1_30default_config_static_selectorELNS0_4arch9wavefront6targetE1EEEvT1_, .Lfunc_end164-_ZN7rocprim17ROCPRIM_400000_NS6detail17trampoline_kernelINS0_14default_configENS1_25transform_config_selectorIfLb0EEEZNS1_14transform_implILb0ES3_S5_NS0_18transform_iteratorINS0_17counting_iteratorImlEEZNS1_24adjacent_difference_implIS3_Lb1ELb0EPfSB_N6thrust23THRUST_200600_302600_NS5minusIfEEEE10hipError_tPvRmT2_T3_mT4_P12ihipStream_tbEUlmE_fEESB_NS0_8identityIvEEEESG_SJ_SK_mSL_SN_bEUlT_E_NS1_11comp_targetILNS1_3genE3ELNS1_11target_archE908ELNS1_3gpuE7ELNS1_3repE0EEENS1_30default_config_static_selectorELNS0_4arch9wavefront6targetE1EEEvT1_
                                        ; -- End function
	.section	.AMDGPU.csdata,"",@progbits
; Kernel info:
; codeLenInByte = 0
; NumSgprs: 4
; NumVgprs: 0
; NumAgprs: 0
; TotalNumVgprs: 0
; ScratchSize: 0
; MemoryBound: 0
; FloatMode: 240
; IeeeMode: 1
; LDSByteSize: 0 bytes/workgroup (compile time only)
; SGPRBlocks: 0
; VGPRBlocks: 0
; NumSGPRsForWavesPerEU: 4
; NumVGPRsForWavesPerEU: 1
; AccumOffset: 4
; Occupancy: 8
; WaveLimiterHint : 0
; COMPUTE_PGM_RSRC2:SCRATCH_EN: 0
; COMPUTE_PGM_RSRC2:USER_SGPR: 6
; COMPUTE_PGM_RSRC2:TRAP_HANDLER: 0
; COMPUTE_PGM_RSRC2:TGID_X_EN: 1
; COMPUTE_PGM_RSRC2:TGID_Y_EN: 0
; COMPUTE_PGM_RSRC2:TGID_Z_EN: 0
; COMPUTE_PGM_RSRC2:TIDIG_COMP_CNT: 0
; COMPUTE_PGM_RSRC3_GFX90A:ACCUM_OFFSET: 0
; COMPUTE_PGM_RSRC3_GFX90A:TG_SPLIT: 0
	.section	.text._ZN7rocprim17ROCPRIM_400000_NS6detail17trampoline_kernelINS0_14default_configENS1_25transform_config_selectorIfLb0EEEZNS1_14transform_implILb0ES3_S5_NS0_18transform_iteratorINS0_17counting_iteratorImlEEZNS1_24adjacent_difference_implIS3_Lb1ELb0EPfSB_N6thrust23THRUST_200600_302600_NS5minusIfEEEE10hipError_tPvRmT2_T3_mT4_P12ihipStream_tbEUlmE_fEESB_NS0_8identityIvEEEESG_SJ_SK_mSL_SN_bEUlT_E_NS1_11comp_targetILNS1_3genE2ELNS1_11target_archE906ELNS1_3gpuE6ELNS1_3repE0EEENS1_30default_config_static_selectorELNS0_4arch9wavefront6targetE1EEEvT1_,"axG",@progbits,_ZN7rocprim17ROCPRIM_400000_NS6detail17trampoline_kernelINS0_14default_configENS1_25transform_config_selectorIfLb0EEEZNS1_14transform_implILb0ES3_S5_NS0_18transform_iteratorINS0_17counting_iteratorImlEEZNS1_24adjacent_difference_implIS3_Lb1ELb0EPfSB_N6thrust23THRUST_200600_302600_NS5minusIfEEEE10hipError_tPvRmT2_T3_mT4_P12ihipStream_tbEUlmE_fEESB_NS0_8identityIvEEEESG_SJ_SK_mSL_SN_bEUlT_E_NS1_11comp_targetILNS1_3genE2ELNS1_11target_archE906ELNS1_3gpuE6ELNS1_3repE0EEENS1_30default_config_static_selectorELNS0_4arch9wavefront6targetE1EEEvT1_,comdat
	.protected	_ZN7rocprim17ROCPRIM_400000_NS6detail17trampoline_kernelINS0_14default_configENS1_25transform_config_selectorIfLb0EEEZNS1_14transform_implILb0ES3_S5_NS0_18transform_iteratorINS0_17counting_iteratorImlEEZNS1_24adjacent_difference_implIS3_Lb1ELb0EPfSB_N6thrust23THRUST_200600_302600_NS5minusIfEEEE10hipError_tPvRmT2_T3_mT4_P12ihipStream_tbEUlmE_fEESB_NS0_8identityIvEEEESG_SJ_SK_mSL_SN_bEUlT_E_NS1_11comp_targetILNS1_3genE2ELNS1_11target_archE906ELNS1_3gpuE6ELNS1_3repE0EEENS1_30default_config_static_selectorELNS0_4arch9wavefront6targetE1EEEvT1_ ; -- Begin function _ZN7rocprim17ROCPRIM_400000_NS6detail17trampoline_kernelINS0_14default_configENS1_25transform_config_selectorIfLb0EEEZNS1_14transform_implILb0ES3_S5_NS0_18transform_iteratorINS0_17counting_iteratorImlEEZNS1_24adjacent_difference_implIS3_Lb1ELb0EPfSB_N6thrust23THRUST_200600_302600_NS5minusIfEEEE10hipError_tPvRmT2_T3_mT4_P12ihipStream_tbEUlmE_fEESB_NS0_8identityIvEEEESG_SJ_SK_mSL_SN_bEUlT_E_NS1_11comp_targetILNS1_3genE2ELNS1_11target_archE906ELNS1_3gpuE6ELNS1_3repE0EEENS1_30default_config_static_selectorELNS0_4arch9wavefront6targetE1EEEvT1_
	.globl	_ZN7rocprim17ROCPRIM_400000_NS6detail17trampoline_kernelINS0_14default_configENS1_25transform_config_selectorIfLb0EEEZNS1_14transform_implILb0ES3_S5_NS0_18transform_iteratorINS0_17counting_iteratorImlEEZNS1_24adjacent_difference_implIS3_Lb1ELb0EPfSB_N6thrust23THRUST_200600_302600_NS5minusIfEEEE10hipError_tPvRmT2_T3_mT4_P12ihipStream_tbEUlmE_fEESB_NS0_8identityIvEEEESG_SJ_SK_mSL_SN_bEUlT_E_NS1_11comp_targetILNS1_3genE2ELNS1_11target_archE906ELNS1_3gpuE6ELNS1_3repE0EEENS1_30default_config_static_selectorELNS0_4arch9wavefront6targetE1EEEvT1_
	.p2align	8
	.type	_ZN7rocprim17ROCPRIM_400000_NS6detail17trampoline_kernelINS0_14default_configENS1_25transform_config_selectorIfLb0EEEZNS1_14transform_implILb0ES3_S5_NS0_18transform_iteratorINS0_17counting_iteratorImlEEZNS1_24adjacent_difference_implIS3_Lb1ELb0EPfSB_N6thrust23THRUST_200600_302600_NS5minusIfEEEE10hipError_tPvRmT2_T3_mT4_P12ihipStream_tbEUlmE_fEESB_NS0_8identityIvEEEESG_SJ_SK_mSL_SN_bEUlT_E_NS1_11comp_targetILNS1_3genE2ELNS1_11target_archE906ELNS1_3gpuE6ELNS1_3repE0EEENS1_30default_config_static_selectorELNS0_4arch9wavefront6targetE1EEEvT1_,@function
_ZN7rocprim17ROCPRIM_400000_NS6detail17trampoline_kernelINS0_14default_configENS1_25transform_config_selectorIfLb0EEEZNS1_14transform_implILb0ES3_S5_NS0_18transform_iteratorINS0_17counting_iteratorImlEEZNS1_24adjacent_difference_implIS3_Lb1ELb0EPfSB_N6thrust23THRUST_200600_302600_NS5minusIfEEEE10hipError_tPvRmT2_T3_mT4_P12ihipStream_tbEUlmE_fEESB_NS0_8identityIvEEEESG_SJ_SK_mSL_SN_bEUlT_E_NS1_11comp_targetILNS1_3genE2ELNS1_11target_archE906ELNS1_3gpuE6ELNS1_3repE0EEENS1_30default_config_static_selectorELNS0_4arch9wavefront6targetE1EEEvT1_: ; @_ZN7rocprim17ROCPRIM_400000_NS6detail17trampoline_kernelINS0_14default_configENS1_25transform_config_selectorIfLb0EEEZNS1_14transform_implILb0ES3_S5_NS0_18transform_iteratorINS0_17counting_iteratorImlEEZNS1_24adjacent_difference_implIS3_Lb1ELb0EPfSB_N6thrust23THRUST_200600_302600_NS5minusIfEEEE10hipError_tPvRmT2_T3_mT4_P12ihipStream_tbEUlmE_fEESB_NS0_8identityIvEEEESG_SJ_SK_mSL_SN_bEUlT_E_NS1_11comp_targetILNS1_3genE2ELNS1_11target_archE906ELNS1_3gpuE6ELNS1_3repE0EEENS1_30default_config_static_selectorELNS0_4arch9wavefront6targetE1EEEvT1_
; %bb.0:
	.section	.rodata,"a",@progbits
	.p2align	6, 0x0
	.amdhsa_kernel _ZN7rocprim17ROCPRIM_400000_NS6detail17trampoline_kernelINS0_14default_configENS1_25transform_config_selectorIfLb0EEEZNS1_14transform_implILb0ES3_S5_NS0_18transform_iteratorINS0_17counting_iteratorImlEEZNS1_24adjacent_difference_implIS3_Lb1ELb0EPfSB_N6thrust23THRUST_200600_302600_NS5minusIfEEEE10hipError_tPvRmT2_T3_mT4_P12ihipStream_tbEUlmE_fEESB_NS0_8identityIvEEEESG_SJ_SK_mSL_SN_bEUlT_E_NS1_11comp_targetILNS1_3genE2ELNS1_11target_archE906ELNS1_3gpuE6ELNS1_3repE0EEENS1_30default_config_static_selectorELNS0_4arch9wavefront6targetE1EEEvT1_
		.amdhsa_group_segment_fixed_size 0
		.amdhsa_private_segment_fixed_size 0
		.amdhsa_kernarg_size 56
		.amdhsa_user_sgpr_count 6
		.amdhsa_user_sgpr_private_segment_buffer 1
		.amdhsa_user_sgpr_dispatch_ptr 0
		.amdhsa_user_sgpr_queue_ptr 0
		.amdhsa_user_sgpr_kernarg_segment_ptr 1
		.amdhsa_user_sgpr_dispatch_id 0
		.amdhsa_user_sgpr_flat_scratch_init 0
		.amdhsa_user_sgpr_kernarg_preload_length 0
		.amdhsa_user_sgpr_kernarg_preload_offset 0
		.amdhsa_user_sgpr_private_segment_size 0
		.amdhsa_uses_dynamic_stack 0
		.amdhsa_system_sgpr_private_segment_wavefront_offset 0
		.amdhsa_system_sgpr_workgroup_id_x 1
		.amdhsa_system_sgpr_workgroup_id_y 0
		.amdhsa_system_sgpr_workgroup_id_z 0
		.amdhsa_system_sgpr_workgroup_info 0
		.amdhsa_system_vgpr_workitem_id 0
		.amdhsa_next_free_vgpr 1
		.amdhsa_next_free_sgpr 0
		.amdhsa_accum_offset 4
		.amdhsa_reserve_vcc 0
		.amdhsa_reserve_flat_scratch 0
		.amdhsa_float_round_mode_32 0
		.amdhsa_float_round_mode_16_64 0
		.amdhsa_float_denorm_mode_32 3
		.amdhsa_float_denorm_mode_16_64 3
		.amdhsa_dx10_clamp 1
		.amdhsa_ieee_mode 1
		.amdhsa_fp16_overflow 0
		.amdhsa_tg_split 0
		.amdhsa_exception_fp_ieee_invalid_op 0
		.amdhsa_exception_fp_denorm_src 0
		.amdhsa_exception_fp_ieee_div_zero 0
		.amdhsa_exception_fp_ieee_overflow 0
		.amdhsa_exception_fp_ieee_underflow 0
		.amdhsa_exception_fp_ieee_inexact 0
		.amdhsa_exception_int_div_zero 0
	.end_amdhsa_kernel
	.section	.text._ZN7rocprim17ROCPRIM_400000_NS6detail17trampoline_kernelINS0_14default_configENS1_25transform_config_selectorIfLb0EEEZNS1_14transform_implILb0ES3_S5_NS0_18transform_iteratorINS0_17counting_iteratorImlEEZNS1_24adjacent_difference_implIS3_Lb1ELb0EPfSB_N6thrust23THRUST_200600_302600_NS5minusIfEEEE10hipError_tPvRmT2_T3_mT4_P12ihipStream_tbEUlmE_fEESB_NS0_8identityIvEEEESG_SJ_SK_mSL_SN_bEUlT_E_NS1_11comp_targetILNS1_3genE2ELNS1_11target_archE906ELNS1_3gpuE6ELNS1_3repE0EEENS1_30default_config_static_selectorELNS0_4arch9wavefront6targetE1EEEvT1_,"axG",@progbits,_ZN7rocprim17ROCPRIM_400000_NS6detail17trampoline_kernelINS0_14default_configENS1_25transform_config_selectorIfLb0EEEZNS1_14transform_implILb0ES3_S5_NS0_18transform_iteratorINS0_17counting_iteratorImlEEZNS1_24adjacent_difference_implIS3_Lb1ELb0EPfSB_N6thrust23THRUST_200600_302600_NS5minusIfEEEE10hipError_tPvRmT2_T3_mT4_P12ihipStream_tbEUlmE_fEESB_NS0_8identityIvEEEESG_SJ_SK_mSL_SN_bEUlT_E_NS1_11comp_targetILNS1_3genE2ELNS1_11target_archE906ELNS1_3gpuE6ELNS1_3repE0EEENS1_30default_config_static_selectorELNS0_4arch9wavefront6targetE1EEEvT1_,comdat
.Lfunc_end165:
	.size	_ZN7rocprim17ROCPRIM_400000_NS6detail17trampoline_kernelINS0_14default_configENS1_25transform_config_selectorIfLb0EEEZNS1_14transform_implILb0ES3_S5_NS0_18transform_iteratorINS0_17counting_iteratorImlEEZNS1_24adjacent_difference_implIS3_Lb1ELb0EPfSB_N6thrust23THRUST_200600_302600_NS5minusIfEEEE10hipError_tPvRmT2_T3_mT4_P12ihipStream_tbEUlmE_fEESB_NS0_8identityIvEEEESG_SJ_SK_mSL_SN_bEUlT_E_NS1_11comp_targetILNS1_3genE2ELNS1_11target_archE906ELNS1_3gpuE6ELNS1_3repE0EEENS1_30default_config_static_selectorELNS0_4arch9wavefront6targetE1EEEvT1_, .Lfunc_end165-_ZN7rocprim17ROCPRIM_400000_NS6detail17trampoline_kernelINS0_14default_configENS1_25transform_config_selectorIfLb0EEEZNS1_14transform_implILb0ES3_S5_NS0_18transform_iteratorINS0_17counting_iteratorImlEEZNS1_24adjacent_difference_implIS3_Lb1ELb0EPfSB_N6thrust23THRUST_200600_302600_NS5minusIfEEEE10hipError_tPvRmT2_T3_mT4_P12ihipStream_tbEUlmE_fEESB_NS0_8identityIvEEEESG_SJ_SK_mSL_SN_bEUlT_E_NS1_11comp_targetILNS1_3genE2ELNS1_11target_archE906ELNS1_3gpuE6ELNS1_3repE0EEENS1_30default_config_static_selectorELNS0_4arch9wavefront6targetE1EEEvT1_
                                        ; -- End function
	.section	.AMDGPU.csdata,"",@progbits
; Kernel info:
; codeLenInByte = 0
; NumSgprs: 4
; NumVgprs: 0
; NumAgprs: 0
; TotalNumVgprs: 0
; ScratchSize: 0
; MemoryBound: 0
; FloatMode: 240
; IeeeMode: 1
; LDSByteSize: 0 bytes/workgroup (compile time only)
; SGPRBlocks: 0
; VGPRBlocks: 0
; NumSGPRsForWavesPerEU: 4
; NumVGPRsForWavesPerEU: 1
; AccumOffset: 4
; Occupancy: 8
; WaveLimiterHint : 0
; COMPUTE_PGM_RSRC2:SCRATCH_EN: 0
; COMPUTE_PGM_RSRC2:USER_SGPR: 6
; COMPUTE_PGM_RSRC2:TRAP_HANDLER: 0
; COMPUTE_PGM_RSRC2:TGID_X_EN: 1
; COMPUTE_PGM_RSRC2:TGID_Y_EN: 0
; COMPUTE_PGM_RSRC2:TGID_Z_EN: 0
; COMPUTE_PGM_RSRC2:TIDIG_COMP_CNT: 0
; COMPUTE_PGM_RSRC3_GFX90A:ACCUM_OFFSET: 0
; COMPUTE_PGM_RSRC3_GFX90A:TG_SPLIT: 0
	.section	.text._ZN7rocprim17ROCPRIM_400000_NS6detail17trampoline_kernelINS0_14default_configENS1_25transform_config_selectorIfLb0EEEZNS1_14transform_implILb0ES3_S5_NS0_18transform_iteratorINS0_17counting_iteratorImlEEZNS1_24adjacent_difference_implIS3_Lb1ELb0EPfSB_N6thrust23THRUST_200600_302600_NS5minusIfEEEE10hipError_tPvRmT2_T3_mT4_P12ihipStream_tbEUlmE_fEESB_NS0_8identityIvEEEESG_SJ_SK_mSL_SN_bEUlT_E_NS1_11comp_targetILNS1_3genE10ELNS1_11target_archE1201ELNS1_3gpuE5ELNS1_3repE0EEENS1_30default_config_static_selectorELNS0_4arch9wavefront6targetE1EEEvT1_,"axG",@progbits,_ZN7rocprim17ROCPRIM_400000_NS6detail17trampoline_kernelINS0_14default_configENS1_25transform_config_selectorIfLb0EEEZNS1_14transform_implILb0ES3_S5_NS0_18transform_iteratorINS0_17counting_iteratorImlEEZNS1_24adjacent_difference_implIS3_Lb1ELb0EPfSB_N6thrust23THRUST_200600_302600_NS5minusIfEEEE10hipError_tPvRmT2_T3_mT4_P12ihipStream_tbEUlmE_fEESB_NS0_8identityIvEEEESG_SJ_SK_mSL_SN_bEUlT_E_NS1_11comp_targetILNS1_3genE10ELNS1_11target_archE1201ELNS1_3gpuE5ELNS1_3repE0EEENS1_30default_config_static_selectorELNS0_4arch9wavefront6targetE1EEEvT1_,comdat
	.protected	_ZN7rocprim17ROCPRIM_400000_NS6detail17trampoline_kernelINS0_14default_configENS1_25transform_config_selectorIfLb0EEEZNS1_14transform_implILb0ES3_S5_NS0_18transform_iteratorINS0_17counting_iteratorImlEEZNS1_24adjacent_difference_implIS3_Lb1ELb0EPfSB_N6thrust23THRUST_200600_302600_NS5minusIfEEEE10hipError_tPvRmT2_T3_mT4_P12ihipStream_tbEUlmE_fEESB_NS0_8identityIvEEEESG_SJ_SK_mSL_SN_bEUlT_E_NS1_11comp_targetILNS1_3genE10ELNS1_11target_archE1201ELNS1_3gpuE5ELNS1_3repE0EEENS1_30default_config_static_selectorELNS0_4arch9wavefront6targetE1EEEvT1_ ; -- Begin function _ZN7rocprim17ROCPRIM_400000_NS6detail17trampoline_kernelINS0_14default_configENS1_25transform_config_selectorIfLb0EEEZNS1_14transform_implILb0ES3_S5_NS0_18transform_iteratorINS0_17counting_iteratorImlEEZNS1_24adjacent_difference_implIS3_Lb1ELb0EPfSB_N6thrust23THRUST_200600_302600_NS5minusIfEEEE10hipError_tPvRmT2_T3_mT4_P12ihipStream_tbEUlmE_fEESB_NS0_8identityIvEEEESG_SJ_SK_mSL_SN_bEUlT_E_NS1_11comp_targetILNS1_3genE10ELNS1_11target_archE1201ELNS1_3gpuE5ELNS1_3repE0EEENS1_30default_config_static_selectorELNS0_4arch9wavefront6targetE1EEEvT1_
	.globl	_ZN7rocprim17ROCPRIM_400000_NS6detail17trampoline_kernelINS0_14default_configENS1_25transform_config_selectorIfLb0EEEZNS1_14transform_implILb0ES3_S5_NS0_18transform_iteratorINS0_17counting_iteratorImlEEZNS1_24adjacent_difference_implIS3_Lb1ELb0EPfSB_N6thrust23THRUST_200600_302600_NS5minusIfEEEE10hipError_tPvRmT2_T3_mT4_P12ihipStream_tbEUlmE_fEESB_NS0_8identityIvEEEESG_SJ_SK_mSL_SN_bEUlT_E_NS1_11comp_targetILNS1_3genE10ELNS1_11target_archE1201ELNS1_3gpuE5ELNS1_3repE0EEENS1_30default_config_static_selectorELNS0_4arch9wavefront6targetE1EEEvT1_
	.p2align	8
	.type	_ZN7rocprim17ROCPRIM_400000_NS6detail17trampoline_kernelINS0_14default_configENS1_25transform_config_selectorIfLb0EEEZNS1_14transform_implILb0ES3_S5_NS0_18transform_iteratorINS0_17counting_iteratorImlEEZNS1_24adjacent_difference_implIS3_Lb1ELb0EPfSB_N6thrust23THRUST_200600_302600_NS5minusIfEEEE10hipError_tPvRmT2_T3_mT4_P12ihipStream_tbEUlmE_fEESB_NS0_8identityIvEEEESG_SJ_SK_mSL_SN_bEUlT_E_NS1_11comp_targetILNS1_3genE10ELNS1_11target_archE1201ELNS1_3gpuE5ELNS1_3repE0EEENS1_30default_config_static_selectorELNS0_4arch9wavefront6targetE1EEEvT1_,@function
_ZN7rocprim17ROCPRIM_400000_NS6detail17trampoline_kernelINS0_14default_configENS1_25transform_config_selectorIfLb0EEEZNS1_14transform_implILb0ES3_S5_NS0_18transform_iteratorINS0_17counting_iteratorImlEEZNS1_24adjacent_difference_implIS3_Lb1ELb0EPfSB_N6thrust23THRUST_200600_302600_NS5minusIfEEEE10hipError_tPvRmT2_T3_mT4_P12ihipStream_tbEUlmE_fEESB_NS0_8identityIvEEEESG_SJ_SK_mSL_SN_bEUlT_E_NS1_11comp_targetILNS1_3genE10ELNS1_11target_archE1201ELNS1_3gpuE5ELNS1_3repE0EEENS1_30default_config_static_selectorELNS0_4arch9wavefront6targetE1EEEvT1_: ; @_ZN7rocprim17ROCPRIM_400000_NS6detail17trampoline_kernelINS0_14default_configENS1_25transform_config_selectorIfLb0EEEZNS1_14transform_implILb0ES3_S5_NS0_18transform_iteratorINS0_17counting_iteratorImlEEZNS1_24adjacent_difference_implIS3_Lb1ELb0EPfSB_N6thrust23THRUST_200600_302600_NS5minusIfEEEE10hipError_tPvRmT2_T3_mT4_P12ihipStream_tbEUlmE_fEESB_NS0_8identityIvEEEESG_SJ_SK_mSL_SN_bEUlT_E_NS1_11comp_targetILNS1_3genE10ELNS1_11target_archE1201ELNS1_3gpuE5ELNS1_3repE0EEENS1_30default_config_static_selectorELNS0_4arch9wavefront6targetE1EEEvT1_
; %bb.0:
	.section	.rodata,"a",@progbits
	.p2align	6, 0x0
	.amdhsa_kernel _ZN7rocprim17ROCPRIM_400000_NS6detail17trampoline_kernelINS0_14default_configENS1_25transform_config_selectorIfLb0EEEZNS1_14transform_implILb0ES3_S5_NS0_18transform_iteratorINS0_17counting_iteratorImlEEZNS1_24adjacent_difference_implIS3_Lb1ELb0EPfSB_N6thrust23THRUST_200600_302600_NS5minusIfEEEE10hipError_tPvRmT2_T3_mT4_P12ihipStream_tbEUlmE_fEESB_NS0_8identityIvEEEESG_SJ_SK_mSL_SN_bEUlT_E_NS1_11comp_targetILNS1_3genE10ELNS1_11target_archE1201ELNS1_3gpuE5ELNS1_3repE0EEENS1_30default_config_static_selectorELNS0_4arch9wavefront6targetE1EEEvT1_
		.amdhsa_group_segment_fixed_size 0
		.amdhsa_private_segment_fixed_size 0
		.amdhsa_kernarg_size 56
		.amdhsa_user_sgpr_count 6
		.amdhsa_user_sgpr_private_segment_buffer 1
		.amdhsa_user_sgpr_dispatch_ptr 0
		.amdhsa_user_sgpr_queue_ptr 0
		.amdhsa_user_sgpr_kernarg_segment_ptr 1
		.amdhsa_user_sgpr_dispatch_id 0
		.amdhsa_user_sgpr_flat_scratch_init 0
		.amdhsa_user_sgpr_kernarg_preload_length 0
		.amdhsa_user_sgpr_kernarg_preload_offset 0
		.amdhsa_user_sgpr_private_segment_size 0
		.amdhsa_uses_dynamic_stack 0
		.amdhsa_system_sgpr_private_segment_wavefront_offset 0
		.amdhsa_system_sgpr_workgroup_id_x 1
		.amdhsa_system_sgpr_workgroup_id_y 0
		.amdhsa_system_sgpr_workgroup_id_z 0
		.amdhsa_system_sgpr_workgroup_info 0
		.amdhsa_system_vgpr_workitem_id 0
		.amdhsa_next_free_vgpr 1
		.amdhsa_next_free_sgpr 0
		.amdhsa_accum_offset 4
		.amdhsa_reserve_vcc 0
		.amdhsa_reserve_flat_scratch 0
		.amdhsa_float_round_mode_32 0
		.amdhsa_float_round_mode_16_64 0
		.amdhsa_float_denorm_mode_32 3
		.amdhsa_float_denorm_mode_16_64 3
		.amdhsa_dx10_clamp 1
		.amdhsa_ieee_mode 1
		.amdhsa_fp16_overflow 0
		.amdhsa_tg_split 0
		.amdhsa_exception_fp_ieee_invalid_op 0
		.amdhsa_exception_fp_denorm_src 0
		.amdhsa_exception_fp_ieee_div_zero 0
		.amdhsa_exception_fp_ieee_overflow 0
		.amdhsa_exception_fp_ieee_underflow 0
		.amdhsa_exception_fp_ieee_inexact 0
		.amdhsa_exception_int_div_zero 0
	.end_amdhsa_kernel
	.section	.text._ZN7rocprim17ROCPRIM_400000_NS6detail17trampoline_kernelINS0_14default_configENS1_25transform_config_selectorIfLb0EEEZNS1_14transform_implILb0ES3_S5_NS0_18transform_iteratorINS0_17counting_iteratorImlEEZNS1_24adjacent_difference_implIS3_Lb1ELb0EPfSB_N6thrust23THRUST_200600_302600_NS5minusIfEEEE10hipError_tPvRmT2_T3_mT4_P12ihipStream_tbEUlmE_fEESB_NS0_8identityIvEEEESG_SJ_SK_mSL_SN_bEUlT_E_NS1_11comp_targetILNS1_3genE10ELNS1_11target_archE1201ELNS1_3gpuE5ELNS1_3repE0EEENS1_30default_config_static_selectorELNS0_4arch9wavefront6targetE1EEEvT1_,"axG",@progbits,_ZN7rocprim17ROCPRIM_400000_NS6detail17trampoline_kernelINS0_14default_configENS1_25transform_config_selectorIfLb0EEEZNS1_14transform_implILb0ES3_S5_NS0_18transform_iteratorINS0_17counting_iteratorImlEEZNS1_24adjacent_difference_implIS3_Lb1ELb0EPfSB_N6thrust23THRUST_200600_302600_NS5minusIfEEEE10hipError_tPvRmT2_T3_mT4_P12ihipStream_tbEUlmE_fEESB_NS0_8identityIvEEEESG_SJ_SK_mSL_SN_bEUlT_E_NS1_11comp_targetILNS1_3genE10ELNS1_11target_archE1201ELNS1_3gpuE5ELNS1_3repE0EEENS1_30default_config_static_selectorELNS0_4arch9wavefront6targetE1EEEvT1_,comdat
.Lfunc_end166:
	.size	_ZN7rocprim17ROCPRIM_400000_NS6detail17trampoline_kernelINS0_14default_configENS1_25transform_config_selectorIfLb0EEEZNS1_14transform_implILb0ES3_S5_NS0_18transform_iteratorINS0_17counting_iteratorImlEEZNS1_24adjacent_difference_implIS3_Lb1ELb0EPfSB_N6thrust23THRUST_200600_302600_NS5minusIfEEEE10hipError_tPvRmT2_T3_mT4_P12ihipStream_tbEUlmE_fEESB_NS0_8identityIvEEEESG_SJ_SK_mSL_SN_bEUlT_E_NS1_11comp_targetILNS1_3genE10ELNS1_11target_archE1201ELNS1_3gpuE5ELNS1_3repE0EEENS1_30default_config_static_selectorELNS0_4arch9wavefront6targetE1EEEvT1_, .Lfunc_end166-_ZN7rocprim17ROCPRIM_400000_NS6detail17trampoline_kernelINS0_14default_configENS1_25transform_config_selectorIfLb0EEEZNS1_14transform_implILb0ES3_S5_NS0_18transform_iteratorINS0_17counting_iteratorImlEEZNS1_24adjacent_difference_implIS3_Lb1ELb0EPfSB_N6thrust23THRUST_200600_302600_NS5minusIfEEEE10hipError_tPvRmT2_T3_mT4_P12ihipStream_tbEUlmE_fEESB_NS0_8identityIvEEEESG_SJ_SK_mSL_SN_bEUlT_E_NS1_11comp_targetILNS1_3genE10ELNS1_11target_archE1201ELNS1_3gpuE5ELNS1_3repE0EEENS1_30default_config_static_selectorELNS0_4arch9wavefront6targetE1EEEvT1_
                                        ; -- End function
	.section	.AMDGPU.csdata,"",@progbits
; Kernel info:
; codeLenInByte = 0
; NumSgprs: 4
; NumVgprs: 0
; NumAgprs: 0
; TotalNumVgprs: 0
; ScratchSize: 0
; MemoryBound: 0
; FloatMode: 240
; IeeeMode: 1
; LDSByteSize: 0 bytes/workgroup (compile time only)
; SGPRBlocks: 0
; VGPRBlocks: 0
; NumSGPRsForWavesPerEU: 4
; NumVGPRsForWavesPerEU: 1
; AccumOffset: 4
; Occupancy: 8
; WaveLimiterHint : 0
; COMPUTE_PGM_RSRC2:SCRATCH_EN: 0
; COMPUTE_PGM_RSRC2:USER_SGPR: 6
; COMPUTE_PGM_RSRC2:TRAP_HANDLER: 0
; COMPUTE_PGM_RSRC2:TGID_X_EN: 1
; COMPUTE_PGM_RSRC2:TGID_Y_EN: 0
; COMPUTE_PGM_RSRC2:TGID_Z_EN: 0
; COMPUTE_PGM_RSRC2:TIDIG_COMP_CNT: 0
; COMPUTE_PGM_RSRC3_GFX90A:ACCUM_OFFSET: 0
; COMPUTE_PGM_RSRC3_GFX90A:TG_SPLIT: 0
	.section	.text._ZN7rocprim17ROCPRIM_400000_NS6detail17trampoline_kernelINS0_14default_configENS1_25transform_config_selectorIfLb0EEEZNS1_14transform_implILb0ES3_S5_NS0_18transform_iteratorINS0_17counting_iteratorImlEEZNS1_24adjacent_difference_implIS3_Lb1ELb0EPfSB_N6thrust23THRUST_200600_302600_NS5minusIfEEEE10hipError_tPvRmT2_T3_mT4_P12ihipStream_tbEUlmE_fEESB_NS0_8identityIvEEEESG_SJ_SK_mSL_SN_bEUlT_E_NS1_11comp_targetILNS1_3genE10ELNS1_11target_archE1200ELNS1_3gpuE4ELNS1_3repE0EEENS1_30default_config_static_selectorELNS0_4arch9wavefront6targetE1EEEvT1_,"axG",@progbits,_ZN7rocprim17ROCPRIM_400000_NS6detail17trampoline_kernelINS0_14default_configENS1_25transform_config_selectorIfLb0EEEZNS1_14transform_implILb0ES3_S5_NS0_18transform_iteratorINS0_17counting_iteratorImlEEZNS1_24adjacent_difference_implIS3_Lb1ELb0EPfSB_N6thrust23THRUST_200600_302600_NS5minusIfEEEE10hipError_tPvRmT2_T3_mT4_P12ihipStream_tbEUlmE_fEESB_NS0_8identityIvEEEESG_SJ_SK_mSL_SN_bEUlT_E_NS1_11comp_targetILNS1_3genE10ELNS1_11target_archE1200ELNS1_3gpuE4ELNS1_3repE0EEENS1_30default_config_static_selectorELNS0_4arch9wavefront6targetE1EEEvT1_,comdat
	.protected	_ZN7rocprim17ROCPRIM_400000_NS6detail17trampoline_kernelINS0_14default_configENS1_25transform_config_selectorIfLb0EEEZNS1_14transform_implILb0ES3_S5_NS0_18transform_iteratorINS0_17counting_iteratorImlEEZNS1_24adjacent_difference_implIS3_Lb1ELb0EPfSB_N6thrust23THRUST_200600_302600_NS5minusIfEEEE10hipError_tPvRmT2_T3_mT4_P12ihipStream_tbEUlmE_fEESB_NS0_8identityIvEEEESG_SJ_SK_mSL_SN_bEUlT_E_NS1_11comp_targetILNS1_3genE10ELNS1_11target_archE1200ELNS1_3gpuE4ELNS1_3repE0EEENS1_30default_config_static_selectorELNS0_4arch9wavefront6targetE1EEEvT1_ ; -- Begin function _ZN7rocprim17ROCPRIM_400000_NS6detail17trampoline_kernelINS0_14default_configENS1_25transform_config_selectorIfLb0EEEZNS1_14transform_implILb0ES3_S5_NS0_18transform_iteratorINS0_17counting_iteratorImlEEZNS1_24adjacent_difference_implIS3_Lb1ELb0EPfSB_N6thrust23THRUST_200600_302600_NS5minusIfEEEE10hipError_tPvRmT2_T3_mT4_P12ihipStream_tbEUlmE_fEESB_NS0_8identityIvEEEESG_SJ_SK_mSL_SN_bEUlT_E_NS1_11comp_targetILNS1_3genE10ELNS1_11target_archE1200ELNS1_3gpuE4ELNS1_3repE0EEENS1_30default_config_static_selectorELNS0_4arch9wavefront6targetE1EEEvT1_
	.globl	_ZN7rocprim17ROCPRIM_400000_NS6detail17trampoline_kernelINS0_14default_configENS1_25transform_config_selectorIfLb0EEEZNS1_14transform_implILb0ES3_S5_NS0_18transform_iteratorINS0_17counting_iteratorImlEEZNS1_24adjacent_difference_implIS3_Lb1ELb0EPfSB_N6thrust23THRUST_200600_302600_NS5minusIfEEEE10hipError_tPvRmT2_T3_mT4_P12ihipStream_tbEUlmE_fEESB_NS0_8identityIvEEEESG_SJ_SK_mSL_SN_bEUlT_E_NS1_11comp_targetILNS1_3genE10ELNS1_11target_archE1200ELNS1_3gpuE4ELNS1_3repE0EEENS1_30default_config_static_selectorELNS0_4arch9wavefront6targetE1EEEvT1_
	.p2align	8
	.type	_ZN7rocprim17ROCPRIM_400000_NS6detail17trampoline_kernelINS0_14default_configENS1_25transform_config_selectorIfLb0EEEZNS1_14transform_implILb0ES3_S5_NS0_18transform_iteratorINS0_17counting_iteratorImlEEZNS1_24adjacent_difference_implIS3_Lb1ELb0EPfSB_N6thrust23THRUST_200600_302600_NS5minusIfEEEE10hipError_tPvRmT2_T3_mT4_P12ihipStream_tbEUlmE_fEESB_NS0_8identityIvEEEESG_SJ_SK_mSL_SN_bEUlT_E_NS1_11comp_targetILNS1_3genE10ELNS1_11target_archE1200ELNS1_3gpuE4ELNS1_3repE0EEENS1_30default_config_static_selectorELNS0_4arch9wavefront6targetE1EEEvT1_,@function
_ZN7rocprim17ROCPRIM_400000_NS6detail17trampoline_kernelINS0_14default_configENS1_25transform_config_selectorIfLb0EEEZNS1_14transform_implILb0ES3_S5_NS0_18transform_iteratorINS0_17counting_iteratorImlEEZNS1_24adjacent_difference_implIS3_Lb1ELb0EPfSB_N6thrust23THRUST_200600_302600_NS5minusIfEEEE10hipError_tPvRmT2_T3_mT4_P12ihipStream_tbEUlmE_fEESB_NS0_8identityIvEEEESG_SJ_SK_mSL_SN_bEUlT_E_NS1_11comp_targetILNS1_3genE10ELNS1_11target_archE1200ELNS1_3gpuE4ELNS1_3repE0EEENS1_30default_config_static_selectorELNS0_4arch9wavefront6targetE1EEEvT1_: ; @_ZN7rocprim17ROCPRIM_400000_NS6detail17trampoline_kernelINS0_14default_configENS1_25transform_config_selectorIfLb0EEEZNS1_14transform_implILb0ES3_S5_NS0_18transform_iteratorINS0_17counting_iteratorImlEEZNS1_24adjacent_difference_implIS3_Lb1ELb0EPfSB_N6thrust23THRUST_200600_302600_NS5minusIfEEEE10hipError_tPvRmT2_T3_mT4_P12ihipStream_tbEUlmE_fEESB_NS0_8identityIvEEEESG_SJ_SK_mSL_SN_bEUlT_E_NS1_11comp_targetILNS1_3genE10ELNS1_11target_archE1200ELNS1_3gpuE4ELNS1_3repE0EEENS1_30default_config_static_selectorELNS0_4arch9wavefront6targetE1EEEvT1_
; %bb.0:
	.section	.rodata,"a",@progbits
	.p2align	6, 0x0
	.amdhsa_kernel _ZN7rocprim17ROCPRIM_400000_NS6detail17trampoline_kernelINS0_14default_configENS1_25transform_config_selectorIfLb0EEEZNS1_14transform_implILb0ES3_S5_NS0_18transform_iteratorINS0_17counting_iteratorImlEEZNS1_24adjacent_difference_implIS3_Lb1ELb0EPfSB_N6thrust23THRUST_200600_302600_NS5minusIfEEEE10hipError_tPvRmT2_T3_mT4_P12ihipStream_tbEUlmE_fEESB_NS0_8identityIvEEEESG_SJ_SK_mSL_SN_bEUlT_E_NS1_11comp_targetILNS1_3genE10ELNS1_11target_archE1200ELNS1_3gpuE4ELNS1_3repE0EEENS1_30default_config_static_selectorELNS0_4arch9wavefront6targetE1EEEvT1_
		.amdhsa_group_segment_fixed_size 0
		.amdhsa_private_segment_fixed_size 0
		.amdhsa_kernarg_size 56
		.amdhsa_user_sgpr_count 6
		.amdhsa_user_sgpr_private_segment_buffer 1
		.amdhsa_user_sgpr_dispatch_ptr 0
		.amdhsa_user_sgpr_queue_ptr 0
		.amdhsa_user_sgpr_kernarg_segment_ptr 1
		.amdhsa_user_sgpr_dispatch_id 0
		.amdhsa_user_sgpr_flat_scratch_init 0
		.amdhsa_user_sgpr_kernarg_preload_length 0
		.amdhsa_user_sgpr_kernarg_preload_offset 0
		.amdhsa_user_sgpr_private_segment_size 0
		.amdhsa_uses_dynamic_stack 0
		.amdhsa_system_sgpr_private_segment_wavefront_offset 0
		.amdhsa_system_sgpr_workgroup_id_x 1
		.amdhsa_system_sgpr_workgroup_id_y 0
		.amdhsa_system_sgpr_workgroup_id_z 0
		.amdhsa_system_sgpr_workgroup_info 0
		.amdhsa_system_vgpr_workitem_id 0
		.amdhsa_next_free_vgpr 1
		.amdhsa_next_free_sgpr 0
		.amdhsa_accum_offset 4
		.amdhsa_reserve_vcc 0
		.amdhsa_reserve_flat_scratch 0
		.amdhsa_float_round_mode_32 0
		.amdhsa_float_round_mode_16_64 0
		.amdhsa_float_denorm_mode_32 3
		.amdhsa_float_denorm_mode_16_64 3
		.amdhsa_dx10_clamp 1
		.amdhsa_ieee_mode 1
		.amdhsa_fp16_overflow 0
		.amdhsa_tg_split 0
		.amdhsa_exception_fp_ieee_invalid_op 0
		.amdhsa_exception_fp_denorm_src 0
		.amdhsa_exception_fp_ieee_div_zero 0
		.amdhsa_exception_fp_ieee_overflow 0
		.amdhsa_exception_fp_ieee_underflow 0
		.amdhsa_exception_fp_ieee_inexact 0
		.amdhsa_exception_int_div_zero 0
	.end_amdhsa_kernel
	.section	.text._ZN7rocprim17ROCPRIM_400000_NS6detail17trampoline_kernelINS0_14default_configENS1_25transform_config_selectorIfLb0EEEZNS1_14transform_implILb0ES3_S5_NS0_18transform_iteratorINS0_17counting_iteratorImlEEZNS1_24adjacent_difference_implIS3_Lb1ELb0EPfSB_N6thrust23THRUST_200600_302600_NS5minusIfEEEE10hipError_tPvRmT2_T3_mT4_P12ihipStream_tbEUlmE_fEESB_NS0_8identityIvEEEESG_SJ_SK_mSL_SN_bEUlT_E_NS1_11comp_targetILNS1_3genE10ELNS1_11target_archE1200ELNS1_3gpuE4ELNS1_3repE0EEENS1_30default_config_static_selectorELNS0_4arch9wavefront6targetE1EEEvT1_,"axG",@progbits,_ZN7rocprim17ROCPRIM_400000_NS6detail17trampoline_kernelINS0_14default_configENS1_25transform_config_selectorIfLb0EEEZNS1_14transform_implILb0ES3_S5_NS0_18transform_iteratorINS0_17counting_iteratorImlEEZNS1_24adjacent_difference_implIS3_Lb1ELb0EPfSB_N6thrust23THRUST_200600_302600_NS5minusIfEEEE10hipError_tPvRmT2_T3_mT4_P12ihipStream_tbEUlmE_fEESB_NS0_8identityIvEEEESG_SJ_SK_mSL_SN_bEUlT_E_NS1_11comp_targetILNS1_3genE10ELNS1_11target_archE1200ELNS1_3gpuE4ELNS1_3repE0EEENS1_30default_config_static_selectorELNS0_4arch9wavefront6targetE1EEEvT1_,comdat
.Lfunc_end167:
	.size	_ZN7rocprim17ROCPRIM_400000_NS6detail17trampoline_kernelINS0_14default_configENS1_25transform_config_selectorIfLb0EEEZNS1_14transform_implILb0ES3_S5_NS0_18transform_iteratorINS0_17counting_iteratorImlEEZNS1_24adjacent_difference_implIS3_Lb1ELb0EPfSB_N6thrust23THRUST_200600_302600_NS5minusIfEEEE10hipError_tPvRmT2_T3_mT4_P12ihipStream_tbEUlmE_fEESB_NS0_8identityIvEEEESG_SJ_SK_mSL_SN_bEUlT_E_NS1_11comp_targetILNS1_3genE10ELNS1_11target_archE1200ELNS1_3gpuE4ELNS1_3repE0EEENS1_30default_config_static_selectorELNS0_4arch9wavefront6targetE1EEEvT1_, .Lfunc_end167-_ZN7rocprim17ROCPRIM_400000_NS6detail17trampoline_kernelINS0_14default_configENS1_25transform_config_selectorIfLb0EEEZNS1_14transform_implILb0ES3_S5_NS0_18transform_iteratorINS0_17counting_iteratorImlEEZNS1_24adjacent_difference_implIS3_Lb1ELb0EPfSB_N6thrust23THRUST_200600_302600_NS5minusIfEEEE10hipError_tPvRmT2_T3_mT4_P12ihipStream_tbEUlmE_fEESB_NS0_8identityIvEEEESG_SJ_SK_mSL_SN_bEUlT_E_NS1_11comp_targetILNS1_3genE10ELNS1_11target_archE1200ELNS1_3gpuE4ELNS1_3repE0EEENS1_30default_config_static_selectorELNS0_4arch9wavefront6targetE1EEEvT1_
                                        ; -- End function
	.section	.AMDGPU.csdata,"",@progbits
; Kernel info:
; codeLenInByte = 0
; NumSgprs: 4
; NumVgprs: 0
; NumAgprs: 0
; TotalNumVgprs: 0
; ScratchSize: 0
; MemoryBound: 0
; FloatMode: 240
; IeeeMode: 1
; LDSByteSize: 0 bytes/workgroup (compile time only)
; SGPRBlocks: 0
; VGPRBlocks: 0
; NumSGPRsForWavesPerEU: 4
; NumVGPRsForWavesPerEU: 1
; AccumOffset: 4
; Occupancy: 8
; WaveLimiterHint : 0
; COMPUTE_PGM_RSRC2:SCRATCH_EN: 0
; COMPUTE_PGM_RSRC2:USER_SGPR: 6
; COMPUTE_PGM_RSRC2:TRAP_HANDLER: 0
; COMPUTE_PGM_RSRC2:TGID_X_EN: 1
; COMPUTE_PGM_RSRC2:TGID_Y_EN: 0
; COMPUTE_PGM_RSRC2:TGID_Z_EN: 0
; COMPUTE_PGM_RSRC2:TIDIG_COMP_CNT: 0
; COMPUTE_PGM_RSRC3_GFX90A:ACCUM_OFFSET: 0
; COMPUTE_PGM_RSRC3_GFX90A:TG_SPLIT: 0
	.section	.text._ZN7rocprim17ROCPRIM_400000_NS6detail17trampoline_kernelINS0_14default_configENS1_25transform_config_selectorIfLb0EEEZNS1_14transform_implILb0ES3_S5_NS0_18transform_iteratorINS0_17counting_iteratorImlEEZNS1_24adjacent_difference_implIS3_Lb1ELb0EPfSB_N6thrust23THRUST_200600_302600_NS5minusIfEEEE10hipError_tPvRmT2_T3_mT4_P12ihipStream_tbEUlmE_fEESB_NS0_8identityIvEEEESG_SJ_SK_mSL_SN_bEUlT_E_NS1_11comp_targetILNS1_3genE9ELNS1_11target_archE1100ELNS1_3gpuE3ELNS1_3repE0EEENS1_30default_config_static_selectorELNS0_4arch9wavefront6targetE1EEEvT1_,"axG",@progbits,_ZN7rocprim17ROCPRIM_400000_NS6detail17trampoline_kernelINS0_14default_configENS1_25transform_config_selectorIfLb0EEEZNS1_14transform_implILb0ES3_S5_NS0_18transform_iteratorINS0_17counting_iteratorImlEEZNS1_24adjacent_difference_implIS3_Lb1ELb0EPfSB_N6thrust23THRUST_200600_302600_NS5minusIfEEEE10hipError_tPvRmT2_T3_mT4_P12ihipStream_tbEUlmE_fEESB_NS0_8identityIvEEEESG_SJ_SK_mSL_SN_bEUlT_E_NS1_11comp_targetILNS1_3genE9ELNS1_11target_archE1100ELNS1_3gpuE3ELNS1_3repE0EEENS1_30default_config_static_selectorELNS0_4arch9wavefront6targetE1EEEvT1_,comdat
	.protected	_ZN7rocprim17ROCPRIM_400000_NS6detail17trampoline_kernelINS0_14default_configENS1_25transform_config_selectorIfLb0EEEZNS1_14transform_implILb0ES3_S5_NS0_18transform_iteratorINS0_17counting_iteratorImlEEZNS1_24adjacent_difference_implIS3_Lb1ELb0EPfSB_N6thrust23THRUST_200600_302600_NS5minusIfEEEE10hipError_tPvRmT2_T3_mT4_P12ihipStream_tbEUlmE_fEESB_NS0_8identityIvEEEESG_SJ_SK_mSL_SN_bEUlT_E_NS1_11comp_targetILNS1_3genE9ELNS1_11target_archE1100ELNS1_3gpuE3ELNS1_3repE0EEENS1_30default_config_static_selectorELNS0_4arch9wavefront6targetE1EEEvT1_ ; -- Begin function _ZN7rocprim17ROCPRIM_400000_NS6detail17trampoline_kernelINS0_14default_configENS1_25transform_config_selectorIfLb0EEEZNS1_14transform_implILb0ES3_S5_NS0_18transform_iteratorINS0_17counting_iteratorImlEEZNS1_24adjacent_difference_implIS3_Lb1ELb0EPfSB_N6thrust23THRUST_200600_302600_NS5minusIfEEEE10hipError_tPvRmT2_T3_mT4_P12ihipStream_tbEUlmE_fEESB_NS0_8identityIvEEEESG_SJ_SK_mSL_SN_bEUlT_E_NS1_11comp_targetILNS1_3genE9ELNS1_11target_archE1100ELNS1_3gpuE3ELNS1_3repE0EEENS1_30default_config_static_selectorELNS0_4arch9wavefront6targetE1EEEvT1_
	.globl	_ZN7rocprim17ROCPRIM_400000_NS6detail17trampoline_kernelINS0_14default_configENS1_25transform_config_selectorIfLb0EEEZNS1_14transform_implILb0ES3_S5_NS0_18transform_iteratorINS0_17counting_iteratorImlEEZNS1_24adjacent_difference_implIS3_Lb1ELb0EPfSB_N6thrust23THRUST_200600_302600_NS5minusIfEEEE10hipError_tPvRmT2_T3_mT4_P12ihipStream_tbEUlmE_fEESB_NS0_8identityIvEEEESG_SJ_SK_mSL_SN_bEUlT_E_NS1_11comp_targetILNS1_3genE9ELNS1_11target_archE1100ELNS1_3gpuE3ELNS1_3repE0EEENS1_30default_config_static_selectorELNS0_4arch9wavefront6targetE1EEEvT1_
	.p2align	8
	.type	_ZN7rocprim17ROCPRIM_400000_NS6detail17trampoline_kernelINS0_14default_configENS1_25transform_config_selectorIfLb0EEEZNS1_14transform_implILb0ES3_S5_NS0_18transform_iteratorINS0_17counting_iteratorImlEEZNS1_24adjacent_difference_implIS3_Lb1ELb0EPfSB_N6thrust23THRUST_200600_302600_NS5minusIfEEEE10hipError_tPvRmT2_T3_mT4_P12ihipStream_tbEUlmE_fEESB_NS0_8identityIvEEEESG_SJ_SK_mSL_SN_bEUlT_E_NS1_11comp_targetILNS1_3genE9ELNS1_11target_archE1100ELNS1_3gpuE3ELNS1_3repE0EEENS1_30default_config_static_selectorELNS0_4arch9wavefront6targetE1EEEvT1_,@function
_ZN7rocprim17ROCPRIM_400000_NS6detail17trampoline_kernelINS0_14default_configENS1_25transform_config_selectorIfLb0EEEZNS1_14transform_implILb0ES3_S5_NS0_18transform_iteratorINS0_17counting_iteratorImlEEZNS1_24adjacent_difference_implIS3_Lb1ELb0EPfSB_N6thrust23THRUST_200600_302600_NS5minusIfEEEE10hipError_tPvRmT2_T3_mT4_P12ihipStream_tbEUlmE_fEESB_NS0_8identityIvEEEESG_SJ_SK_mSL_SN_bEUlT_E_NS1_11comp_targetILNS1_3genE9ELNS1_11target_archE1100ELNS1_3gpuE3ELNS1_3repE0EEENS1_30default_config_static_selectorELNS0_4arch9wavefront6targetE1EEEvT1_: ; @_ZN7rocprim17ROCPRIM_400000_NS6detail17trampoline_kernelINS0_14default_configENS1_25transform_config_selectorIfLb0EEEZNS1_14transform_implILb0ES3_S5_NS0_18transform_iteratorINS0_17counting_iteratorImlEEZNS1_24adjacent_difference_implIS3_Lb1ELb0EPfSB_N6thrust23THRUST_200600_302600_NS5minusIfEEEE10hipError_tPvRmT2_T3_mT4_P12ihipStream_tbEUlmE_fEESB_NS0_8identityIvEEEESG_SJ_SK_mSL_SN_bEUlT_E_NS1_11comp_targetILNS1_3genE9ELNS1_11target_archE1100ELNS1_3gpuE3ELNS1_3repE0EEENS1_30default_config_static_selectorELNS0_4arch9wavefront6targetE1EEEvT1_
; %bb.0:
	.section	.rodata,"a",@progbits
	.p2align	6, 0x0
	.amdhsa_kernel _ZN7rocprim17ROCPRIM_400000_NS6detail17trampoline_kernelINS0_14default_configENS1_25transform_config_selectorIfLb0EEEZNS1_14transform_implILb0ES3_S5_NS0_18transform_iteratorINS0_17counting_iteratorImlEEZNS1_24adjacent_difference_implIS3_Lb1ELb0EPfSB_N6thrust23THRUST_200600_302600_NS5minusIfEEEE10hipError_tPvRmT2_T3_mT4_P12ihipStream_tbEUlmE_fEESB_NS0_8identityIvEEEESG_SJ_SK_mSL_SN_bEUlT_E_NS1_11comp_targetILNS1_3genE9ELNS1_11target_archE1100ELNS1_3gpuE3ELNS1_3repE0EEENS1_30default_config_static_selectorELNS0_4arch9wavefront6targetE1EEEvT1_
		.amdhsa_group_segment_fixed_size 0
		.amdhsa_private_segment_fixed_size 0
		.amdhsa_kernarg_size 56
		.amdhsa_user_sgpr_count 6
		.amdhsa_user_sgpr_private_segment_buffer 1
		.amdhsa_user_sgpr_dispatch_ptr 0
		.amdhsa_user_sgpr_queue_ptr 0
		.amdhsa_user_sgpr_kernarg_segment_ptr 1
		.amdhsa_user_sgpr_dispatch_id 0
		.amdhsa_user_sgpr_flat_scratch_init 0
		.amdhsa_user_sgpr_kernarg_preload_length 0
		.amdhsa_user_sgpr_kernarg_preload_offset 0
		.amdhsa_user_sgpr_private_segment_size 0
		.amdhsa_uses_dynamic_stack 0
		.amdhsa_system_sgpr_private_segment_wavefront_offset 0
		.amdhsa_system_sgpr_workgroup_id_x 1
		.amdhsa_system_sgpr_workgroup_id_y 0
		.amdhsa_system_sgpr_workgroup_id_z 0
		.amdhsa_system_sgpr_workgroup_info 0
		.amdhsa_system_vgpr_workitem_id 0
		.amdhsa_next_free_vgpr 1
		.amdhsa_next_free_sgpr 0
		.amdhsa_accum_offset 4
		.amdhsa_reserve_vcc 0
		.amdhsa_reserve_flat_scratch 0
		.amdhsa_float_round_mode_32 0
		.amdhsa_float_round_mode_16_64 0
		.amdhsa_float_denorm_mode_32 3
		.amdhsa_float_denorm_mode_16_64 3
		.amdhsa_dx10_clamp 1
		.amdhsa_ieee_mode 1
		.amdhsa_fp16_overflow 0
		.amdhsa_tg_split 0
		.amdhsa_exception_fp_ieee_invalid_op 0
		.amdhsa_exception_fp_denorm_src 0
		.amdhsa_exception_fp_ieee_div_zero 0
		.amdhsa_exception_fp_ieee_overflow 0
		.amdhsa_exception_fp_ieee_underflow 0
		.amdhsa_exception_fp_ieee_inexact 0
		.amdhsa_exception_int_div_zero 0
	.end_amdhsa_kernel
	.section	.text._ZN7rocprim17ROCPRIM_400000_NS6detail17trampoline_kernelINS0_14default_configENS1_25transform_config_selectorIfLb0EEEZNS1_14transform_implILb0ES3_S5_NS0_18transform_iteratorINS0_17counting_iteratorImlEEZNS1_24adjacent_difference_implIS3_Lb1ELb0EPfSB_N6thrust23THRUST_200600_302600_NS5minusIfEEEE10hipError_tPvRmT2_T3_mT4_P12ihipStream_tbEUlmE_fEESB_NS0_8identityIvEEEESG_SJ_SK_mSL_SN_bEUlT_E_NS1_11comp_targetILNS1_3genE9ELNS1_11target_archE1100ELNS1_3gpuE3ELNS1_3repE0EEENS1_30default_config_static_selectorELNS0_4arch9wavefront6targetE1EEEvT1_,"axG",@progbits,_ZN7rocprim17ROCPRIM_400000_NS6detail17trampoline_kernelINS0_14default_configENS1_25transform_config_selectorIfLb0EEEZNS1_14transform_implILb0ES3_S5_NS0_18transform_iteratorINS0_17counting_iteratorImlEEZNS1_24adjacent_difference_implIS3_Lb1ELb0EPfSB_N6thrust23THRUST_200600_302600_NS5minusIfEEEE10hipError_tPvRmT2_T3_mT4_P12ihipStream_tbEUlmE_fEESB_NS0_8identityIvEEEESG_SJ_SK_mSL_SN_bEUlT_E_NS1_11comp_targetILNS1_3genE9ELNS1_11target_archE1100ELNS1_3gpuE3ELNS1_3repE0EEENS1_30default_config_static_selectorELNS0_4arch9wavefront6targetE1EEEvT1_,comdat
.Lfunc_end168:
	.size	_ZN7rocprim17ROCPRIM_400000_NS6detail17trampoline_kernelINS0_14default_configENS1_25transform_config_selectorIfLb0EEEZNS1_14transform_implILb0ES3_S5_NS0_18transform_iteratorINS0_17counting_iteratorImlEEZNS1_24adjacent_difference_implIS3_Lb1ELb0EPfSB_N6thrust23THRUST_200600_302600_NS5minusIfEEEE10hipError_tPvRmT2_T3_mT4_P12ihipStream_tbEUlmE_fEESB_NS0_8identityIvEEEESG_SJ_SK_mSL_SN_bEUlT_E_NS1_11comp_targetILNS1_3genE9ELNS1_11target_archE1100ELNS1_3gpuE3ELNS1_3repE0EEENS1_30default_config_static_selectorELNS0_4arch9wavefront6targetE1EEEvT1_, .Lfunc_end168-_ZN7rocprim17ROCPRIM_400000_NS6detail17trampoline_kernelINS0_14default_configENS1_25transform_config_selectorIfLb0EEEZNS1_14transform_implILb0ES3_S5_NS0_18transform_iteratorINS0_17counting_iteratorImlEEZNS1_24adjacent_difference_implIS3_Lb1ELb0EPfSB_N6thrust23THRUST_200600_302600_NS5minusIfEEEE10hipError_tPvRmT2_T3_mT4_P12ihipStream_tbEUlmE_fEESB_NS0_8identityIvEEEESG_SJ_SK_mSL_SN_bEUlT_E_NS1_11comp_targetILNS1_3genE9ELNS1_11target_archE1100ELNS1_3gpuE3ELNS1_3repE0EEENS1_30default_config_static_selectorELNS0_4arch9wavefront6targetE1EEEvT1_
                                        ; -- End function
	.section	.AMDGPU.csdata,"",@progbits
; Kernel info:
; codeLenInByte = 0
; NumSgprs: 4
; NumVgprs: 0
; NumAgprs: 0
; TotalNumVgprs: 0
; ScratchSize: 0
; MemoryBound: 0
; FloatMode: 240
; IeeeMode: 1
; LDSByteSize: 0 bytes/workgroup (compile time only)
; SGPRBlocks: 0
; VGPRBlocks: 0
; NumSGPRsForWavesPerEU: 4
; NumVGPRsForWavesPerEU: 1
; AccumOffset: 4
; Occupancy: 8
; WaveLimiterHint : 0
; COMPUTE_PGM_RSRC2:SCRATCH_EN: 0
; COMPUTE_PGM_RSRC2:USER_SGPR: 6
; COMPUTE_PGM_RSRC2:TRAP_HANDLER: 0
; COMPUTE_PGM_RSRC2:TGID_X_EN: 1
; COMPUTE_PGM_RSRC2:TGID_Y_EN: 0
; COMPUTE_PGM_RSRC2:TGID_Z_EN: 0
; COMPUTE_PGM_RSRC2:TIDIG_COMP_CNT: 0
; COMPUTE_PGM_RSRC3_GFX90A:ACCUM_OFFSET: 0
; COMPUTE_PGM_RSRC3_GFX90A:TG_SPLIT: 0
	.section	.text._ZN7rocprim17ROCPRIM_400000_NS6detail17trampoline_kernelINS0_14default_configENS1_25transform_config_selectorIfLb0EEEZNS1_14transform_implILb0ES3_S5_NS0_18transform_iteratorINS0_17counting_iteratorImlEEZNS1_24adjacent_difference_implIS3_Lb1ELb0EPfSB_N6thrust23THRUST_200600_302600_NS5minusIfEEEE10hipError_tPvRmT2_T3_mT4_P12ihipStream_tbEUlmE_fEESB_NS0_8identityIvEEEESG_SJ_SK_mSL_SN_bEUlT_E_NS1_11comp_targetILNS1_3genE8ELNS1_11target_archE1030ELNS1_3gpuE2ELNS1_3repE0EEENS1_30default_config_static_selectorELNS0_4arch9wavefront6targetE1EEEvT1_,"axG",@progbits,_ZN7rocprim17ROCPRIM_400000_NS6detail17trampoline_kernelINS0_14default_configENS1_25transform_config_selectorIfLb0EEEZNS1_14transform_implILb0ES3_S5_NS0_18transform_iteratorINS0_17counting_iteratorImlEEZNS1_24adjacent_difference_implIS3_Lb1ELb0EPfSB_N6thrust23THRUST_200600_302600_NS5minusIfEEEE10hipError_tPvRmT2_T3_mT4_P12ihipStream_tbEUlmE_fEESB_NS0_8identityIvEEEESG_SJ_SK_mSL_SN_bEUlT_E_NS1_11comp_targetILNS1_3genE8ELNS1_11target_archE1030ELNS1_3gpuE2ELNS1_3repE0EEENS1_30default_config_static_selectorELNS0_4arch9wavefront6targetE1EEEvT1_,comdat
	.protected	_ZN7rocprim17ROCPRIM_400000_NS6detail17trampoline_kernelINS0_14default_configENS1_25transform_config_selectorIfLb0EEEZNS1_14transform_implILb0ES3_S5_NS0_18transform_iteratorINS0_17counting_iteratorImlEEZNS1_24adjacent_difference_implIS3_Lb1ELb0EPfSB_N6thrust23THRUST_200600_302600_NS5minusIfEEEE10hipError_tPvRmT2_T3_mT4_P12ihipStream_tbEUlmE_fEESB_NS0_8identityIvEEEESG_SJ_SK_mSL_SN_bEUlT_E_NS1_11comp_targetILNS1_3genE8ELNS1_11target_archE1030ELNS1_3gpuE2ELNS1_3repE0EEENS1_30default_config_static_selectorELNS0_4arch9wavefront6targetE1EEEvT1_ ; -- Begin function _ZN7rocprim17ROCPRIM_400000_NS6detail17trampoline_kernelINS0_14default_configENS1_25transform_config_selectorIfLb0EEEZNS1_14transform_implILb0ES3_S5_NS0_18transform_iteratorINS0_17counting_iteratorImlEEZNS1_24adjacent_difference_implIS3_Lb1ELb0EPfSB_N6thrust23THRUST_200600_302600_NS5minusIfEEEE10hipError_tPvRmT2_T3_mT4_P12ihipStream_tbEUlmE_fEESB_NS0_8identityIvEEEESG_SJ_SK_mSL_SN_bEUlT_E_NS1_11comp_targetILNS1_3genE8ELNS1_11target_archE1030ELNS1_3gpuE2ELNS1_3repE0EEENS1_30default_config_static_selectorELNS0_4arch9wavefront6targetE1EEEvT1_
	.globl	_ZN7rocprim17ROCPRIM_400000_NS6detail17trampoline_kernelINS0_14default_configENS1_25transform_config_selectorIfLb0EEEZNS1_14transform_implILb0ES3_S5_NS0_18transform_iteratorINS0_17counting_iteratorImlEEZNS1_24adjacent_difference_implIS3_Lb1ELb0EPfSB_N6thrust23THRUST_200600_302600_NS5minusIfEEEE10hipError_tPvRmT2_T3_mT4_P12ihipStream_tbEUlmE_fEESB_NS0_8identityIvEEEESG_SJ_SK_mSL_SN_bEUlT_E_NS1_11comp_targetILNS1_3genE8ELNS1_11target_archE1030ELNS1_3gpuE2ELNS1_3repE0EEENS1_30default_config_static_selectorELNS0_4arch9wavefront6targetE1EEEvT1_
	.p2align	8
	.type	_ZN7rocprim17ROCPRIM_400000_NS6detail17trampoline_kernelINS0_14default_configENS1_25transform_config_selectorIfLb0EEEZNS1_14transform_implILb0ES3_S5_NS0_18transform_iteratorINS0_17counting_iteratorImlEEZNS1_24adjacent_difference_implIS3_Lb1ELb0EPfSB_N6thrust23THRUST_200600_302600_NS5minusIfEEEE10hipError_tPvRmT2_T3_mT4_P12ihipStream_tbEUlmE_fEESB_NS0_8identityIvEEEESG_SJ_SK_mSL_SN_bEUlT_E_NS1_11comp_targetILNS1_3genE8ELNS1_11target_archE1030ELNS1_3gpuE2ELNS1_3repE0EEENS1_30default_config_static_selectorELNS0_4arch9wavefront6targetE1EEEvT1_,@function
_ZN7rocprim17ROCPRIM_400000_NS6detail17trampoline_kernelINS0_14default_configENS1_25transform_config_selectorIfLb0EEEZNS1_14transform_implILb0ES3_S5_NS0_18transform_iteratorINS0_17counting_iteratorImlEEZNS1_24adjacent_difference_implIS3_Lb1ELb0EPfSB_N6thrust23THRUST_200600_302600_NS5minusIfEEEE10hipError_tPvRmT2_T3_mT4_P12ihipStream_tbEUlmE_fEESB_NS0_8identityIvEEEESG_SJ_SK_mSL_SN_bEUlT_E_NS1_11comp_targetILNS1_3genE8ELNS1_11target_archE1030ELNS1_3gpuE2ELNS1_3repE0EEENS1_30default_config_static_selectorELNS0_4arch9wavefront6targetE1EEEvT1_: ; @_ZN7rocprim17ROCPRIM_400000_NS6detail17trampoline_kernelINS0_14default_configENS1_25transform_config_selectorIfLb0EEEZNS1_14transform_implILb0ES3_S5_NS0_18transform_iteratorINS0_17counting_iteratorImlEEZNS1_24adjacent_difference_implIS3_Lb1ELb0EPfSB_N6thrust23THRUST_200600_302600_NS5minusIfEEEE10hipError_tPvRmT2_T3_mT4_P12ihipStream_tbEUlmE_fEESB_NS0_8identityIvEEEESG_SJ_SK_mSL_SN_bEUlT_E_NS1_11comp_targetILNS1_3genE8ELNS1_11target_archE1030ELNS1_3gpuE2ELNS1_3repE0EEENS1_30default_config_static_selectorELNS0_4arch9wavefront6targetE1EEEvT1_
; %bb.0:
	.section	.rodata,"a",@progbits
	.p2align	6, 0x0
	.amdhsa_kernel _ZN7rocprim17ROCPRIM_400000_NS6detail17trampoline_kernelINS0_14default_configENS1_25transform_config_selectorIfLb0EEEZNS1_14transform_implILb0ES3_S5_NS0_18transform_iteratorINS0_17counting_iteratorImlEEZNS1_24adjacent_difference_implIS3_Lb1ELb0EPfSB_N6thrust23THRUST_200600_302600_NS5minusIfEEEE10hipError_tPvRmT2_T3_mT4_P12ihipStream_tbEUlmE_fEESB_NS0_8identityIvEEEESG_SJ_SK_mSL_SN_bEUlT_E_NS1_11comp_targetILNS1_3genE8ELNS1_11target_archE1030ELNS1_3gpuE2ELNS1_3repE0EEENS1_30default_config_static_selectorELNS0_4arch9wavefront6targetE1EEEvT1_
		.amdhsa_group_segment_fixed_size 0
		.amdhsa_private_segment_fixed_size 0
		.amdhsa_kernarg_size 56
		.amdhsa_user_sgpr_count 6
		.amdhsa_user_sgpr_private_segment_buffer 1
		.amdhsa_user_sgpr_dispatch_ptr 0
		.amdhsa_user_sgpr_queue_ptr 0
		.amdhsa_user_sgpr_kernarg_segment_ptr 1
		.amdhsa_user_sgpr_dispatch_id 0
		.amdhsa_user_sgpr_flat_scratch_init 0
		.amdhsa_user_sgpr_kernarg_preload_length 0
		.amdhsa_user_sgpr_kernarg_preload_offset 0
		.amdhsa_user_sgpr_private_segment_size 0
		.amdhsa_uses_dynamic_stack 0
		.amdhsa_system_sgpr_private_segment_wavefront_offset 0
		.amdhsa_system_sgpr_workgroup_id_x 1
		.amdhsa_system_sgpr_workgroup_id_y 0
		.amdhsa_system_sgpr_workgroup_id_z 0
		.amdhsa_system_sgpr_workgroup_info 0
		.amdhsa_system_vgpr_workitem_id 0
		.amdhsa_next_free_vgpr 1
		.amdhsa_next_free_sgpr 0
		.amdhsa_accum_offset 4
		.amdhsa_reserve_vcc 0
		.amdhsa_reserve_flat_scratch 0
		.amdhsa_float_round_mode_32 0
		.amdhsa_float_round_mode_16_64 0
		.amdhsa_float_denorm_mode_32 3
		.amdhsa_float_denorm_mode_16_64 3
		.amdhsa_dx10_clamp 1
		.amdhsa_ieee_mode 1
		.amdhsa_fp16_overflow 0
		.amdhsa_tg_split 0
		.amdhsa_exception_fp_ieee_invalid_op 0
		.amdhsa_exception_fp_denorm_src 0
		.amdhsa_exception_fp_ieee_div_zero 0
		.amdhsa_exception_fp_ieee_overflow 0
		.amdhsa_exception_fp_ieee_underflow 0
		.amdhsa_exception_fp_ieee_inexact 0
		.amdhsa_exception_int_div_zero 0
	.end_amdhsa_kernel
	.section	.text._ZN7rocprim17ROCPRIM_400000_NS6detail17trampoline_kernelINS0_14default_configENS1_25transform_config_selectorIfLb0EEEZNS1_14transform_implILb0ES3_S5_NS0_18transform_iteratorINS0_17counting_iteratorImlEEZNS1_24adjacent_difference_implIS3_Lb1ELb0EPfSB_N6thrust23THRUST_200600_302600_NS5minusIfEEEE10hipError_tPvRmT2_T3_mT4_P12ihipStream_tbEUlmE_fEESB_NS0_8identityIvEEEESG_SJ_SK_mSL_SN_bEUlT_E_NS1_11comp_targetILNS1_3genE8ELNS1_11target_archE1030ELNS1_3gpuE2ELNS1_3repE0EEENS1_30default_config_static_selectorELNS0_4arch9wavefront6targetE1EEEvT1_,"axG",@progbits,_ZN7rocprim17ROCPRIM_400000_NS6detail17trampoline_kernelINS0_14default_configENS1_25transform_config_selectorIfLb0EEEZNS1_14transform_implILb0ES3_S5_NS0_18transform_iteratorINS0_17counting_iteratorImlEEZNS1_24adjacent_difference_implIS3_Lb1ELb0EPfSB_N6thrust23THRUST_200600_302600_NS5minusIfEEEE10hipError_tPvRmT2_T3_mT4_P12ihipStream_tbEUlmE_fEESB_NS0_8identityIvEEEESG_SJ_SK_mSL_SN_bEUlT_E_NS1_11comp_targetILNS1_3genE8ELNS1_11target_archE1030ELNS1_3gpuE2ELNS1_3repE0EEENS1_30default_config_static_selectorELNS0_4arch9wavefront6targetE1EEEvT1_,comdat
.Lfunc_end169:
	.size	_ZN7rocprim17ROCPRIM_400000_NS6detail17trampoline_kernelINS0_14default_configENS1_25transform_config_selectorIfLb0EEEZNS1_14transform_implILb0ES3_S5_NS0_18transform_iteratorINS0_17counting_iteratorImlEEZNS1_24adjacent_difference_implIS3_Lb1ELb0EPfSB_N6thrust23THRUST_200600_302600_NS5minusIfEEEE10hipError_tPvRmT2_T3_mT4_P12ihipStream_tbEUlmE_fEESB_NS0_8identityIvEEEESG_SJ_SK_mSL_SN_bEUlT_E_NS1_11comp_targetILNS1_3genE8ELNS1_11target_archE1030ELNS1_3gpuE2ELNS1_3repE0EEENS1_30default_config_static_selectorELNS0_4arch9wavefront6targetE1EEEvT1_, .Lfunc_end169-_ZN7rocprim17ROCPRIM_400000_NS6detail17trampoline_kernelINS0_14default_configENS1_25transform_config_selectorIfLb0EEEZNS1_14transform_implILb0ES3_S5_NS0_18transform_iteratorINS0_17counting_iteratorImlEEZNS1_24adjacent_difference_implIS3_Lb1ELb0EPfSB_N6thrust23THRUST_200600_302600_NS5minusIfEEEE10hipError_tPvRmT2_T3_mT4_P12ihipStream_tbEUlmE_fEESB_NS0_8identityIvEEEESG_SJ_SK_mSL_SN_bEUlT_E_NS1_11comp_targetILNS1_3genE8ELNS1_11target_archE1030ELNS1_3gpuE2ELNS1_3repE0EEENS1_30default_config_static_selectorELNS0_4arch9wavefront6targetE1EEEvT1_
                                        ; -- End function
	.section	.AMDGPU.csdata,"",@progbits
; Kernel info:
; codeLenInByte = 0
; NumSgprs: 4
; NumVgprs: 0
; NumAgprs: 0
; TotalNumVgprs: 0
; ScratchSize: 0
; MemoryBound: 0
; FloatMode: 240
; IeeeMode: 1
; LDSByteSize: 0 bytes/workgroup (compile time only)
; SGPRBlocks: 0
; VGPRBlocks: 0
; NumSGPRsForWavesPerEU: 4
; NumVGPRsForWavesPerEU: 1
; AccumOffset: 4
; Occupancy: 8
; WaveLimiterHint : 0
; COMPUTE_PGM_RSRC2:SCRATCH_EN: 0
; COMPUTE_PGM_RSRC2:USER_SGPR: 6
; COMPUTE_PGM_RSRC2:TRAP_HANDLER: 0
; COMPUTE_PGM_RSRC2:TGID_X_EN: 1
; COMPUTE_PGM_RSRC2:TGID_Y_EN: 0
; COMPUTE_PGM_RSRC2:TGID_Z_EN: 0
; COMPUTE_PGM_RSRC2:TIDIG_COMP_CNT: 0
; COMPUTE_PGM_RSRC3_GFX90A:ACCUM_OFFSET: 0
; COMPUTE_PGM_RSRC3_GFX90A:TG_SPLIT: 0
	.section	.text._ZN7rocprim17ROCPRIM_400000_NS6detail17trampoline_kernelINS0_14default_configENS1_35adjacent_difference_config_selectorILb1EfEEZNS1_24adjacent_difference_implIS3_Lb1ELb0EPfS7_N6thrust23THRUST_200600_302600_NS5minusIfEEEE10hipError_tPvRmT2_T3_mT4_P12ihipStream_tbEUlT_E_NS1_11comp_targetILNS1_3genE0ELNS1_11target_archE4294967295ELNS1_3gpuE0ELNS1_3repE0EEENS1_30default_config_static_selectorELNS0_4arch9wavefront6targetE1EEEvT1_,"axG",@progbits,_ZN7rocprim17ROCPRIM_400000_NS6detail17trampoline_kernelINS0_14default_configENS1_35adjacent_difference_config_selectorILb1EfEEZNS1_24adjacent_difference_implIS3_Lb1ELb0EPfS7_N6thrust23THRUST_200600_302600_NS5minusIfEEEE10hipError_tPvRmT2_T3_mT4_P12ihipStream_tbEUlT_E_NS1_11comp_targetILNS1_3genE0ELNS1_11target_archE4294967295ELNS1_3gpuE0ELNS1_3repE0EEENS1_30default_config_static_selectorELNS0_4arch9wavefront6targetE1EEEvT1_,comdat
	.protected	_ZN7rocprim17ROCPRIM_400000_NS6detail17trampoline_kernelINS0_14default_configENS1_35adjacent_difference_config_selectorILb1EfEEZNS1_24adjacent_difference_implIS3_Lb1ELb0EPfS7_N6thrust23THRUST_200600_302600_NS5minusIfEEEE10hipError_tPvRmT2_T3_mT4_P12ihipStream_tbEUlT_E_NS1_11comp_targetILNS1_3genE0ELNS1_11target_archE4294967295ELNS1_3gpuE0ELNS1_3repE0EEENS1_30default_config_static_selectorELNS0_4arch9wavefront6targetE1EEEvT1_ ; -- Begin function _ZN7rocprim17ROCPRIM_400000_NS6detail17trampoline_kernelINS0_14default_configENS1_35adjacent_difference_config_selectorILb1EfEEZNS1_24adjacent_difference_implIS3_Lb1ELb0EPfS7_N6thrust23THRUST_200600_302600_NS5minusIfEEEE10hipError_tPvRmT2_T3_mT4_P12ihipStream_tbEUlT_E_NS1_11comp_targetILNS1_3genE0ELNS1_11target_archE4294967295ELNS1_3gpuE0ELNS1_3repE0EEENS1_30default_config_static_selectorELNS0_4arch9wavefront6targetE1EEEvT1_
	.globl	_ZN7rocprim17ROCPRIM_400000_NS6detail17trampoline_kernelINS0_14default_configENS1_35adjacent_difference_config_selectorILb1EfEEZNS1_24adjacent_difference_implIS3_Lb1ELb0EPfS7_N6thrust23THRUST_200600_302600_NS5minusIfEEEE10hipError_tPvRmT2_T3_mT4_P12ihipStream_tbEUlT_E_NS1_11comp_targetILNS1_3genE0ELNS1_11target_archE4294967295ELNS1_3gpuE0ELNS1_3repE0EEENS1_30default_config_static_selectorELNS0_4arch9wavefront6targetE1EEEvT1_
	.p2align	8
	.type	_ZN7rocprim17ROCPRIM_400000_NS6detail17trampoline_kernelINS0_14default_configENS1_35adjacent_difference_config_selectorILb1EfEEZNS1_24adjacent_difference_implIS3_Lb1ELb0EPfS7_N6thrust23THRUST_200600_302600_NS5minusIfEEEE10hipError_tPvRmT2_T3_mT4_P12ihipStream_tbEUlT_E_NS1_11comp_targetILNS1_3genE0ELNS1_11target_archE4294967295ELNS1_3gpuE0ELNS1_3repE0EEENS1_30default_config_static_selectorELNS0_4arch9wavefront6targetE1EEEvT1_,@function
_ZN7rocprim17ROCPRIM_400000_NS6detail17trampoline_kernelINS0_14default_configENS1_35adjacent_difference_config_selectorILb1EfEEZNS1_24adjacent_difference_implIS3_Lb1ELb0EPfS7_N6thrust23THRUST_200600_302600_NS5minusIfEEEE10hipError_tPvRmT2_T3_mT4_P12ihipStream_tbEUlT_E_NS1_11comp_targetILNS1_3genE0ELNS1_11target_archE4294967295ELNS1_3gpuE0ELNS1_3repE0EEENS1_30default_config_static_selectorELNS0_4arch9wavefront6targetE1EEEvT1_: ; @_ZN7rocprim17ROCPRIM_400000_NS6detail17trampoline_kernelINS0_14default_configENS1_35adjacent_difference_config_selectorILb1EfEEZNS1_24adjacent_difference_implIS3_Lb1ELb0EPfS7_N6thrust23THRUST_200600_302600_NS5minusIfEEEE10hipError_tPvRmT2_T3_mT4_P12ihipStream_tbEUlT_E_NS1_11comp_targetILNS1_3genE0ELNS1_11target_archE4294967295ELNS1_3gpuE0ELNS1_3repE0EEENS1_30default_config_static_selectorELNS0_4arch9wavefront6targetE1EEEvT1_
; %bb.0:
	.section	.rodata,"a",@progbits
	.p2align	6, 0x0
	.amdhsa_kernel _ZN7rocprim17ROCPRIM_400000_NS6detail17trampoline_kernelINS0_14default_configENS1_35adjacent_difference_config_selectorILb1EfEEZNS1_24adjacent_difference_implIS3_Lb1ELb0EPfS7_N6thrust23THRUST_200600_302600_NS5minusIfEEEE10hipError_tPvRmT2_T3_mT4_P12ihipStream_tbEUlT_E_NS1_11comp_targetILNS1_3genE0ELNS1_11target_archE4294967295ELNS1_3gpuE0ELNS1_3repE0EEENS1_30default_config_static_selectorELNS0_4arch9wavefront6targetE1EEEvT1_
		.amdhsa_group_segment_fixed_size 0
		.amdhsa_private_segment_fixed_size 0
		.amdhsa_kernarg_size 56
		.amdhsa_user_sgpr_count 6
		.amdhsa_user_sgpr_private_segment_buffer 1
		.amdhsa_user_sgpr_dispatch_ptr 0
		.amdhsa_user_sgpr_queue_ptr 0
		.amdhsa_user_sgpr_kernarg_segment_ptr 1
		.amdhsa_user_sgpr_dispatch_id 0
		.amdhsa_user_sgpr_flat_scratch_init 0
		.amdhsa_user_sgpr_kernarg_preload_length 0
		.amdhsa_user_sgpr_kernarg_preload_offset 0
		.amdhsa_user_sgpr_private_segment_size 0
		.amdhsa_uses_dynamic_stack 0
		.amdhsa_system_sgpr_private_segment_wavefront_offset 0
		.amdhsa_system_sgpr_workgroup_id_x 1
		.amdhsa_system_sgpr_workgroup_id_y 0
		.amdhsa_system_sgpr_workgroup_id_z 0
		.amdhsa_system_sgpr_workgroup_info 0
		.amdhsa_system_vgpr_workitem_id 0
		.amdhsa_next_free_vgpr 1
		.amdhsa_next_free_sgpr 0
		.amdhsa_accum_offset 4
		.amdhsa_reserve_vcc 0
		.amdhsa_reserve_flat_scratch 0
		.amdhsa_float_round_mode_32 0
		.amdhsa_float_round_mode_16_64 0
		.amdhsa_float_denorm_mode_32 3
		.amdhsa_float_denorm_mode_16_64 3
		.amdhsa_dx10_clamp 1
		.amdhsa_ieee_mode 1
		.amdhsa_fp16_overflow 0
		.amdhsa_tg_split 0
		.amdhsa_exception_fp_ieee_invalid_op 0
		.amdhsa_exception_fp_denorm_src 0
		.amdhsa_exception_fp_ieee_div_zero 0
		.amdhsa_exception_fp_ieee_overflow 0
		.amdhsa_exception_fp_ieee_underflow 0
		.amdhsa_exception_fp_ieee_inexact 0
		.amdhsa_exception_int_div_zero 0
	.end_amdhsa_kernel
	.section	.text._ZN7rocprim17ROCPRIM_400000_NS6detail17trampoline_kernelINS0_14default_configENS1_35adjacent_difference_config_selectorILb1EfEEZNS1_24adjacent_difference_implIS3_Lb1ELb0EPfS7_N6thrust23THRUST_200600_302600_NS5minusIfEEEE10hipError_tPvRmT2_T3_mT4_P12ihipStream_tbEUlT_E_NS1_11comp_targetILNS1_3genE0ELNS1_11target_archE4294967295ELNS1_3gpuE0ELNS1_3repE0EEENS1_30default_config_static_selectorELNS0_4arch9wavefront6targetE1EEEvT1_,"axG",@progbits,_ZN7rocprim17ROCPRIM_400000_NS6detail17trampoline_kernelINS0_14default_configENS1_35adjacent_difference_config_selectorILb1EfEEZNS1_24adjacent_difference_implIS3_Lb1ELb0EPfS7_N6thrust23THRUST_200600_302600_NS5minusIfEEEE10hipError_tPvRmT2_T3_mT4_P12ihipStream_tbEUlT_E_NS1_11comp_targetILNS1_3genE0ELNS1_11target_archE4294967295ELNS1_3gpuE0ELNS1_3repE0EEENS1_30default_config_static_selectorELNS0_4arch9wavefront6targetE1EEEvT1_,comdat
.Lfunc_end170:
	.size	_ZN7rocprim17ROCPRIM_400000_NS6detail17trampoline_kernelINS0_14default_configENS1_35adjacent_difference_config_selectorILb1EfEEZNS1_24adjacent_difference_implIS3_Lb1ELb0EPfS7_N6thrust23THRUST_200600_302600_NS5minusIfEEEE10hipError_tPvRmT2_T3_mT4_P12ihipStream_tbEUlT_E_NS1_11comp_targetILNS1_3genE0ELNS1_11target_archE4294967295ELNS1_3gpuE0ELNS1_3repE0EEENS1_30default_config_static_selectorELNS0_4arch9wavefront6targetE1EEEvT1_, .Lfunc_end170-_ZN7rocprim17ROCPRIM_400000_NS6detail17trampoline_kernelINS0_14default_configENS1_35adjacent_difference_config_selectorILb1EfEEZNS1_24adjacent_difference_implIS3_Lb1ELb0EPfS7_N6thrust23THRUST_200600_302600_NS5minusIfEEEE10hipError_tPvRmT2_T3_mT4_P12ihipStream_tbEUlT_E_NS1_11comp_targetILNS1_3genE0ELNS1_11target_archE4294967295ELNS1_3gpuE0ELNS1_3repE0EEENS1_30default_config_static_selectorELNS0_4arch9wavefront6targetE1EEEvT1_
                                        ; -- End function
	.section	.AMDGPU.csdata,"",@progbits
; Kernel info:
; codeLenInByte = 0
; NumSgprs: 4
; NumVgprs: 0
; NumAgprs: 0
; TotalNumVgprs: 0
; ScratchSize: 0
; MemoryBound: 0
; FloatMode: 240
; IeeeMode: 1
; LDSByteSize: 0 bytes/workgroup (compile time only)
; SGPRBlocks: 0
; VGPRBlocks: 0
; NumSGPRsForWavesPerEU: 4
; NumVGPRsForWavesPerEU: 1
; AccumOffset: 4
; Occupancy: 8
; WaveLimiterHint : 0
; COMPUTE_PGM_RSRC2:SCRATCH_EN: 0
; COMPUTE_PGM_RSRC2:USER_SGPR: 6
; COMPUTE_PGM_RSRC2:TRAP_HANDLER: 0
; COMPUTE_PGM_RSRC2:TGID_X_EN: 1
; COMPUTE_PGM_RSRC2:TGID_Y_EN: 0
; COMPUTE_PGM_RSRC2:TGID_Z_EN: 0
; COMPUTE_PGM_RSRC2:TIDIG_COMP_CNT: 0
; COMPUTE_PGM_RSRC3_GFX90A:ACCUM_OFFSET: 0
; COMPUTE_PGM_RSRC3_GFX90A:TG_SPLIT: 0
	.section	.text._ZN7rocprim17ROCPRIM_400000_NS6detail17trampoline_kernelINS0_14default_configENS1_35adjacent_difference_config_selectorILb1EfEEZNS1_24adjacent_difference_implIS3_Lb1ELb0EPfS7_N6thrust23THRUST_200600_302600_NS5minusIfEEEE10hipError_tPvRmT2_T3_mT4_P12ihipStream_tbEUlT_E_NS1_11comp_targetILNS1_3genE10ELNS1_11target_archE1201ELNS1_3gpuE5ELNS1_3repE0EEENS1_30default_config_static_selectorELNS0_4arch9wavefront6targetE1EEEvT1_,"axG",@progbits,_ZN7rocprim17ROCPRIM_400000_NS6detail17trampoline_kernelINS0_14default_configENS1_35adjacent_difference_config_selectorILb1EfEEZNS1_24adjacent_difference_implIS3_Lb1ELb0EPfS7_N6thrust23THRUST_200600_302600_NS5minusIfEEEE10hipError_tPvRmT2_T3_mT4_P12ihipStream_tbEUlT_E_NS1_11comp_targetILNS1_3genE10ELNS1_11target_archE1201ELNS1_3gpuE5ELNS1_3repE0EEENS1_30default_config_static_selectorELNS0_4arch9wavefront6targetE1EEEvT1_,comdat
	.protected	_ZN7rocprim17ROCPRIM_400000_NS6detail17trampoline_kernelINS0_14default_configENS1_35adjacent_difference_config_selectorILb1EfEEZNS1_24adjacent_difference_implIS3_Lb1ELb0EPfS7_N6thrust23THRUST_200600_302600_NS5minusIfEEEE10hipError_tPvRmT2_T3_mT4_P12ihipStream_tbEUlT_E_NS1_11comp_targetILNS1_3genE10ELNS1_11target_archE1201ELNS1_3gpuE5ELNS1_3repE0EEENS1_30default_config_static_selectorELNS0_4arch9wavefront6targetE1EEEvT1_ ; -- Begin function _ZN7rocprim17ROCPRIM_400000_NS6detail17trampoline_kernelINS0_14default_configENS1_35adjacent_difference_config_selectorILb1EfEEZNS1_24adjacent_difference_implIS3_Lb1ELb0EPfS7_N6thrust23THRUST_200600_302600_NS5minusIfEEEE10hipError_tPvRmT2_T3_mT4_P12ihipStream_tbEUlT_E_NS1_11comp_targetILNS1_3genE10ELNS1_11target_archE1201ELNS1_3gpuE5ELNS1_3repE0EEENS1_30default_config_static_selectorELNS0_4arch9wavefront6targetE1EEEvT1_
	.globl	_ZN7rocprim17ROCPRIM_400000_NS6detail17trampoline_kernelINS0_14default_configENS1_35adjacent_difference_config_selectorILb1EfEEZNS1_24adjacent_difference_implIS3_Lb1ELb0EPfS7_N6thrust23THRUST_200600_302600_NS5minusIfEEEE10hipError_tPvRmT2_T3_mT4_P12ihipStream_tbEUlT_E_NS1_11comp_targetILNS1_3genE10ELNS1_11target_archE1201ELNS1_3gpuE5ELNS1_3repE0EEENS1_30default_config_static_selectorELNS0_4arch9wavefront6targetE1EEEvT1_
	.p2align	8
	.type	_ZN7rocprim17ROCPRIM_400000_NS6detail17trampoline_kernelINS0_14default_configENS1_35adjacent_difference_config_selectorILb1EfEEZNS1_24adjacent_difference_implIS3_Lb1ELb0EPfS7_N6thrust23THRUST_200600_302600_NS5minusIfEEEE10hipError_tPvRmT2_T3_mT4_P12ihipStream_tbEUlT_E_NS1_11comp_targetILNS1_3genE10ELNS1_11target_archE1201ELNS1_3gpuE5ELNS1_3repE0EEENS1_30default_config_static_selectorELNS0_4arch9wavefront6targetE1EEEvT1_,@function
_ZN7rocprim17ROCPRIM_400000_NS6detail17trampoline_kernelINS0_14default_configENS1_35adjacent_difference_config_selectorILb1EfEEZNS1_24adjacent_difference_implIS3_Lb1ELb0EPfS7_N6thrust23THRUST_200600_302600_NS5minusIfEEEE10hipError_tPvRmT2_T3_mT4_P12ihipStream_tbEUlT_E_NS1_11comp_targetILNS1_3genE10ELNS1_11target_archE1201ELNS1_3gpuE5ELNS1_3repE0EEENS1_30default_config_static_selectorELNS0_4arch9wavefront6targetE1EEEvT1_: ; @_ZN7rocprim17ROCPRIM_400000_NS6detail17trampoline_kernelINS0_14default_configENS1_35adjacent_difference_config_selectorILb1EfEEZNS1_24adjacent_difference_implIS3_Lb1ELb0EPfS7_N6thrust23THRUST_200600_302600_NS5minusIfEEEE10hipError_tPvRmT2_T3_mT4_P12ihipStream_tbEUlT_E_NS1_11comp_targetILNS1_3genE10ELNS1_11target_archE1201ELNS1_3gpuE5ELNS1_3repE0EEENS1_30default_config_static_selectorELNS0_4arch9wavefront6targetE1EEEvT1_
; %bb.0:
	.section	.rodata,"a",@progbits
	.p2align	6, 0x0
	.amdhsa_kernel _ZN7rocprim17ROCPRIM_400000_NS6detail17trampoline_kernelINS0_14default_configENS1_35adjacent_difference_config_selectorILb1EfEEZNS1_24adjacent_difference_implIS3_Lb1ELb0EPfS7_N6thrust23THRUST_200600_302600_NS5minusIfEEEE10hipError_tPvRmT2_T3_mT4_P12ihipStream_tbEUlT_E_NS1_11comp_targetILNS1_3genE10ELNS1_11target_archE1201ELNS1_3gpuE5ELNS1_3repE0EEENS1_30default_config_static_selectorELNS0_4arch9wavefront6targetE1EEEvT1_
		.amdhsa_group_segment_fixed_size 0
		.amdhsa_private_segment_fixed_size 0
		.amdhsa_kernarg_size 56
		.amdhsa_user_sgpr_count 6
		.amdhsa_user_sgpr_private_segment_buffer 1
		.amdhsa_user_sgpr_dispatch_ptr 0
		.amdhsa_user_sgpr_queue_ptr 0
		.amdhsa_user_sgpr_kernarg_segment_ptr 1
		.amdhsa_user_sgpr_dispatch_id 0
		.amdhsa_user_sgpr_flat_scratch_init 0
		.amdhsa_user_sgpr_kernarg_preload_length 0
		.amdhsa_user_sgpr_kernarg_preload_offset 0
		.amdhsa_user_sgpr_private_segment_size 0
		.amdhsa_uses_dynamic_stack 0
		.amdhsa_system_sgpr_private_segment_wavefront_offset 0
		.amdhsa_system_sgpr_workgroup_id_x 1
		.amdhsa_system_sgpr_workgroup_id_y 0
		.amdhsa_system_sgpr_workgroup_id_z 0
		.amdhsa_system_sgpr_workgroup_info 0
		.amdhsa_system_vgpr_workitem_id 0
		.amdhsa_next_free_vgpr 1
		.amdhsa_next_free_sgpr 0
		.amdhsa_accum_offset 4
		.amdhsa_reserve_vcc 0
		.amdhsa_reserve_flat_scratch 0
		.amdhsa_float_round_mode_32 0
		.amdhsa_float_round_mode_16_64 0
		.amdhsa_float_denorm_mode_32 3
		.amdhsa_float_denorm_mode_16_64 3
		.amdhsa_dx10_clamp 1
		.amdhsa_ieee_mode 1
		.amdhsa_fp16_overflow 0
		.amdhsa_tg_split 0
		.amdhsa_exception_fp_ieee_invalid_op 0
		.amdhsa_exception_fp_denorm_src 0
		.amdhsa_exception_fp_ieee_div_zero 0
		.amdhsa_exception_fp_ieee_overflow 0
		.amdhsa_exception_fp_ieee_underflow 0
		.amdhsa_exception_fp_ieee_inexact 0
		.amdhsa_exception_int_div_zero 0
	.end_amdhsa_kernel
	.section	.text._ZN7rocprim17ROCPRIM_400000_NS6detail17trampoline_kernelINS0_14default_configENS1_35adjacent_difference_config_selectorILb1EfEEZNS1_24adjacent_difference_implIS3_Lb1ELb0EPfS7_N6thrust23THRUST_200600_302600_NS5minusIfEEEE10hipError_tPvRmT2_T3_mT4_P12ihipStream_tbEUlT_E_NS1_11comp_targetILNS1_3genE10ELNS1_11target_archE1201ELNS1_3gpuE5ELNS1_3repE0EEENS1_30default_config_static_selectorELNS0_4arch9wavefront6targetE1EEEvT1_,"axG",@progbits,_ZN7rocprim17ROCPRIM_400000_NS6detail17trampoline_kernelINS0_14default_configENS1_35adjacent_difference_config_selectorILb1EfEEZNS1_24adjacent_difference_implIS3_Lb1ELb0EPfS7_N6thrust23THRUST_200600_302600_NS5minusIfEEEE10hipError_tPvRmT2_T3_mT4_P12ihipStream_tbEUlT_E_NS1_11comp_targetILNS1_3genE10ELNS1_11target_archE1201ELNS1_3gpuE5ELNS1_3repE0EEENS1_30default_config_static_selectorELNS0_4arch9wavefront6targetE1EEEvT1_,comdat
.Lfunc_end171:
	.size	_ZN7rocprim17ROCPRIM_400000_NS6detail17trampoline_kernelINS0_14default_configENS1_35adjacent_difference_config_selectorILb1EfEEZNS1_24adjacent_difference_implIS3_Lb1ELb0EPfS7_N6thrust23THRUST_200600_302600_NS5minusIfEEEE10hipError_tPvRmT2_T3_mT4_P12ihipStream_tbEUlT_E_NS1_11comp_targetILNS1_3genE10ELNS1_11target_archE1201ELNS1_3gpuE5ELNS1_3repE0EEENS1_30default_config_static_selectorELNS0_4arch9wavefront6targetE1EEEvT1_, .Lfunc_end171-_ZN7rocprim17ROCPRIM_400000_NS6detail17trampoline_kernelINS0_14default_configENS1_35adjacent_difference_config_selectorILb1EfEEZNS1_24adjacent_difference_implIS3_Lb1ELb0EPfS7_N6thrust23THRUST_200600_302600_NS5minusIfEEEE10hipError_tPvRmT2_T3_mT4_P12ihipStream_tbEUlT_E_NS1_11comp_targetILNS1_3genE10ELNS1_11target_archE1201ELNS1_3gpuE5ELNS1_3repE0EEENS1_30default_config_static_selectorELNS0_4arch9wavefront6targetE1EEEvT1_
                                        ; -- End function
	.section	.AMDGPU.csdata,"",@progbits
; Kernel info:
; codeLenInByte = 0
; NumSgprs: 4
; NumVgprs: 0
; NumAgprs: 0
; TotalNumVgprs: 0
; ScratchSize: 0
; MemoryBound: 0
; FloatMode: 240
; IeeeMode: 1
; LDSByteSize: 0 bytes/workgroup (compile time only)
; SGPRBlocks: 0
; VGPRBlocks: 0
; NumSGPRsForWavesPerEU: 4
; NumVGPRsForWavesPerEU: 1
; AccumOffset: 4
; Occupancy: 8
; WaveLimiterHint : 0
; COMPUTE_PGM_RSRC2:SCRATCH_EN: 0
; COMPUTE_PGM_RSRC2:USER_SGPR: 6
; COMPUTE_PGM_RSRC2:TRAP_HANDLER: 0
; COMPUTE_PGM_RSRC2:TGID_X_EN: 1
; COMPUTE_PGM_RSRC2:TGID_Y_EN: 0
; COMPUTE_PGM_RSRC2:TGID_Z_EN: 0
; COMPUTE_PGM_RSRC2:TIDIG_COMP_CNT: 0
; COMPUTE_PGM_RSRC3_GFX90A:ACCUM_OFFSET: 0
; COMPUTE_PGM_RSRC3_GFX90A:TG_SPLIT: 0
	.section	.text._ZN7rocprim17ROCPRIM_400000_NS6detail17trampoline_kernelINS0_14default_configENS1_35adjacent_difference_config_selectorILb1EfEEZNS1_24adjacent_difference_implIS3_Lb1ELb0EPfS7_N6thrust23THRUST_200600_302600_NS5minusIfEEEE10hipError_tPvRmT2_T3_mT4_P12ihipStream_tbEUlT_E_NS1_11comp_targetILNS1_3genE5ELNS1_11target_archE942ELNS1_3gpuE9ELNS1_3repE0EEENS1_30default_config_static_selectorELNS0_4arch9wavefront6targetE1EEEvT1_,"axG",@progbits,_ZN7rocprim17ROCPRIM_400000_NS6detail17trampoline_kernelINS0_14default_configENS1_35adjacent_difference_config_selectorILb1EfEEZNS1_24adjacent_difference_implIS3_Lb1ELb0EPfS7_N6thrust23THRUST_200600_302600_NS5minusIfEEEE10hipError_tPvRmT2_T3_mT4_P12ihipStream_tbEUlT_E_NS1_11comp_targetILNS1_3genE5ELNS1_11target_archE942ELNS1_3gpuE9ELNS1_3repE0EEENS1_30default_config_static_selectorELNS0_4arch9wavefront6targetE1EEEvT1_,comdat
	.protected	_ZN7rocprim17ROCPRIM_400000_NS6detail17trampoline_kernelINS0_14default_configENS1_35adjacent_difference_config_selectorILb1EfEEZNS1_24adjacent_difference_implIS3_Lb1ELb0EPfS7_N6thrust23THRUST_200600_302600_NS5minusIfEEEE10hipError_tPvRmT2_T3_mT4_P12ihipStream_tbEUlT_E_NS1_11comp_targetILNS1_3genE5ELNS1_11target_archE942ELNS1_3gpuE9ELNS1_3repE0EEENS1_30default_config_static_selectorELNS0_4arch9wavefront6targetE1EEEvT1_ ; -- Begin function _ZN7rocprim17ROCPRIM_400000_NS6detail17trampoline_kernelINS0_14default_configENS1_35adjacent_difference_config_selectorILb1EfEEZNS1_24adjacent_difference_implIS3_Lb1ELb0EPfS7_N6thrust23THRUST_200600_302600_NS5minusIfEEEE10hipError_tPvRmT2_T3_mT4_P12ihipStream_tbEUlT_E_NS1_11comp_targetILNS1_3genE5ELNS1_11target_archE942ELNS1_3gpuE9ELNS1_3repE0EEENS1_30default_config_static_selectorELNS0_4arch9wavefront6targetE1EEEvT1_
	.globl	_ZN7rocprim17ROCPRIM_400000_NS6detail17trampoline_kernelINS0_14default_configENS1_35adjacent_difference_config_selectorILb1EfEEZNS1_24adjacent_difference_implIS3_Lb1ELb0EPfS7_N6thrust23THRUST_200600_302600_NS5minusIfEEEE10hipError_tPvRmT2_T3_mT4_P12ihipStream_tbEUlT_E_NS1_11comp_targetILNS1_3genE5ELNS1_11target_archE942ELNS1_3gpuE9ELNS1_3repE0EEENS1_30default_config_static_selectorELNS0_4arch9wavefront6targetE1EEEvT1_
	.p2align	8
	.type	_ZN7rocprim17ROCPRIM_400000_NS6detail17trampoline_kernelINS0_14default_configENS1_35adjacent_difference_config_selectorILb1EfEEZNS1_24adjacent_difference_implIS3_Lb1ELb0EPfS7_N6thrust23THRUST_200600_302600_NS5minusIfEEEE10hipError_tPvRmT2_T3_mT4_P12ihipStream_tbEUlT_E_NS1_11comp_targetILNS1_3genE5ELNS1_11target_archE942ELNS1_3gpuE9ELNS1_3repE0EEENS1_30default_config_static_selectorELNS0_4arch9wavefront6targetE1EEEvT1_,@function
_ZN7rocprim17ROCPRIM_400000_NS6detail17trampoline_kernelINS0_14default_configENS1_35adjacent_difference_config_selectorILb1EfEEZNS1_24adjacent_difference_implIS3_Lb1ELb0EPfS7_N6thrust23THRUST_200600_302600_NS5minusIfEEEE10hipError_tPvRmT2_T3_mT4_P12ihipStream_tbEUlT_E_NS1_11comp_targetILNS1_3genE5ELNS1_11target_archE942ELNS1_3gpuE9ELNS1_3repE0EEENS1_30default_config_static_selectorELNS0_4arch9wavefront6targetE1EEEvT1_: ; @_ZN7rocprim17ROCPRIM_400000_NS6detail17trampoline_kernelINS0_14default_configENS1_35adjacent_difference_config_selectorILb1EfEEZNS1_24adjacent_difference_implIS3_Lb1ELb0EPfS7_N6thrust23THRUST_200600_302600_NS5minusIfEEEE10hipError_tPvRmT2_T3_mT4_P12ihipStream_tbEUlT_E_NS1_11comp_targetILNS1_3genE5ELNS1_11target_archE942ELNS1_3gpuE9ELNS1_3repE0EEENS1_30default_config_static_selectorELNS0_4arch9wavefront6targetE1EEEvT1_
; %bb.0:
	.section	.rodata,"a",@progbits
	.p2align	6, 0x0
	.amdhsa_kernel _ZN7rocprim17ROCPRIM_400000_NS6detail17trampoline_kernelINS0_14default_configENS1_35adjacent_difference_config_selectorILb1EfEEZNS1_24adjacent_difference_implIS3_Lb1ELb0EPfS7_N6thrust23THRUST_200600_302600_NS5minusIfEEEE10hipError_tPvRmT2_T3_mT4_P12ihipStream_tbEUlT_E_NS1_11comp_targetILNS1_3genE5ELNS1_11target_archE942ELNS1_3gpuE9ELNS1_3repE0EEENS1_30default_config_static_selectorELNS0_4arch9wavefront6targetE1EEEvT1_
		.amdhsa_group_segment_fixed_size 0
		.amdhsa_private_segment_fixed_size 0
		.amdhsa_kernarg_size 56
		.amdhsa_user_sgpr_count 6
		.amdhsa_user_sgpr_private_segment_buffer 1
		.amdhsa_user_sgpr_dispatch_ptr 0
		.amdhsa_user_sgpr_queue_ptr 0
		.amdhsa_user_sgpr_kernarg_segment_ptr 1
		.amdhsa_user_sgpr_dispatch_id 0
		.amdhsa_user_sgpr_flat_scratch_init 0
		.amdhsa_user_sgpr_kernarg_preload_length 0
		.amdhsa_user_sgpr_kernarg_preload_offset 0
		.amdhsa_user_sgpr_private_segment_size 0
		.amdhsa_uses_dynamic_stack 0
		.amdhsa_system_sgpr_private_segment_wavefront_offset 0
		.amdhsa_system_sgpr_workgroup_id_x 1
		.amdhsa_system_sgpr_workgroup_id_y 0
		.amdhsa_system_sgpr_workgroup_id_z 0
		.amdhsa_system_sgpr_workgroup_info 0
		.amdhsa_system_vgpr_workitem_id 0
		.amdhsa_next_free_vgpr 1
		.amdhsa_next_free_sgpr 0
		.amdhsa_accum_offset 4
		.amdhsa_reserve_vcc 0
		.amdhsa_reserve_flat_scratch 0
		.amdhsa_float_round_mode_32 0
		.amdhsa_float_round_mode_16_64 0
		.amdhsa_float_denorm_mode_32 3
		.amdhsa_float_denorm_mode_16_64 3
		.amdhsa_dx10_clamp 1
		.amdhsa_ieee_mode 1
		.amdhsa_fp16_overflow 0
		.amdhsa_tg_split 0
		.amdhsa_exception_fp_ieee_invalid_op 0
		.amdhsa_exception_fp_denorm_src 0
		.amdhsa_exception_fp_ieee_div_zero 0
		.amdhsa_exception_fp_ieee_overflow 0
		.amdhsa_exception_fp_ieee_underflow 0
		.amdhsa_exception_fp_ieee_inexact 0
		.amdhsa_exception_int_div_zero 0
	.end_amdhsa_kernel
	.section	.text._ZN7rocprim17ROCPRIM_400000_NS6detail17trampoline_kernelINS0_14default_configENS1_35adjacent_difference_config_selectorILb1EfEEZNS1_24adjacent_difference_implIS3_Lb1ELb0EPfS7_N6thrust23THRUST_200600_302600_NS5minusIfEEEE10hipError_tPvRmT2_T3_mT4_P12ihipStream_tbEUlT_E_NS1_11comp_targetILNS1_3genE5ELNS1_11target_archE942ELNS1_3gpuE9ELNS1_3repE0EEENS1_30default_config_static_selectorELNS0_4arch9wavefront6targetE1EEEvT1_,"axG",@progbits,_ZN7rocprim17ROCPRIM_400000_NS6detail17trampoline_kernelINS0_14default_configENS1_35adjacent_difference_config_selectorILb1EfEEZNS1_24adjacent_difference_implIS3_Lb1ELb0EPfS7_N6thrust23THRUST_200600_302600_NS5minusIfEEEE10hipError_tPvRmT2_T3_mT4_P12ihipStream_tbEUlT_E_NS1_11comp_targetILNS1_3genE5ELNS1_11target_archE942ELNS1_3gpuE9ELNS1_3repE0EEENS1_30default_config_static_selectorELNS0_4arch9wavefront6targetE1EEEvT1_,comdat
.Lfunc_end172:
	.size	_ZN7rocprim17ROCPRIM_400000_NS6detail17trampoline_kernelINS0_14default_configENS1_35adjacent_difference_config_selectorILb1EfEEZNS1_24adjacent_difference_implIS3_Lb1ELb0EPfS7_N6thrust23THRUST_200600_302600_NS5minusIfEEEE10hipError_tPvRmT2_T3_mT4_P12ihipStream_tbEUlT_E_NS1_11comp_targetILNS1_3genE5ELNS1_11target_archE942ELNS1_3gpuE9ELNS1_3repE0EEENS1_30default_config_static_selectorELNS0_4arch9wavefront6targetE1EEEvT1_, .Lfunc_end172-_ZN7rocprim17ROCPRIM_400000_NS6detail17trampoline_kernelINS0_14default_configENS1_35adjacent_difference_config_selectorILb1EfEEZNS1_24adjacent_difference_implIS3_Lb1ELb0EPfS7_N6thrust23THRUST_200600_302600_NS5minusIfEEEE10hipError_tPvRmT2_T3_mT4_P12ihipStream_tbEUlT_E_NS1_11comp_targetILNS1_3genE5ELNS1_11target_archE942ELNS1_3gpuE9ELNS1_3repE0EEENS1_30default_config_static_selectorELNS0_4arch9wavefront6targetE1EEEvT1_
                                        ; -- End function
	.section	.AMDGPU.csdata,"",@progbits
; Kernel info:
; codeLenInByte = 0
; NumSgprs: 4
; NumVgprs: 0
; NumAgprs: 0
; TotalNumVgprs: 0
; ScratchSize: 0
; MemoryBound: 0
; FloatMode: 240
; IeeeMode: 1
; LDSByteSize: 0 bytes/workgroup (compile time only)
; SGPRBlocks: 0
; VGPRBlocks: 0
; NumSGPRsForWavesPerEU: 4
; NumVGPRsForWavesPerEU: 1
; AccumOffset: 4
; Occupancy: 8
; WaveLimiterHint : 0
; COMPUTE_PGM_RSRC2:SCRATCH_EN: 0
; COMPUTE_PGM_RSRC2:USER_SGPR: 6
; COMPUTE_PGM_RSRC2:TRAP_HANDLER: 0
; COMPUTE_PGM_RSRC2:TGID_X_EN: 1
; COMPUTE_PGM_RSRC2:TGID_Y_EN: 0
; COMPUTE_PGM_RSRC2:TGID_Z_EN: 0
; COMPUTE_PGM_RSRC2:TIDIG_COMP_CNT: 0
; COMPUTE_PGM_RSRC3_GFX90A:ACCUM_OFFSET: 0
; COMPUTE_PGM_RSRC3_GFX90A:TG_SPLIT: 0
	.section	.text._ZN7rocprim17ROCPRIM_400000_NS6detail17trampoline_kernelINS0_14default_configENS1_35adjacent_difference_config_selectorILb1EfEEZNS1_24adjacent_difference_implIS3_Lb1ELb0EPfS7_N6thrust23THRUST_200600_302600_NS5minusIfEEEE10hipError_tPvRmT2_T3_mT4_P12ihipStream_tbEUlT_E_NS1_11comp_targetILNS1_3genE4ELNS1_11target_archE910ELNS1_3gpuE8ELNS1_3repE0EEENS1_30default_config_static_selectorELNS0_4arch9wavefront6targetE1EEEvT1_,"axG",@progbits,_ZN7rocprim17ROCPRIM_400000_NS6detail17trampoline_kernelINS0_14default_configENS1_35adjacent_difference_config_selectorILb1EfEEZNS1_24adjacent_difference_implIS3_Lb1ELb0EPfS7_N6thrust23THRUST_200600_302600_NS5minusIfEEEE10hipError_tPvRmT2_T3_mT4_P12ihipStream_tbEUlT_E_NS1_11comp_targetILNS1_3genE4ELNS1_11target_archE910ELNS1_3gpuE8ELNS1_3repE0EEENS1_30default_config_static_selectorELNS0_4arch9wavefront6targetE1EEEvT1_,comdat
	.protected	_ZN7rocprim17ROCPRIM_400000_NS6detail17trampoline_kernelINS0_14default_configENS1_35adjacent_difference_config_selectorILb1EfEEZNS1_24adjacent_difference_implIS3_Lb1ELb0EPfS7_N6thrust23THRUST_200600_302600_NS5minusIfEEEE10hipError_tPvRmT2_T3_mT4_P12ihipStream_tbEUlT_E_NS1_11comp_targetILNS1_3genE4ELNS1_11target_archE910ELNS1_3gpuE8ELNS1_3repE0EEENS1_30default_config_static_selectorELNS0_4arch9wavefront6targetE1EEEvT1_ ; -- Begin function _ZN7rocprim17ROCPRIM_400000_NS6detail17trampoline_kernelINS0_14default_configENS1_35adjacent_difference_config_selectorILb1EfEEZNS1_24adjacent_difference_implIS3_Lb1ELb0EPfS7_N6thrust23THRUST_200600_302600_NS5minusIfEEEE10hipError_tPvRmT2_T3_mT4_P12ihipStream_tbEUlT_E_NS1_11comp_targetILNS1_3genE4ELNS1_11target_archE910ELNS1_3gpuE8ELNS1_3repE0EEENS1_30default_config_static_selectorELNS0_4arch9wavefront6targetE1EEEvT1_
	.globl	_ZN7rocprim17ROCPRIM_400000_NS6detail17trampoline_kernelINS0_14default_configENS1_35adjacent_difference_config_selectorILb1EfEEZNS1_24adjacent_difference_implIS3_Lb1ELb0EPfS7_N6thrust23THRUST_200600_302600_NS5minusIfEEEE10hipError_tPvRmT2_T3_mT4_P12ihipStream_tbEUlT_E_NS1_11comp_targetILNS1_3genE4ELNS1_11target_archE910ELNS1_3gpuE8ELNS1_3repE0EEENS1_30default_config_static_selectorELNS0_4arch9wavefront6targetE1EEEvT1_
	.p2align	8
	.type	_ZN7rocprim17ROCPRIM_400000_NS6detail17trampoline_kernelINS0_14default_configENS1_35adjacent_difference_config_selectorILb1EfEEZNS1_24adjacent_difference_implIS3_Lb1ELb0EPfS7_N6thrust23THRUST_200600_302600_NS5minusIfEEEE10hipError_tPvRmT2_T3_mT4_P12ihipStream_tbEUlT_E_NS1_11comp_targetILNS1_3genE4ELNS1_11target_archE910ELNS1_3gpuE8ELNS1_3repE0EEENS1_30default_config_static_selectorELNS0_4arch9wavefront6targetE1EEEvT1_,@function
_ZN7rocprim17ROCPRIM_400000_NS6detail17trampoline_kernelINS0_14default_configENS1_35adjacent_difference_config_selectorILb1EfEEZNS1_24adjacent_difference_implIS3_Lb1ELb0EPfS7_N6thrust23THRUST_200600_302600_NS5minusIfEEEE10hipError_tPvRmT2_T3_mT4_P12ihipStream_tbEUlT_E_NS1_11comp_targetILNS1_3genE4ELNS1_11target_archE910ELNS1_3gpuE8ELNS1_3repE0EEENS1_30default_config_static_selectorELNS0_4arch9wavefront6targetE1EEEvT1_: ; @_ZN7rocprim17ROCPRIM_400000_NS6detail17trampoline_kernelINS0_14default_configENS1_35adjacent_difference_config_selectorILb1EfEEZNS1_24adjacent_difference_implIS3_Lb1ELb0EPfS7_N6thrust23THRUST_200600_302600_NS5minusIfEEEE10hipError_tPvRmT2_T3_mT4_P12ihipStream_tbEUlT_E_NS1_11comp_targetILNS1_3genE4ELNS1_11target_archE910ELNS1_3gpuE8ELNS1_3repE0EEENS1_30default_config_static_selectorELNS0_4arch9wavefront6targetE1EEEvT1_
; %bb.0:
	s_load_dwordx8 s[8:15], s[4:5], 0x0
	s_mov_b32 s0, 0x59999780
	s_load_dwordx4 s[16:19], s[4:5], 0x28
	s_movk_i32 s2, 0xa00
	s_mul_i32 s4, s6, 0xa00
	s_waitcnt lgkmcnt(0)
	s_lshl_b64 s[10:11], s[10:11], 2
	s_add_u32 s26, s8, s10
	s_addc_u32 s27, s9, s11
	s_add_u32 s0, 0xe0, s0
	s_addc_u32 s3, 0, 0
	v_add_co_u32_e64 v1, s[0:1], s0, 2.0
	s_cmp_lg_u64 s[0:1], 0
	s_addc_u32 s0, s3, 0x199999
	v_readfirstlane_b32 s3, v1
	s_mul_hi_u32 s5, s3, 0xfffff600
	s_mul_i32 s1, s0, 0xfffff600
	s_sub_i32 s5, s5, s3
	s_add_i32 s5, s5, s1
	s_mul_i32 s9, s3, 0xfffff600
	s_mul_hi_u32 s1, s3, s5
	s_mul_i32 s8, s3, s5
	s_mul_hi_u32 s3, s3, s9
	s_add_u32 s3, s3, s8
	s_addc_u32 s1, 0, s1
	s_mul_hi_u32 s20, s0, s9
	s_mul_i32 s9, s0, s9
	s_add_u32 s3, s3, s9
	s_mul_hi_u32 s8, s0, s5
	s_addc_u32 s1, s1, s20
	s_addc_u32 s3, s8, 0
	s_mul_i32 s5, s0, s5
	s_add_u32 s1, s1, s5
	s_addc_u32 s3, 0, s3
	v_add_co_u32_e32 v1, vcc, s1, v1
	s_cmp_lg_u64 vcc, 0
	s_addc_u32 s0, s0, s3
	v_readfirstlane_b32 s5, v1
	s_mul_i32 s3, s14, s0
	s_mul_hi_u32 s8, s14, s5
	s_mul_hi_u32 s1, s14, s0
	s_add_u32 s3, s8, s3
	s_addc_u32 s1, 0, s1
	s_mul_hi_u32 s9, s15, s5
	s_mul_i32 s5, s15, s5
	s_add_u32 s3, s3, s5
	s_mul_hi_u32 s8, s15, s0
	s_addc_u32 s1, s1, s9
	s_addc_u32 s3, s8, 0
	s_mul_i32 s0, s15, s0
	s_add_u32 s0, s1, s0
	s_addc_u32 s1, 0, s3
	s_add_u32 s3, s0, 1
	s_addc_u32 s5, s1, 0
	s_add_u32 s8, s0, 2
	s_mul_i32 s20, s1, 0xa00
	s_mul_hi_u32 s21, s0, 0xa00
	s_addc_u32 s9, s1, 0
	s_add_i32 s21, s21, s20
	s_mul_i32 s20, s0, 0xa00
	v_mov_b32_e32 v1, s20
	v_sub_co_u32_e32 v1, vcc, s14, v1
	s_cmp_lg_u64 vcc, 0
	s_subb_u32 s20, s15, s21
	v_subrev_co_u32_e32 v2, vcc, s2, v1
	s_cmp_lg_u64 vcc, 0
	s_subb_u32 s2, s20, 0
	v_readfirstlane_b32 s21, v2
	s_cmpk_gt_u32 s21, 0x9ff
	s_cselect_b32 s21, -1, 0
	s_cmp_eq_u32 s2, 0
	s_cselect_b32 s2, s21, -1
	s_cmp_lg_u32 s2, 0
	s_cselect_b32 s2, s8, s3
	s_cselect_b32 s3, s9, s5
	v_readfirstlane_b32 s5, v1
	s_cmpk_gt_u32 s5, 0x9ff
	s_cselect_b32 s5, -1, 0
	s_cmp_eq_u32 s20, 0
	s_cselect_b32 s5, s5, -1
	s_cmp_lg_u32 s5, 0
	s_cselect_b32 s3, s3, s1
	s_cselect_b32 s2, s2, s0
	s_mul_i32 s0, s3, 0xa00
	s_mul_hi_u32 s1, s2, 0xa00
	s_add_i32 s1, s1, s0
	s_mul_i32 s0, s2, 0xa00
	s_sub_u32 s0, s14, s0
	s_subb_u32 s1, s15, s1
	s_cmp_lg_u64 s[0:1], 0
	s_cselect_b64 s[0:1], -1, 0
	v_cndmask_b32_e64 v1, 0, 1, s[0:1]
	v_readfirstlane_b32 s0, v1
	s_add_u32 s2, s2, s0
	s_addc_u32 s3, s3, 0
	s_add_u32 s8, s18, s6
	s_addc_u32 s9, s19, 0
	s_add_u32 s20, s2, -1
	s_addc_u32 s21, s3, -1
	v_pk_mov_b32 v[2:3], s[20:21], s[20:21] op_sel:[0,1]
	v_cmp_ge_u64_e64 s[0:1], s[8:9], v[2:3]
	s_mov_b32 s7, 0
	s_mov_b64 s[22:23], -1
	s_and_b64 vcc, exec, s[0:1]
	s_mul_i32 s15, s20, 0xfffff600
	s_cbranch_vccz .LBB173_12
; %bb.1:
	s_mov_b32 s5, s7
	s_add_i32 s28, s15, s14
	s_lshl_b64 s[22:23], s[4:5], 2
	s_add_u32 s22, s26, s22
	s_addc_u32 s23, s27, s23
	v_cmp_gt_u32_e32 vcc, s28, v0
                                        ; implicit-def: $vgpr2_vgpr3_vgpr4_vgpr5_vgpr6
	s_and_saveexec_b64 s[24:25], vcc
	s_cbranch_execz .LBB173_3
; %bb.2:
	v_lshlrev_b32_e32 v1, 2, v0
	global_load_dword v2, v1, s[22:23]
.LBB173_3:
	s_or_b64 exec, exec, s[24:25]
	v_or_b32_e32 v1, 0x200, v0
	v_cmp_gt_u32_e32 vcc, s28, v1
	s_and_saveexec_b64 s[24:25], vcc
	s_cbranch_execz .LBB173_5
; %bb.4:
	v_lshlrev_b32_e32 v1, 2, v0
	global_load_dword v3, v1, s[22:23] offset:2048
.LBB173_5:
	s_or_b64 exec, exec, s[24:25]
	v_or_b32_e32 v1, 0x400, v0
	v_cmp_gt_u32_e32 vcc, s28, v1
	s_and_saveexec_b64 s[24:25], vcc
	s_cbranch_execz .LBB173_7
; %bb.6:
	v_lshlrev_b32_e32 v1, 2, v1
	global_load_dword v4, v1, s[22:23]
.LBB173_7:
	s_or_b64 exec, exec, s[24:25]
	v_or_b32_e32 v1, 0x600, v0
	v_cmp_gt_u32_e32 vcc, s28, v1
	s_and_saveexec_b64 s[24:25], vcc
	s_cbranch_execz .LBB173_9
; %bb.8:
	v_lshlrev_b32_e32 v1, 2, v1
	global_load_dword v5, v1, s[22:23]
.LBB173_9:
	;; [unrolled: 9-line block ×3, first 2 shown]
	s_or_b64 exec, exec, s[24:25]
	v_lshlrev_b32_e32 v1, 2, v0
	s_mov_b64 s[22:23], 0
	s_waitcnt vmcnt(0)
	ds_write2st64_b32 v1, v2, v3 offset1:8
	ds_write2st64_b32 v1, v4, v5 offset0:16 offset1:24
	ds_write_b32 v1, v6 offset:8192
	s_waitcnt lgkmcnt(0)
	s_barrier
.LBB173_12:
	s_and_b64 vcc, exec, s[22:23]
	v_lshlrev_b32_e32 v1, 2, v0
	s_cbranch_vccz .LBB173_14
; %bb.13:
	s_mov_b32 s5, 0
	s_lshl_b64 s[22:23], s[4:5], 2
	s_add_u32 s22, s26, s22
	s_addc_u32 s23, s27, s23
	v_mov_b32_e32 v2, s23
	v_add_co_u32_e32 v4, vcc, s22, v1
	v_addc_co_u32_e32 v5, vcc, 0, v2, vcc
	v_add_co_u32_e32 v2, vcc, 0x1000, v4
	v_addc_co_u32_e32 v3, vcc, 0, v5, vcc
	global_load_dword v6, v1, s[22:23]
	global_load_dword v7, v1, s[22:23] offset:2048
	global_load_dword v8, v[2:3], off
	global_load_dword v9, v[2:3], off offset:2048
	v_add_co_u32_e32 v2, vcc, 0x2000, v4
	v_addc_co_u32_e32 v3, vcc, 0, v5, vcc
	global_load_dword v2, v[2:3], off
	s_waitcnt vmcnt(3)
	ds_write2st64_b32 v1, v6, v7 offset1:8
	s_waitcnt vmcnt(1)
	ds_write2st64_b32 v1, v8, v9 offset0:16 offset1:24
	s_waitcnt vmcnt(0)
	ds_write_b32 v1, v2 offset:8192
	s_waitcnt lgkmcnt(0)
	s_barrier
.LBB173_14:
	v_mul_u32_u24_e32 v2, 5, v0
	v_lshlrev_b32_e32 v3, 2, v2
	ds_read_b32 v2, v3
	ds_read2_b32 v[4:5], v3 offset0:1 offset1:2
	ds_read2_b32 v[6:7], v3 offset0:3 offset1:4
	s_cmp_eq_u64 s[8:9], 0
	s_waitcnt lgkmcnt(0)
	s_barrier
	s_cbranch_scc1 .LBB173_19
; %bb.15:
	s_lshl_b64 s[18:19], s[18:19], 2
	s_add_u32 s5, s16, s18
	s_addc_u32 s16, s17, s19
	s_lshl_b64 s[6:7], s[6:7], 2
	s_add_u32 s5, s5, s6
	s_addc_u32 s7, s16, s7
	s_add_u32 s6, s5, -4
	s_addc_u32 s7, s7, -1
	s_load_dword s5, s[6:7], 0x0
	s_cmp_eq_u64 s[8:9], s[20:21]
	s_cbranch_scc1 .LBB173_21
; %bb.16:
	v_cmp_ne_u32_e32 vcc, 0, v0
	s_waitcnt lgkmcnt(0)
	v_mov_b32_e32 v8, s5
	ds_write_b32 v1, v7
	s_waitcnt lgkmcnt(0)
	s_barrier
	s_and_saveexec_b64 s[6:7], vcc
	s_cbranch_execz .LBB173_18
; %bb.17:
	v_add_u32_e32 v3, -4, v1
	ds_read_b32 v8, v3
.LBB173_18:
	s_or_b64 exec, exec, s[6:7]
	v_mov_b32_e32 v10, v5
	v_mov_b32_e32 v11, v6
	v_mov_b32_e32 v3, v4
	v_pk_add_f32 v[10:11], v[6:7], v[10:11] neg_lo:[0,1] neg_hi:[0,1]
	v_pk_add_f32 v[12:13], v[4:5], v[2:3] neg_lo:[0,1] neg_hi:[0,1]
	s_waitcnt lgkmcnt(0)
	v_sub_f32_e32 v8, v2, v8
	s_branch .LBB173_25
.LBB173_19:
	s_mov_b64 s[6:7], 0
                                        ; implicit-def: $vgpr11
                                        ; implicit-def: $vgpr13
                                        ; implicit-def: $vgpr8
	s_branch .LBB173_26
.LBB173_20:
                                        ; implicit-def: $vgpr2_vgpr3_vgpr4_vgpr5_vgpr6
	s_branch .LBB173_34
.LBB173_21:
                                        ; implicit-def: $vgpr11
                                        ; implicit-def: $vgpr13
                                        ; implicit-def: $vgpr8
	s_cbranch_execz .LBB173_25
; %bb.22:
	v_mul_u32_u24_e32 v3, 5, v0
	v_cmp_ne_u32_e32 vcc, 0, v0
	s_waitcnt lgkmcnt(0)
	v_mov_b32_e32 v8, s5
	ds_write_b32 v1, v7
	s_waitcnt lgkmcnt(0)
	s_barrier
	s_and_saveexec_b64 s[6:7], vcc
	s_cbranch_execz .LBB173_24
; %bb.23:
	v_add_u32_e32 v8, -4, v1
	ds_read_b32 v8, v8
.LBB173_24:
	s_or_b64 exec, exec, s[6:7]
	s_mul_i32 s5, s8, 0xfffff600
	s_add_i32 s5, s5, s14
	v_add_u32_e32 v9, 4, v3
	v_mov_b32_e32 v10, v7
	v_pk_add_f32 v[10:11], v[10:11], v[6:7] neg_lo:[0,1] neg_hi:[0,1]
	v_cmp_gt_u32_e32 vcc, s5, v9
	v_add_u32_e32 v9, 3, v3
	v_mov_b32_e32 v12, v5
	v_cndmask_b32_e32 v11, v7, v10, vcc
	v_pk_add_f32 v[14:15], v[6:7], v[12:13] neg_lo:[0,1] neg_hi:[0,1]
	v_cmp_gt_u32_e32 vcc, s5, v9
	v_add_u32_e32 v9, 2, v3
	v_cndmask_b32_e32 v10, v6, v14, vcc
	v_pk_add_f32 v[12:13], v[12:13], v[4:5] neg_lo:[0,1] neg_hi:[0,1]
	v_cmp_gt_u32_e32 vcc, s5, v9
	v_add_u32_e32 v9, 1, v3
	v_cndmask_b32_e32 v13, v5, v12, vcc
	v_sub_f32_e32 v12, v4, v2
	v_cmp_gt_u32_e32 vcc, s5, v9
	v_cndmask_b32_e32 v12, v4, v12, vcc
	s_waitcnt lgkmcnt(0)
	v_sub_f32_e32 v8, v2, v8
	v_cmp_gt_u32_e32 vcc, s5, v3
	v_cndmask_b32_e32 v8, v2, v8, vcc
.LBB173_25:
	s_mov_b64 s[6:7], -1
	s_cbranch_execnz .LBB173_20
.LBB173_26:
	s_cmp_lg_u64 s[2:3], 1
	v_cmp_ne_u32_e32 vcc, 0, v0
	s_cbranch_scc0 .LBB173_30
; %bb.27:
	v_mov_b32_e32 v8, v5
	v_mov_b32_e32 v9, v6
	;; [unrolled: 1-line block ×3, first 2 shown]
	v_pk_add_f32 v[10:11], v[6:7], v[8:9] neg_lo:[0,1] neg_hi:[0,1]
	v_pk_add_f32 v[12:13], v[4:5], v[2:3] neg_lo:[0,1] neg_hi:[0,1]
	ds_write_b32 v1, v7
	s_waitcnt lgkmcnt(0)
	s_barrier
	s_waitcnt lgkmcnt(0)
                                        ; implicit-def: $vgpr8
	s_and_saveexec_b64 s[2:3], vcc
	s_cbranch_execz .LBB173_29
; %bb.28:
	v_add_u32_e32 v3, -4, v1
	ds_read_b32 v3, v3
	s_or_b64 s[6:7], s[6:7], exec
	s_waitcnt lgkmcnt(0)
	v_sub_f32_e32 v8, v2, v3
.LBB173_29:
	s_or_b64 exec, exec, s[2:3]
	s_branch .LBB173_34
.LBB173_30:
                                        ; implicit-def: $vgpr11
                                        ; implicit-def: $vgpr13
                                        ; implicit-def: $vgpr8
	s_cbranch_execz .LBB173_34
; %bb.31:
	v_mad_u32_u24 v10, v0, 5, 4
	v_mov_b32_e32 v8, v7
	v_pk_add_f32 v[8:9], v[8:9], v[6:7] neg_lo:[0,1] neg_hi:[0,1]
	v_cmp_gt_u32_e32 vcc, s14, v10
	v_cndmask_b32_e32 v11, v7, v8, vcc
	v_mad_u32_u24 v9, v0, 5, 3
	v_mov_b32_e32 v8, v5
	v_pk_add_f32 v[12:13], v[6:7], v[8:9] neg_lo:[0,1] neg_hi:[0,1]
	v_cmp_gt_u32_e32 vcc, s14, v9
	v_mad_u32_u24 v9, v0, 5, 2
	ds_write_b32 v1, v7
	v_cndmask_b32_e32 v10, v6, v12, vcc
	v_pk_add_f32 v[6:7], v[8:9], v[4:5] neg_lo:[0,1] neg_hi:[0,1]
	v_cmp_gt_u32_e32 vcc, s14, v9
	v_cndmask_b32_e32 v13, v5, v6, vcc
	v_mad_u32_u24 v5, v0, 5, 1
	v_mul_u32_u24_e32 v3, 5, v0
	v_sub_f32_e32 v6, v4, v2
	v_cmp_gt_u32_e32 vcc, s14, v5
	v_cndmask_b32_e32 v12, v4, v6, vcc
	v_cmp_ne_u32_e32 vcc, 0, v0
	v_cmp_gt_u32_e64 s[2:3], s14, v3
	s_and_b64 s[8:9], vcc, s[2:3]
	s_waitcnt lgkmcnt(0)
	s_barrier
	s_waitcnt lgkmcnt(0)
                                        ; implicit-def: $vgpr8
	s_and_saveexec_b64 s[2:3], s[8:9]
	s_cbranch_execz .LBB173_33
; %bb.32:
	v_add_u32_e32 v3, -4, v1
	ds_read_b32 v3, v3
	s_or_b64 s[6:7], s[6:7], exec
	s_waitcnt lgkmcnt(0)
	v_sub_f32_e32 v8, v2, v3
                                        ; implicit-def: $vgpr2_vgpr3_vgpr4_vgpr5_vgpr6
.LBB173_33:
	s_or_b64 exec, exec, s[2:3]
.LBB173_34:
	s_and_saveexec_b64 s[2:3], s[6:7]
; %bb.35:
	v_mov_b32_e32 v2, v8
	v_mov_b32_e32 v3, v9
	;; [unrolled: 1-line block ×5, first 2 shown]
; %bb.36:
	s_or_b64 exec, exec, s[2:3]
	s_add_u32 s6, s12, s10
	s_addc_u32 s7, s13, s11
	s_and_b64 vcc, exec, s[0:1]
	v_mul_u32_u24_e32 v3, 20, v0
	v_lshlrev_b32_e32 v14, 4, v0
                                        ; kill: def $vgpr4 killed $vgpr11 killed $exec
	s_waitcnt lgkmcnt(0)
	s_barrier
	s_cbranch_vccz .LBB173_46
; %bb.37:
	s_mov_b32 s5, 0
	s_add_i32 s15, s15, s14
	s_lshl_b64 s[0:1], s[4:5], 2
	v_sub_u32_e32 v4, v3, v14
	s_add_u32 s0, s6, s0
	ds_write2_b32 v3, v2, v12 offset1:1
	ds_write2_b32 v3, v13, v10 offset0:2 offset1:3
	ds_write_b32 v3, v11 offset:16
	s_waitcnt lgkmcnt(0)
	s_barrier
	ds_read2st64_b32 v[8:9], v4 offset0:8 offset1:16
	ds_read2st64_b32 v[4:5], v4 offset0:24 offset1:32
	s_addc_u32 s1, s7, s1
	v_mov_b32_e32 v7, s1
	v_add_co_u32_e32 v6, vcc, s0, v1
	v_addc_co_u32_e32 v7, vcc, 0, v7, vcc
	v_cmp_gt_u32_e32 vcc, s15, v0
	s_and_saveexec_b64 s[0:1], vcc
	s_cbranch_execz .LBB173_39
; %bb.38:
	v_sub_u32_e32 v15, 0, v14
	v_add_u32_e32 v15, v3, v15
	ds_read_b32 v15, v15
	s_waitcnt lgkmcnt(0)
	global_store_dword v[6:7], v15, off
.LBB173_39:
	s_or_b64 exec, exec, s[0:1]
	v_or_b32_e32 v15, 0x200, v0
	v_cmp_gt_u32_e32 vcc, s15, v15
	s_and_saveexec_b64 s[0:1], vcc
	s_cbranch_execz .LBB173_41
; %bb.40:
	s_waitcnt lgkmcnt(1)
	global_store_dword v[6:7], v8, off offset:2048
.LBB173_41:
	s_or_b64 exec, exec, s[0:1]
	s_waitcnt lgkmcnt(1)
	v_or_b32_e32 v8, 0x400, v0
	v_cmp_gt_u32_e32 vcc, s15, v8
	s_and_saveexec_b64 s[0:1], vcc
	s_cbranch_execz .LBB173_43
; %bb.42:
	v_add_co_u32_e32 v16, vcc, 0x1000, v6
	v_addc_co_u32_e32 v17, vcc, 0, v7, vcc
	global_store_dword v[16:17], v9, off
.LBB173_43:
	s_or_b64 exec, exec, s[0:1]
	v_or_b32_e32 v8, 0x600, v0
	v_cmp_gt_u32_e32 vcc, s15, v8
	s_and_saveexec_b64 s[0:1], vcc
	s_cbranch_execz .LBB173_45
; %bb.44:
	v_add_co_u32_e32 v8, vcc, 0x1000, v6
	v_addc_co_u32_e32 v9, vcc, 0, v7, vcc
	s_waitcnt lgkmcnt(0)
	global_store_dword v[8:9], v4, off offset:2048
.LBB173_45:
	s_or_b64 exec, exec, s[0:1]
	v_or_b32_e32 v0, 0x800, v0
	v_cmp_gt_u32_e64 s[0:1], s15, v0
	s_branch .LBB173_48
.LBB173_46:
	s_mov_b64 s[0:1], 0
                                        ; implicit-def: $vgpr5
                                        ; implicit-def: $vgpr6_vgpr7
	s_cbranch_execz .LBB173_48
; %bb.47:
	s_mov_b32 s5, 0
	s_lshl_b64 s[2:3], s[4:5], 2
	s_add_u32 s2, s6, s2
	s_addc_u32 s3, s7, s3
	v_sub_u32_e32 v0, v3, v14
	ds_write2_b32 v3, v2, v12 offset1:1
	ds_write2_b32 v3, v13, v10 offset0:2 offset1:3
	ds_write_b32 v3, v11 offset:16
	s_waitcnt lgkmcnt(0)
	s_barrier
	ds_read2st64_b32 v[2:3], v0 offset1:8
	ds_read2st64_b32 v[8:9], v0 offset0:16 offset1:24
	ds_read_b32 v5, v0 offset:8192
	v_mov_b32_e32 v0, s3
	v_add_co_u32_e32 v6, vcc, s2, v1
	v_addc_co_u32_e32 v7, vcc, 0, v0, vcc
	v_add_co_u32_e32 v0, vcc, 0x1000, v6
	s_waitcnt lgkmcnt(2)
	global_store_dword v1, v2, s[2:3]
	global_store_dword v1, v3, s[2:3] offset:2048
	v_addc_co_u32_e32 v1, vcc, 0, v7, vcc
	s_or_b64 s[0:1], s[0:1], exec
	s_waitcnt lgkmcnt(1)
	global_store_dword v[0:1], v8, off
	global_store_dword v[0:1], v9, off offset:2048
.LBB173_48:
	s_and_saveexec_b64 s[2:3], s[0:1]
	s_cbranch_execnz .LBB173_50
; %bb.49:
	s_endpgm
.LBB173_50:
	v_add_co_u32_e32 v0, vcc, 0x2000, v6
	v_addc_co_u32_e32 v1, vcc, 0, v7, vcc
	s_waitcnt lgkmcnt(0)
	global_store_dword v[0:1], v5, off
	s_endpgm
	.section	.rodata,"a",@progbits
	.p2align	6, 0x0
	.amdhsa_kernel _ZN7rocprim17ROCPRIM_400000_NS6detail17trampoline_kernelINS0_14default_configENS1_35adjacent_difference_config_selectorILb1EfEEZNS1_24adjacent_difference_implIS3_Lb1ELb0EPfS7_N6thrust23THRUST_200600_302600_NS5minusIfEEEE10hipError_tPvRmT2_T3_mT4_P12ihipStream_tbEUlT_E_NS1_11comp_targetILNS1_3genE4ELNS1_11target_archE910ELNS1_3gpuE8ELNS1_3repE0EEENS1_30default_config_static_selectorELNS0_4arch9wavefront6targetE1EEEvT1_
		.amdhsa_group_segment_fixed_size 10240
		.amdhsa_private_segment_fixed_size 0
		.amdhsa_kernarg_size 56
		.amdhsa_user_sgpr_count 6
		.amdhsa_user_sgpr_private_segment_buffer 1
		.amdhsa_user_sgpr_dispatch_ptr 0
		.amdhsa_user_sgpr_queue_ptr 0
		.amdhsa_user_sgpr_kernarg_segment_ptr 1
		.amdhsa_user_sgpr_dispatch_id 0
		.amdhsa_user_sgpr_flat_scratch_init 0
		.amdhsa_user_sgpr_kernarg_preload_length 0
		.amdhsa_user_sgpr_kernarg_preload_offset 0
		.amdhsa_user_sgpr_private_segment_size 0
		.amdhsa_uses_dynamic_stack 0
		.amdhsa_system_sgpr_private_segment_wavefront_offset 0
		.amdhsa_system_sgpr_workgroup_id_x 1
		.amdhsa_system_sgpr_workgroup_id_y 0
		.amdhsa_system_sgpr_workgroup_id_z 0
		.amdhsa_system_sgpr_workgroup_info 0
		.amdhsa_system_vgpr_workitem_id 0
		.amdhsa_next_free_vgpr 18
		.amdhsa_next_free_sgpr 29
		.amdhsa_accum_offset 20
		.amdhsa_reserve_vcc 1
		.amdhsa_reserve_flat_scratch 0
		.amdhsa_float_round_mode_32 0
		.amdhsa_float_round_mode_16_64 0
		.amdhsa_float_denorm_mode_32 3
		.amdhsa_float_denorm_mode_16_64 3
		.amdhsa_dx10_clamp 1
		.amdhsa_ieee_mode 1
		.amdhsa_fp16_overflow 0
		.amdhsa_tg_split 0
		.amdhsa_exception_fp_ieee_invalid_op 0
		.amdhsa_exception_fp_denorm_src 0
		.amdhsa_exception_fp_ieee_div_zero 0
		.amdhsa_exception_fp_ieee_overflow 0
		.amdhsa_exception_fp_ieee_underflow 0
		.amdhsa_exception_fp_ieee_inexact 0
		.amdhsa_exception_int_div_zero 0
	.end_amdhsa_kernel
	.section	.text._ZN7rocprim17ROCPRIM_400000_NS6detail17trampoline_kernelINS0_14default_configENS1_35adjacent_difference_config_selectorILb1EfEEZNS1_24adjacent_difference_implIS3_Lb1ELb0EPfS7_N6thrust23THRUST_200600_302600_NS5minusIfEEEE10hipError_tPvRmT2_T3_mT4_P12ihipStream_tbEUlT_E_NS1_11comp_targetILNS1_3genE4ELNS1_11target_archE910ELNS1_3gpuE8ELNS1_3repE0EEENS1_30default_config_static_selectorELNS0_4arch9wavefront6targetE1EEEvT1_,"axG",@progbits,_ZN7rocprim17ROCPRIM_400000_NS6detail17trampoline_kernelINS0_14default_configENS1_35adjacent_difference_config_selectorILb1EfEEZNS1_24adjacent_difference_implIS3_Lb1ELb0EPfS7_N6thrust23THRUST_200600_302600_NS5minusIfEEEE10hipError_tPvRmT2_T3_mT4_P12ihipStream_tbEUlT_E_NS1_11comp_targetILNS1_3genE4ELNS1_11target_archE910ELNS1_3gpuE8ELNS1_3repE0EEENS1_30default_config_static_selectorELNS0_4arch9wavefront6targetE1EEEvT1_,comdat
.Lfunc_end173:
	.size	_ZN7rocprim17ROCPRIM_400000_NS6detail17trampoline_kernelINS0_14default_configENS1_35adjacent_difference_config_selectorILb1EfEEZNS1_24adjacent_difference_implIS3_Lb1ELb0EPfS7_N6thrust23THRUST_200600_302600_NS5minusIfEEEE10hipError_tPvRmT2_T3_mT4_P12ihipStream_tbEUlT_E_NS1_11comp_targetILNS1_3genE4ELNS1_11target_archE910ELNS1_3gpuE8ELNS1_3repE0EEENS1_30default_config_static_selectorELNS0_4arch9wavefront6targetE1EEEvT1_, .Lfunc_end173-_ZN7rocprim17ROCPRIM_400000_NS6detail17trampoline_kernelINS0_14default_configENS1_35adjacent_difference_config_selectorILb1EfEEZNS1_24adjacent_difference_implIS3_Lb1ELb0EPfS7_N6thrust23THRUST_200600_302600_NS5minusIfEEEE10hipError_tPvRmT2_T3_mT4_P12ihipStream_tbEUlT_E_NS1_11comp_targetILNS1_3genE4ELNS1_11target_archE910ELNS1_3gpuE8ELNS1_3repE0EEENS1_30default_config_static_selectorELNS0_4arch9wavefront6targetE1EEEvT1_
                                        ; -- End function
	.section	.AMDGPU.csdata,"",@progbits
; Kernel info:
; codeLenInByte = 2080
; NumSgprs: 33
; NumVgprs: 18
; NumAgprs: 0
; TotalNumVgprs: 18
; ScratchSize: 0
; MemoryBound: 0
; FloatMode: 240
; IeeeMode: 1
; LDSByteSize: 10240 bytes/workgroup (compile time only)
; SGPRBlocks: 4
; VGPRBlocks: 2
; NumSGPRsForWavesPerEU: 33
; NumVGPRsForWavesPerEU: 18
; AccumOffset: 20
; Occupancy: 8
; WaveLimiterHint : 1
; COMPUTE_PGM_RSRC2:SCRATCH_EN: 0
; COMPUTE_PGM_RSRC2:USER_SGPR: 6
; COMPUTE_PGM_RSRC2:TRAP_HANDLER: 0
; COMPUTE_PGM_RSRC2:TGID_X_EN: 1
; COMPUTE_PGM_RSRC2:TGID_Y_EN: 0
; COMPUTE_PGM_RSRC2:TGID_Z_EN: 0
; COMPUTE_PGM_RSRC2:TIDIG_COMP_CNT: 0
; COMPUTE_PGM_RSRC3_GFX90A:ACCUM_OFFSET: 4
; COMPUTE_PGM_RSRC3_GFX90A:TG_SPLIT: 0
	.section	.text._ZN7rocprim17ROCPRIM_400000_NS6detail17trampoline_kernelINS0_14default_configENS1_35adjacent_difference_config_selectorILb1EfEEZNS1_24adjacent_difference_implIS3_Lb1ELb0EPfS7_N6thrust23THRUST_200600_302600_NS5minusIfEEEE10hipError_tPvRmT2_T3_mT4_P12ihipStream_tbEUlT_E_NS1_11comp_targetILNS1_3genE3ELNS1_11target_archE908ELNS1_3gpuE7ELNS1_3repE0EEENS1_30default_config_static_selectorELNS0_4arch9wavefront6targetE1EEEvT1_,"axG",@progbits,_ZN7rocprim17ROCPRIM_400000_NS6detail17trampoline_kernelINS0_14default_configENS1_35adjacent_difference_config_selectorILb1EfEEZNS1_24adjacent_difference_implIS3_Lb1ELb0EPfS7_N6thrust23THRUST_200600_302600_NS5minusIfEEEE10hipError_tPvRmT2_T3_mT4_P12ihipStream_tbEUlT_E_NS1_11comp_targetILNS1_3genE3ELNS1_11target_archE908ELNS1_3gpuE7ELNS1_3repE0EEENS1_30default_config_static_selectorELNS0_4arch9wavefront6targetE1EEEvT1_,comdat
	.protected	_ZN7rocprim17ROCPRIM_400000_NS6detail17trampoline_kernelINS0_14default_configENS1_35adjacent_difference_config_selectorILb1EfEEZNS1_24adjacent_difference_implIS3_Lb1ELb0EPfS7_N6thrust23THRUST_200600_302600_NS5minusIfEEEE10hipError_tPvRmT2_T3_mT4_P12ihipStream_tbEUlT_E_NS1_11comp_targetILNS1_3genE3ELNS1_11target_archE908ELNS1_3gpuE7ELNS1_3repE0EEENS1_30default_config_static_selectorELNS0_4arch9wavefront6targetE1EEEvT1_ ; -- Begin function _ZN7rocprim17ROCPRIM_400000_NS6detail17trampoline_kernelINS0_14default_configENS1_35adjacent_difference_config_selectorILb1EfEEZNS1_24adjacent_difference_implIS3_Lb1ELb0EPfS7_N6thrust23THRUST_200600_302600_NS5minusIfEEEE10hipError_tPvRmT2_T3_mT4_P12ihipStream_tbEUlT_E_NS1_11comp_targetILNS1_3genE3ELNS1_11target_archE908ELNS1_3gpuE7ELNS1_3repE0EEENS1_30default_config_static_selectorELNS0_4arch9wavefront6targetE1EEEvT1_
	.globl	_ZN7rocprim17ROCPRIM_400000_NS6detail17trampoline_kernelINS0_14default_configENS1_35adjacent_difference_config_selectorILb1EfEEZNS1_24adjacent_difference_implIS3_Lb1ELb0EPfS7_N6thrust23THRUST_200600_302600_NS5minusIfEEEE10hipError_tPvRmT2_T3_mT4_P12ihipStream_tbEUlT_E_NS1_11comp_targetILNS1_3genE3ELNS1_11target_archE908ELNS1_3gpuE7ELNS1_3repE0EEENS1_30default_config_static_selectorELNS0_4arch9wavefront6targetE1EEEvT1_
	.p2align	8
	.type	_ZN7rocprim17ROCPRIM_400000_NS6detail17trampoline_kernelINS0_14default_configENS1_35adjacent_difference_config_selectorILb1EfEEZNS1_24adjacent_difference_implIS3_Lb1ELb0EPfS7_N6thrust23THRUST_200600_302600_NS5minusIfEEEE10hipError_tPvRmT2_T3_mT4_P12ihipStream_tbEUlT_E_NS1_11comp_targetILNS1_3genE3ELNS1_11target_archE908ELNS1_3gpuE7ELNS1_3repE0EEENS1_30default_config_static_selectorELNS0_4arch9wavefront6targetE1EEEvT1_,@function
_ZN7rocprim17ROCPRIM_400000_NS6detail17trampoline_kernelINS0_14default_configENS1_35adjacent_difference_config_selectorILb1EfEEZNS1_24adjacent_difference_implIS3_Lb1ELb0EPfS7_N6thrust23THRUST_200600_302600_NS5minusIfEEEE10hipError_tPvRmT2_T3_mT4_P12ihipStream_tbEUlT_E_NS1_11comp_targetILNS1_3genE3ELNS1_11target_archE908ELNS1_3gpuE7ELNS1_3repE0EEENS1_30default_config_static_selectorELNS0_4arch9wavefront6targetE1EEEvT1_: ; @_ZN7rocprim17ROCPRIM_400000_NS6detail17trampoline_kernelINS0_14default_configENS1_35adjacent_difference_config_selectorILb1EfEEZNS1_24adjacent_difference_implIS3_Lb1ELb0EPfS7_N6thrust23THRUST_200600_302600_NS5minusIfEEEE10hipError_tPvRmT2_T3_mT4_P12ihipStream_tbEUlT_E_NS1_11comp_targetILNS1_3genE3ELNS1_11target_archE908ELNS1_3gpuE7ELNS1_3repE0EEENS1_30default_config_static_selectorELNS0_4arch9wavefront6targetE1EEEvT1_
; %bb.0:
	.section	.rodata,"a",@progbits
	.p2align	6, 0x0
	.amdhsa_kernel _ZN7rocprim17ROCPRIM_400000_NS6detail17trampoline_kernelINS0_14default_configENS1_35adjacent_difference_config_selectorILb1EfEEZNS1_24adjacent_difference_implIS3_Lb1ELb0EPfS7_N6thrust23THRUST_200600_302600_NS5minusIfEEEE10hipError_tPvRmT2_T3_mT4_P12ihipStream_tbEUlT_E_NS1_11comp_targetILNS1_3genE3ELNS1_11target_archE908ELNS1_3gpuE7ELNS1_3repE0EEENS1_30default_config_static_selectorELNS0_4arch9wavefront6targetE1EEEvT1_
		.amdhsa_group_segment_fixed_size 0
		.amdhsa_private_segment_fixed_size 0
		.amdhsa_kernarg_size 56
		.amdhsa_user_sgpr_count 6
		.amdhsa_user_sgpr_private_segment_buffer 1
		.amdhsa_user_sgpr_dispatch_ptr 0
		.amdhsa_user_sgpr_queue_ptr 0
		.amdhsa_user_sgpr_kernarg_segment_ptr 1
		.amdhsa_user_sgpr_dispatch_id 0
		.amdhsa_user_sgpr_flat_scratch_init 0
		.amdhsa_user_sgpr_kernarg_preload_length 0
		.amdhsa_user_sgpr_kernarg_preload_offset 0
		.amdhsa_user_sgpr_private_segment_size 0
		.amdhsa_uses_dynamic_stack 0
		.amdhsa_system_sgpr_private_segment_wavefront_offset 0
		.amdhsa_system_sgpr_workgroup_id_x 1
		.amdhsa_system_sgpr_workgroup_id_y 0
		.amdhsa_system_sgpr_workgroup_id_z 0
		.amdhsa_system_sgpr_workgroup_info 0
		.amdhsa_system_vgpr_workitem_id 0
		.amdhsa_next_free_vgpr 1
		.amdhsa_next_free_sgpr 0
		.amdhsa_accum_offset 4
		.amdhsa_reserve_vcc 0
		.amdhsa_reserve_flat_scratch 0
		.amdhsa_float_round_mode_32 0
		.amdhsa_float_round_mode_16_64 0
		.amdhsa_float_denorm_mode_32 3
		.amdhsa_float_denorm_mode_16_64 3
		.amdhsa_dx10_clamp 1
		.amdhsa_ieee_mode 1
		.amdhsa_fp16_overflow 0
		.amdhsa_tg_split 0
		.amdhsa_exception_fp_ieee_invalid_op 0
		.amdhsa_exception_fp_denorm_src 0
		.amdhsa_exception_fp_ieee_div_zero 0
		.amdhsa_exception_fp_ieee_overflow 0
		.amdhsa_exception_fp_ieee_underflow 0
		.amdhsa_exception_fp_ieee_inexact 0
		.amdhsa_exception_int_div_zero 0
	.end_amdhsa_kernel
	.section	.text._ZN7rocprim17ROCPRIM_400000_NS6detail17trampoline_kernelINS0_14default_configENS1_35adjacent_difference_config_selectorILb1EfEEZNS1_24adjacent_difference_implIS3_Lb1ELb0EPfS7_N6thrust23THRUST_200600_302600_NS5minusIfEEEE10hipError_tPvRmT2_T3_mT4_P12ihipStream_tbEUlT_E_NS1_11comp_targetILNS1_3genE3ELNS1_11target_archE908ELNS1_3gpuE7ELNS1_3repE0EEENS1_30default_config_static_selectorELNS0_4arch9wavefront6targetE1EEEvT1_,"axG",@progbits,_ZN7rocprim17ROCPRIM_400000_NS6detail17trampoline_kernelINS0_14default_configENS1_35adjacent_difference_config_selectorILb1EfEEZNS1_24adjacent_difference_implIS3_Lb1ELb0EPfS7_N6thrust23THRUST_200600_302600_NS5minusIfEEEE10hipError_tPvRmT2_T3_mT4_P12ihipStream_tbEUlT_E_NS1_11comp_targetILNS1_3genE3ELNS1_11target_archE908ELNS1_3gpuE7ELNS1_3repE0EEENS1_30default_config_static_selectorELNS0_4arch9wavefront6targetE1EEEvT1_,comdat
.Lfunc_end174:
	.size	_ZN7rocprim17ROCPRIM_400000_NS6detail17trampoline_kernelINS0_14default_configENS1_35adjacent_difference_config_selectorILb1EfEEZNS1_24adjacent_difference_implIS3_Lb1ELb0EPfS7_N6thrust23THRUST_200600_302600_NS5minusIfEEEE10hipError_tPvRmT2_T3_mT4_P12ihipStream_tbEUlT_E_NS1_11comp_targetILNS1_3genE3ELNS1_11target_archE908ELNS1_3gpuE7ELNS1_3repE0EEENS1_30default_config_static_selectorELNS0_4arch9wavefront6targetE1EEEvT1_, .Lfunc_end174-_ZN7rocprim17ROCPRIM_400000_NS6detail17trampoline_kernelINS0_14default_configENS1_35adjacent_difference_config_selectorILb1EfEEZNS1_24adjacent_difference_implIS3_Lb1ELb0EPfS7_N6thrust23THRUST_200600_302600_NS5minusIfEEEE10hipError_tPvRmT2_T3_mT4_P12ihipStream_tbEUlT_E_NS1_11comp_targetILNS1_3genE3ELNS1_11target_archE908ELNS1_3gpuE7ELNS1_3repE0EEENS1_30default_config_static_selectorELNS0_4arch9wavefront6targetE1EEEvT1_
                                        ; -- End function
	.section	.AMDGPU.csdata,"",@progbits
; Kernel info:
; codeLenInByte = 0
; NumSgprs: 4
; NumVgprs: 0
; NumAgprs: 0
; TotalNumVgprs: 0
; ScratchSize: 0
; MemoryBound: 0
; FloatMode: 240
; IeeeMode: 1
; LDSByteSize: 0 bytes/workgroup (compile time only)
; SGPRBlocks: 0
; VGPRBlocks: 0
; NumSGPRsForWavesPerEU: 4
; NumVGPRsForWavesPerEU: 1
; AccumOffset: 4
; Occupancy: 8
; WaveLimiterHint : 0
; COMPUTE_PGM_RSRC2:SCRATCH_EN: 0
; COMPUTE_PGM_RSRC2:USER_SGPR: 6
; COMPUTE_PGM_RSRC2:TRAP_HANDLER: 0
; COMPUTE_PGM_RSRC2:TGID_X_EN: 1
; COMPUTE_PGM_RSRC2:TGID_Y_EN: 0
; COMPUTE_PGM_RSRC2:TGID_Z_EN: 0
; COMPUTE_PGM_RSRC2:TIDIG_COMP_CNT: 0
; COMPUTE_PGM_RSRC3_GFX90A:ACCUM_OFFSET: 0
; COMPUTE_PGM_RSRC3_GFX90A:TG_SPLIT: 0
	.section	.text._ZN7rocprim17ROCPRIM_400000_NS6detail17trampoline_kernelINS0_14default_configENS1_35adjacent_difference_config_selectorILb1EfEEZNS1_24adjacent_difference_implIS3_Lb1ELb0EPfS7_N6thrust23THRUST_200600_302600_NS5minusIfEEEE10hipError_tPvRmT2_T3_mT4_P12ihipStream_tbEUlT_E_NS1_11comp_targetILNS1_3genE2ELNS1_11target_archE906ELNS1_3gpuE6ELNS1_3repE0EEENS1_30default_config_static_selectorELNS0_4arch9wavefront6targetE1EEEvT1_,"axG",@progbits,_ZN7rocprim17ROCPRIM_400000_NS6detail17trampoline_kernelINS0_14default_configENS1_35adjacent_difference_config_selectorILb1EfEEZNS1_24adjacent_difference_implIS3_Lb1ELb0EPfS7_N6thrust23THRUST_200600_302600_NS5minusIfEEEE10hipError_tPvRmT2_T3_mT4_P12ihipStream_tbEUlT_E_NS1_11comp_targetILNS1_3genE2ELNS1_11target_archE906ELNS1_3gpuE6ELNS1_3repE0EEENS1_30default_config_static_selectorELNS0_4arch9wavefront6targetE1EEEvT1_,comdat
	.protected	_ZN7rocprim17ROCPRIM_400000_NS6detail17trampoline_kernelINS0_14default_configENS1_35adjacent_difference_config_selectorILb1EfEEZNS1_24adjacent_difference_implIS3_Lb1ELb0EPfS7_N6thrust23THRUST_200600_302600_NS5minusIfEEEE10hipError_tPvRmT2_T3_mT4_P12ihipStream_tbEUlT_E_NS1_11comp_targetILNS1_3genE2ELNS1_11target_archE906ELNS1_3gpuE6ELNS1_3repE0EEENS1_30default_config_static_selectorELNS0_4arch9wavefront6targetE1EEEvT1_ ; -- Begin function _ZN7rocprim17ROCPRIM_400000_NS6detail17trampoline_kernelINS0_14default_configENS1_35adjacent_difference_config_selectorILb1EfEEZNS1_24adjacent_difference_implIS3_Lb1ELb0EPfS7_N6thrust23THRUST_200600_302600_NS5minusIfEEEE10hipError_tPvRmT2_T3_mT4_P12ihipStream_tbEUlT_E_NS1_11comp_targetILNS1_3genE2ELNS1_11target_archE906ELNS1_3gpuE6ELNS1_3repE0EEENS1_30default_config_static_selectorELNS0_4arch9wavefront6targetE1EEEvT1_
	.globl	_ZN7rocprim17ROCPRIM_400000_NS6detail17trampoline_kernelINS0_14default_configENS1_35adjacent_difference_config_selectorILb1EfEEZNS1_24adjacent_difference_implIS3_Lb1ELb0EPfS7_N6thrust23THRUST_200600_302600_NS5minusIfEEEE10hipError_tPvRmT2_T3_mT4_P12ihipStream_tbEUlT_E_NS1_11comp_targetILNS1_3genE2ELNS1_11target_archE906ELNS1_3gpuE6ELNS1_3repE0EEENS1_30default_config_static_selectorELNS0_4arch9wavefront6targetE1EEEvT1_
	.p2align	8
	.type	_ZN7rocprim17ROCPRIM_400000_NS6detail17trampoline_kernelINS0_14default_configENS1_35adjacent_difference_config_selectorILb1EfEEZNS1_24adjacent_difference_implIS3_Lb1ELb0EPfS7_N6thrust23THRUST_200600_302600_NS5minusIfEEEE10hipError_tPvRmT2_T3_mT4_P12ihipStream_tbEUlT_E_NS1_11comp_targetILNS1_3genE2ELNS1_11target_archE906ELNS1_3gpuE6ELNS1_3repE0EEENS1_30default_config_static_selectorELNS0_4arch9wavefront6targetE1EEEvT1_,@function
_ZN7rocprim17ROCPRIM_400000_NS6detail17trampoline_kernelINS0_14default_configENS1_35adjacent_difference_config_selectorILb1EfEEZNS1_24adjacent_difference_implIS3_Lb1ELb0EPfS7_N6thrust23THRUST_200600_302600_NS5minusIfEEEE10hipError_tPvRmT2_T3_mT4_P12ihipStream_tbEUlT_E_NS1_11comp_targetILNS1_3genE2ELNS1_11target_archE906ELNS1_3gpuE6ELNS1_3repE0EEENS1_30default_config_static_selectorELNS0_4arch9wavefront6targetE1EEEvT1_: ; @_ZN7rocprim17ROCPRIM_400000_NS6detail17trampoline_kernelINS0_14default_configENS1_35adjacent_difference_config_selectorILb1EfEEZNS1_24adjacent_difference_implIS3_Lb1ELb0EPfS7_N6thrust23THRUST_200600_302600_NS5minusIfEEEE10hipError_tPvRmT2_T3_mT4_P12ihipStream_tbEUlT_E_NS1_11comp_targetILNS1_3genE2ELNS1_11target_archE906ELNS1_3gpuE6ELNS1_3repE0EEENS1_30default_config_static_selectorELNS0_4arch9wavefront6targetE1EEEvT1_
; %bb.0:
	.section	.rodata,"a",@progbits
	.p2align	6, 0x0
	.amdhsa_kernel _ZN7rocprim17ROCPRIM_400000_NS6detail17trampoline_kernelINS0_14default_configENS1_35adjacent_difference_config_selectorILb1EfEEZNS1_24adjacent_difference_implIS3_Lb1ELb0EPfS7_N6thrust23THRUST_200600_302600_NS5minusIfEEEE10hipError_tPvRmT2_T3_mT4_P12ihipStream_tbEUlT_E_NS1_11comp_targetILNS1_3genE2ELNS1_11target_archE906ELNS1_3gpuE6ELNS1_3repE0EEENS1_30default_config_static_selectorELNS0_4arch9wavefront6targetE1EEEvT1_
		.amdhsa_group_segment_fixed_size 0
		.amdhsa_private_segment_fixed_size 0
		.amdhsa_kernarg_size 56
		.amdhsa_user_sgpr_count 6
		.amdhsa_user_sgpr_private_segment_buffer 1
		.amdhsa_user_sgpr_dispatch_ptr 0
		.amdhsa_user_sgpr_queue_ptr 0
		.amdhsa_user_sgpr_kernarg_segment_ptr 1
		.amdhsa_user_sgpr_dispatch_id 0
		.amdhsa_user_sgpr_flat_scratch_init 0
		.amdhsa_user_sgpr_kernarg_preload_length 0
		.amdhsa_user_sgpr_kernarg_preload_offset 0
		.amdhsa_user_sgpr_private_segment_size 0
		.amdhsa_uses_dynamic_stack 0
		.amdhsa_system_sgpr_private_segment_wavefront_offset 0
		.amdhsa_system_sgpr_workgroup_id_x 1
		.amdhsa_system_sgpr_workgroup_id_y 0
		.amdhsa_system_sgpr_workgroup_id_z 0
		.amdhsa_system_sgpr_workgroup_info 0
		.amdhsa_system_vgpr_workitem_id 0
		.amdhsa_next_free_vgpr 1
		.amdhsa_next_free_sgpr 0
		.amdhsa_accum_offset 4
		.amdhsa_reserve_vcc 0
		.amdhsa_reserve_flat_scratch 0
		.amdhsa_float_round_mode_32 0
		.amdhsa_float_round_mode_16_64 0
		.amdhsa_float_denorm_mode_32 3
		.amdhsa_float_denorm_mode_16_64 3
		.amdhsa_dx10_clamp 1
		.amdhsa_ieee_mode 1
		.amdhsa_fp16_overflow 0
		.amdhsa_tg_split 0
		.amdhsa_exception_fp_ieee_invalid_op 0
		.amdhsa_exception_fp_denorm_src 0
		.amdhsa_exception_fp_ieee_div_zero 0
		.amdhsa_exception_fp_ieee_overflow 0
		.amdhsa_exception_fp_ieee_underflow 0
		.amdhsa_exception_fp_ieee_inexact 0
		.amdhsa_exception_int_div_zero 0
	.end_amdhsa_kernel
	.section	.text._ZN7rocprim17ROCPRIM_400000_NS6detail17trampoline_kernelINS0_14default_configENS1_35adjacent_difference_config_selectorILb1EfEEZNS1_24adjacent_difference_implIS3_Lb1ELb0EPfS7_N6thrust23THRUST_200600_302600_NS5minusIfEEEE10hipError_tPvRmT2_T3_mT4_P12ihipStream_tbEUlT_E_NS1_11comp_targetILNS1_3genE2ELNS1_11target_archE906ELNS1_3gpuE6ELNS1_3repE0EEENS1_30default_config_static_selectorELNS0_4arch9wavefront6targetE1EEEvT1_,"axG",@progbits,_ZN7rocprim17ROCPRIM_400000_NS6detail17trampoline_kernelINS0_14default_configENS1_35adjacent_difference_config_selectorILb1EfEEZNS1_24adjacent_difference_implIS3_Lb1ELb0EPfS7_N6thrust23THRUST_200600_302600_NS5minusIfEEEE10hipError_tPvRmT2_T3_mT4_P12ihipStream_tbEUlT_E_NS1_11comp_targetILNS1_3genE2ELNS1_11target_archE906ELNS1_3gpuE6ELNS1_3repE0EEENS1_30default_config_static_selectorELNS0_4arch9wavefront6targetE1EEEvT1_,comdat
.Lfunc_end175:
	.size	_ZN7rocprim17ROCPRIM_400000_NS6detail17trampoline_kernelINS0_14default_configENS1_35adjacent_difference_config_selectorILb1EfEEZNS1_24adjacent_difference_implIS3_Lb1ELb0EPfS7_N6thrust23THRUST_200600_302600_NS5minusIfEEEE10hipError_tPvRmT2_T3_mT4_P12ihipStream_tbEUlT_E_NS1_11comp_targetILNS1_3genE2ELNS1_11target_archE906ELNS1_3gpuE6ELNS1_3repE0EEENS1_30default_config_static_selectorELNS0_4arch9wavefront6targetE1EEEvT1_, .Lfunc_end175-_ZN7rocprim17ROCPRIM_400000_NS6detail17trampoline_kernelINS0_14default_configENS1_35adjacent_difference_config_selectorILb1EfEEZNS1_24adjacent_difference_implIS3_Lb1ELb0EPfS7_N6thrust23THRUST_200600_302600_NS5minusIfEEEE10hipError_tPvRmT2_T3_mT4_P12ihipStream_tbEUlT_E_NS1_11comp_targetILNS1_3genE2ELNS1_11target_archE906ELNS1_3gpuE6ELNS1_3repE0EEENS1_30default_config_static_selectorELNS0_4arch9wavefront6targetE1EEEvT1_
                                        ; -- End function
	.section	.AMDGPU.csdata,"",@progbits
; Kernel info:
; codeLenInByte = 0
; NumSgprs: 4
; NumVgprs: 0
; NumAgprs: 0
; TotalNumVgprs: 0
; ScratchSize: 0
; MemoryBound: 0
; FloatMode: 240
; IeeeMode: 1
; LDSByteSize: 0 bytes/workgroup (compile time only)
; SGPRBlocks: 0
; VGPRBlocks: 0
; NumSGPRsForWavesPerEU: 4
; NumVGPRsForWavesPerEU: 1
; AccumOffset: 4
; Occupancy: 8
; WaveLimiterHint : 0
; COMPUTE_PGM_RSRC2:SCRATCH_EN: 0
; COMPUTE_PGM_RSRC2:USER_SGPR: 6
; COMPUTE_PGM_RSRC2:TRAP_HANDLER: 0
; COMPUTE_PGM_RSRC2:TGID_X_EN: 1
; COMPUTE_PGM_RSRC2:TGID_Y_EN: 0
; COMPUTE_PGM_RSRC2:TGID_Z_EN: 0
; COMPUTE_PGM_RSRC2:TIDIG_COMP_CNT: 0
; COMPUTE_PGM_RSRC3_GFX90A:ACCUM_OFFSET: 0
; COMPUTE_PGM_RSRC3_GFX90A:TG_SPLIT: 0
	.section	.text._ZN7rocprim17ROCPRIM_400000_NS6detail17trampoline_kernelINS0_14default_configENS1_35adjacent_difference_config_selectorILb1EfEEZNS1_24adjacent_difference_implIS3_Lb1ELb0EPfS7_N6thrust23THRUST_200600_302600_NS5minusIfEEEE10hipError_tPvRmT2_T3_mT4_P12ihipStream_tbEUlT_E_NS1_11comp_targetILNS1_3genE9ELNS1_11target_archE1100ELNS1_3gpuE3ELNS1_3repE0EEENS1_30default_config_static_selectorELNS0_4arch9wavefront6targetE1EEEvT1_,"axG",@progbits,_ZN7rocprim17ROCPRIM_400000_NS6detail17trampoline_kernelINS0_14default_configENS1_35adjacent_difference_config_selectorILb1EfEEZNS1_24adjacent_difference_implIS3_Lb1ELb0EPfS7_N6thrust23THRUST_200600_302600_NS5minusIfEEEE10hipError_tPvRmT2_T3_mT4_P12ihipStream_tbEUlT_E_NS1_11comp_targetILNS1_3genE9ELNS1_11target_archE1100ELNS1_3gpuE3ELNS1_3repE0EEENS1_30default_config_static_selectorELNS0_4arch9wavefront6targetE1EEEvT1_,comdat
	.protected	_ZN7rocprim17ROCPRIM_400000_NS6detail17trampoline_kernelINS0_14default_configENS1_35adjacent_difference_config_selectorILb1EfEEZNS1_24adjacent_difference_implIS3_Lb1ELb0EPfS7_N6thrust23THRUST_200600_302600_NS5minusIfEEEE10hipError_tPvRmT2_T3_mT4_P12ihipStream_tbEUlT_E_NS1_11comp_targetILNS1_3genE9ELNS1_11target_archE1100ELNS1_3gpuE3ELNS1_3repE0EEENS1_30default_config_static_selectorELNS0_4arch9wavefront6targetE1EEEvT1_ ; -- Begin function _ZN7rocprim17ROCPRIM_400000_NS6detail17trampoline_kernelINS0_14default_configENS1_35adjacent_difference_config_selectorILb1EfEEZNS1_24adjacent_difference_implIS3_Lb1ELb0EPfS7_N6thrust23THRUST_200600_302600_NS5minusIfEEEE10hipError_tPvRmT2_T3_mT4_P12ihipStream_tbEUlT_E_NS1_11comp_targetILNS1_3genE9ELNS1_11target_archE1100ELNS1_3gpuE3ELNS1_3repE0EEENS1_30default_config_static_selectorELNS0_4arch9wavefront6targetE1EEEvT1_
	.globl	_ZN7rocprim17ROCPRIM_400000_NS6detail17trampoline_kernelINS0_14default_configENS1_35adjacent_difference_config_selectorILb1EfEEZNS1_24adjacent_difference_implIS3_Lb1ELb0EPfS7_N6thrust23THRUST_200600_302600_NS5minusIfEEEE10hipError_tPvRmT2_T3_mT4_P12ihipStream_tbEUlT_E_NS1_11comp_targetILNS1_3genE9ELNS1_11target_archE1100ELNS1_3gpuE3ELNS1_3repE0EEENS1_30default_config_static_selectorELNS0_4arch9wavefront6targetE1EEEvT1_
	.p2align	8
	.type	_ZN7rocprim17ROCPRIM_400000_NS6detail17trampoline_kernelINS0_14default_configENS1_35adjacent_difference_config_selectorILb1EfEEZNS1_24adjacent_difference_implIS3_Lb1ELb0EPfS7_N6thrust23THRUST_200600_302600_NS5minusIfEEEE10hipError_tPvRmT2_T3_mT4_P12ihipStream_tbEUlT_E_NS1_11comp_targetILNS1_3genE9ELNS1_11target_archE1100ELNS1_3gpuE3ELNS1_3repE0EEENS1_30default_config_static_selectorELNS0_4arch9wavefront6targetE1EEEvT1_,@function
_ZN7rocprim17ROCPRIM_400000_NS6detail17trampoline_kernelINS0_14default_configENS1_35adjacent_difference_config_selectorILb1EfEEZNS1_24adjacent_difference_implIS3_Lb1ELb0EPfS7_N6thrust23THRUST_200600_302600_NS5minusIfEEEE10hipError_tPvRmT2_T3_mT4_P12ihipStream_tbEUlT_E_NS1_11comp_targetILNS1_3genE9ELNS1_11target_archE1100ELNS1_3gpuE3ELNS1_3repE0EEENS1_30default_config_static_selectorELNS0_4arch9wavefront6targetE1EEEvT1_: ; @_ZN7rocprim17ROCPRIM_400000_NS6detail17trampoline_kernelINS0_14default_configENS1_35adjacent_difference_config_selectorILb1EfEEZNS1_24adjacent_difference_implIS3_Lb1ELb0EPfS7_N6thrust23THRUST_200600_302600_NS5minusIfEEEE10hipError_tPvRmT2_T3_mT4_P12ihipStream_tbEUlT_E_NS1_11comp_targetILNS1_3genE9ELNS1_11target_archE1100ELNS1_3gpuE3ELNS1_3repE0EEENS1_30default_config_static_selectorELNS0_4arch9wavefront6targetE1EEEvT1_
; %bb.0:
	.section	.rodata,"a",@progbits
	.p2align	6, 0x0
	.amdhsa_kernel _ZN7rocprim17ROCPRIM_400000_NS6detail17trampoline_kernelINS0_14default_configENS1_35adjacent_difference_config_selectorILb1EfEEZNS1_24adjacent_difference_implIS3_Lb1ELb0EPfS7_N6thrust23THRUST_200600_302600_NS5minusIfEEEE10hipError_tPvRmT2_T3_mT4_P12ihipStream_tbEUlT_E_NS1_11comp_targetILNS1_3genE9ELNS1_11target_archE1100ELNS1_3gpuE3ELNS1_3repE0EEENS1_30default_config_static_selectorELNS0_4arch9wavefront6targetE1EEEvT1_
		.amdhsa_group_segment_fixed_size 0
		.amdhsa_private_segment_fixed_size 0
		.amdhsa_kernarg_size 56
		.amdhsa_user_sgpr_count 6
		.amdhsa_user_sgpr_private_segment_buffer 1
		.amdhsa_user_sgpr_dispatch_ptr 0
		.amdhsa_user_sgpr_queue_ptr 0
		.amdhsa_user_sgpr_kernarg_segment_ptr 1
		.amdhsa_user_sgpr_dispatch_id 0
		.amdhsa_user_sgpr_flat_scratch_init 0
		.amdhsa_user_sgpr_kernarg_preload_length 0
		.amdhsa_user_sgpr_kernarg_preload_offset 0
		.amdhsa_user_sgpr_private_segment_size 0
		.amdhsa_uses_dynamic_stack 0
		.amdhsa_system_sgpr_private_segment_wavefront_offset 0
		.amdhsa_system_sgpr_workgroup_id_x 1
		.amdhsa_system_sgpr_workgroup_id_y 0
		.amdhsa_system_sgpr_workgroup_id_z 0
		.amdhsa_system_sgpr_workgroup_info 0
		.amdhsa_system_vgpr_workitem_id 0
		.amdhsa_next_free_vgpr 1
		.amdhsa_next_free_sgpr 0
		.amdhsa_accum_offset 4
		.amdhsa_reserve_vcc 0
		.amdhsa_reserve_flat_scratch 0
		.amdhsa_float_round_mode_32 0
		.amdhsa_float_round_mode_16_64 0
		.amdhsa_float_denorm_mode_32 3
		.amdhsa_float_denorm_mode_16_64 3
		.amdhsa_dx10_clamp 1
		.amdhsa_ieee_mode 1
		.amdhsa_fp16_overflow 0
		.amdhsa_tg_split 0
		.amdhsa_exception_fp_ieee_invalid_op 0
		.amdhsa_exception_fp_denorm_src 0
		.amdhsa_exception_fp_ieee_div_zero 0
		.amdhsa_exception_fp_ieee_overflow 0
		.amdhsa_exception_fp_ieee_underflow 0
		.amdhsa_exception_fp_ieee_inexact 0
		.amdhsa_exception_int_div_zero 0
	.end_amdhsa_kernel
	.section	.text._ZN7rocprim17ROCPRIM_400000_NS6detail17trampoline_kernelINS0_14default_configENS1_35adjacent_difference_config_selectorILb1EfEEZNS1_24adjacent_difference_implIS3_Lb1ELb0EPfS7_N6thrust23THRUST_200600_302600_NS5minusIfEEEE10hipError_tPvRmT2_T3_mT4_P12ihipStream_tbEUlT_E_NS1_11comp_targetILNS1_3genE9ELNS1_11target_archE1100ELNS1_3gpuE3ELNS1_3repE0EEENS1_30default_config_static_selectorELNS0_4arch9wavefront6targetE1EEEvT1_,"axG",@progbits,_ZN7rocprim17ROCPRIM_400000_NS6detail17trampoline_kernelINS0_14default_configENS1_35adjacent_difference_config_selectorILb1EfEEZNS1_24adjacent_difference_implIS3_Lb1ELb0EPfS7_N6thrust23THRUST_200600_302600_NS5minusIfEEEE10hipError_tPvRmT2_T3_mT4_P12ihipStream_tbEUlT_E_NS1_11comp_targetILNS1_3genE9ELNS1_11target_archE1100ELNS1_3gpuE3ELNS1_3repE0EEENS1_30default_config_static_selectorELNS0_4arch9wavefront6targetE1EEEvT1_,comdat
.Lfunc_end176:
	.size	_ZN7rocprim17ROCPRIM_400000_NS6detail17trampoline_kernelINS0_14default_configENS1_35adjacent_difference_config_selectorILb1EfEEZNS1_24adjacent_difference_implIS3_Lb1ELb0EPfS7_N6thrust23THRUST_200600_302600_NS5minusIfEEEE10hipError_tPvRmT2_T3_mT4_P12ihipStream_tbEUlT_E_NS1_11comp_targetILNS1_3genE9ELNS1_11target_archE1100ELNS1_3gpuE3ELNS1_3repE0EEENS1_30default_config_static_selectorELNS0_4arch9wavefront6targetE1EEEvT1_, .Lfunc_end176-_ZN7rocprim17ROCPRIM_400000_NS6detail17trampoline_kernelINS0_14default_configENS1_35adjacent_difference_config_selectorILb1EfEEZNS1_24adjacent_difference_implIS3_Lb1ELb0EPfS7_N6thrust23THRUST_200600_302600_NS5minusIfEEEE10hipError_tPvRmT2_T3_mT4_P12ihipStream_tbEUlT_E_NS1_11comp_targetILNS1_3genE9ELNS1_11target_archE1100ELNS1_3gpuE3ELNS1_3repE0EEENS1_30default_config_static_selectorELNS0_4arch9wavefront6targetE1EEEvT1_
                                        ; -- End function
	.section	.AMDGPU.csdata,"",@progbits
; Kernel info:
; codeLenInByte = 0
; NumSgprs: 4
; NumVgprs: 0
; NumAgprs: 0
; TotalNumVgprs: 0
; ScratchSize: 0
; MemoryBound: 0
; FloatMode: 240
; IeeeMode: 1
; LDSByteSize: 0 bytes/workgroup (compile time only)
; SGPRBlocks: 0
; VGPRBlocks: 0
; NumSGPRsForWavesPerEU: 4
; NumVGPRsForWavesPerEU: 1
; AccumOffset: 4
; Occupancy: 8
; WaveLimiterHint : 0
; COMPUTE_PGM_RSRC2:SCRATCH_EN: 0
; COMPUTE_PGM_RSRC2:USER_SGPR: 6
; COMPUTE_PGM_RSRC2:TRAP_HANDLER: 0
; COMPUTE_PGM_RSRC2:TGID_X_EN: 1
; COMPUTE_PGM_RSRC2:TGID_Y_EN: 0
; COMPUTE_PGM_RSRC2:TGID_Z_EN: 0
; COMPUTE_PGM_RSRC2:TIDIG_COMP_CNT: 0
; COMPUTE_PGM_RSRC3_GFX90A:ACCUM_OFFSET: 0
; COMPUTE_PGM_RSRC3_GFX90A:TG_SPLIT: 0
	.section	.text._ZN7rocprim17ROCPRIM_400000_NS6detail17trampoline_kernelINS0_14default_configENS1_35adjacent_difference_config_selectorILb1EfEEZNS1_24adjacent_difference_implIS3_Lb1ELb0EPfS7_N6thrust23THRUST_200600_302600_NS5minusIfEEEE10hipError_tPvRmT2_T3_mT4_P12ihipStream_tbEUlT_E_NS1_11comp_targetILNS1_3genE8ELNS1_11target_archE1030ELNS1_3gpuE2ELNS1_3repE0EEENS1_30default_config_static_selectorELNS0_4arch9wavefront6targetE1EEEvT1_,"axG",@progbits,_ZN7rocprim17ROCPRIM_400000_NS6detail17trampoline_kernelINS0_14default_configENS1_35adjacent_difference_config_selectorILb1EfEEZNS1_24adjacent_difference_implIS3_Lb1ELb0EPfS7_N6thrust23THRUST_200600_302600_NS5minusIfEEEE10hipError_tPvRmT2_T3_mT4_P12ihipStream_tbEUlT_E_NS1_11comp_targetILNS1_3genE8ELNS1_11target_archE1030ELNS1_3gpuE2ELNS1_3repE0EEENS1_30default_config_static_selectorELNS0_4arch9wavefront6targetE1EEEvT1_,comdat
	.protected	_ZN7rocprim17ROCPRIM_400000_NS6detail17trampoline_kernelINS0_14default_configENS1_35adjacent_difference_config_selectorILb1EfEEZNS1_24adjacent_difference_implIS3_Lb1ELb0EPfS7_N6thrust23THRUST_200600_302600_NS5minusIfEEEE10hipError_tPvRmT2_T3_mT4_P12ihipStream_tbEUlT_E_NS1_11comp_targetILNS1_3genE8ELNS1_11target_archE1030ELNS1_3gpuE2ELNS1_3repE0EEENS1_30default_config_static_selectorELNS0_4arch9wavefront6targetE1EEEvT1_ ; -- Begin function _ZN7rocprim17ROCPRIM_400000_NS6detail17trampoline_kernelINS0_14default_configENS1_35adjacent_difference_config_selectorILb1EfEEZNS1_24adjacent_difference_implIS3_Lb1ELb0EPfS7_N6thrust23THRUST_200600_302600_NS5minusIfEEEE10hipError_tPvRmT2_T3_mT4_P12ihipStream_tbEUlT_E_NS1_11comp_targetILNS1_3genE8ELNS1_11target_archE1030ELNS1_3gpuE2ELNS1_3repE0EEENS1_30default_config_static_selectorELNS0_4arch9wavefront6targetE1EEEvT1_
	.globl	_ZN7rocprim17ROCPRIM_400000_NS6detail17trampoline_kernelINS0_14default_configENS1_35adjacent_difference_config_selectorILb1EfEEZNS1_24adjacent_difference_implIS3_Lb1ELb0EPfS7_N6thrust23THRUST_200600_302600_NS5minusIfEEEE10hipError_tPvRmT2_T3_mT4_P12ihipStream_tbEUlT_E_NS1_11comp_targetILNS1_3genE8ELNS1_11target_archE1030ELNS1_3gpuE2ELNS1_3repE0EEENS1_30default_config_static_selectorELNS0_4arch9wavefront6targetE1EEEvT1_
	.p2align	8
	.type	_ZN7rocprim17ROCPRIM_400000_NS6detail17trampoline_kernelINS0_14default_configENS1_35adjacent_difference_config_selectorILb1EfEEZNS1_24adjacent_difference_implIS3_Lb1ELb0EPfS7_N6thrust23THRUST_200600_302600_NS5minusIfEEEE10hipError_tPvRmT2_T3_mT4_P12ihipStream_tbEUlT_E_NS1_11comp_targetILNS1_3genE8ELNS1_11target_archE1030ELNS1_3gpuE2ELNS1_3repE0EEENS1_30default_config_static_selectorELNS0_4arch9wavefront6targetE1EEEvT1_,@function
_ZN7rocprim17ROCPRIM_400000_NS6detail17trampoline_kernelINS0_14default_configENS1_35adjacent_difference_config_selectorILb1EfEEZNS1_24adjacent_difference_implIS3_Lb1ELb0EPfS7_N6thrust23THRUST_200600_302600_NS5minusIfEEEE10hipError_tPvRmT2_T3_mT4_P12ihipStream_tbEUlT_E_NS1_11comp_targetILNS1_3genE8ELNS1_11target_archE1030ELNS1_3gpuE2ELNS1_3repE0EEENS1_30default_config_static_selectorELNS0_4arch9wavefront6targetE1EEEvT1_: ; @_ZN7rocprim17ROCPRIM_400000_NS6detail17trampoline_kernelINS0_14default_configENS1_35adjacent_difference_config_selectorILb1EfEEZNS1_24adjacent_difference_implIS3_Lb1ELb0EPfS7_N6thrust23THRUST_200600_302600_NS5minusIfEEEE10hipError_tPvRmT2_T3_mT4_P12ihipStream_tbEUlT_E_NS1_11comp_targetILNS1_3genE8ELNS1_11target_archE1030ELNS1_3gpuE2ELNS1_3repE0EEENS1_30default_config_static_selectorELNS0_4arch9wavefront6targetE1EEEvT1_
; %bb.0:
	.section	.rodata,"a",@progbits
	.p2align	6, 0x0
	.amdhsa_kernel _ZN7rocprim17ROCPRIM_400000_NS6detail17trampoline_kernelINS0_14default_configENS1_35adjacent_difference_config_selectorILb1EfEEZNS1_24adjacent_difference_implIS3_Lb1ELb0EPfS7_N6thrust23THRUST_200600_302600_NS5minusIfEEEE10hipError_tPvRmT2_T3_mT4_P12ihipStream_tbEUlT_E_NS1_11comp_targetILNS1_3genE8ELNS1_11target_archE1030ELNS1_3gpuE2ELNS1_3repE0EEENS1_30default_config_static_selectorELNS0_4arch9wavefront6targetE1EEEvT1_
		.amdhsa_group_segment_fixed_size 0
		.amdhsa_private_segment_fixed_size 0
		.amdhsa_kernarg_size 56
		.amdhsa_user_sgpr_count 6
		.amdhsa_user_sgpr_private_segment_buffer 1
		.amdhsa_user_sgpr_dispatch_ptr 0
		.amdhsa_user_sgpr_queue_ptr 0
		.amdhsa_user_sgpr_kernarg_segment_ptr 1
		.amdhsa_user_sgpr_dispatch_id 0
		.amdhsa_user_sgpr_flat_scratch_init 0
		.amdhsa_user_sgpr_kernarg_preload_length 0
		.amdhsa_user_sgpr_kernarg_preload_offset 0
		.amdhsa_user_sgpr_private_segment_size 0
		.amdhsa_uses_dynamic_stack 0
		.amdhsa_system_sgpr_private_segment_wavefront_offset 0
		.amdhsa_system_sgpr_workgroup_id_x 1
		.amdhsa_system_sgpr_workgroup_id_y 0
		.amdhsa_system_sgpr_workgroup_id_z 0
		.amdhsa_system_sgpr_workgroup_info 0
		.amdhsa_system_vgpr_workitem_id 0
		.amdhsa_next_free_vgpr 1
		.amdhsa_next_free_sgpr 0
		.amdhsa_accum_offset 4
		.amdhsa_reserve_vcc 0
		.amdhsa_reserve_flat_scratch 0
		.amdhsa_float_round_mode_32 0
		.amdhsa_float_round_mode_16_64 0
		.amdhsa_float_denorm_mode_32 3
		.amdhsa_float_denorm_mode_16_64 3
		.amdhsa_dx10_clamp 1
		.amdhsa_ieee_mode 1
		.amdhsa_fp16_overflow 0
		.amdhsa_tg_split 0
		.amdhsa_exception_fp_ieee_invalid_op 0
		.amdhsa_exception_fp_denorm_src 0
		.amdhsa_exception_fp_ieee_div_zero 0
		.amdhsa_exception_fp_ieee_overflow 0
		.amdhsa_exception_fp_ieee_underflow 0
		.amdhsa_exception_fp_ieee_inexact 0
		.amdhsa_exception_int_div_zero 0
	.end_amdhsa_kernel
	.section	.text._ZN7rocprim17ROCPRIM_400000_NS6detail17trampoline_kernelINS0_14default_configENS1_35adjacent_difference_config_selectorILb1EfEEZNS1_24adjacent_difference_implIS3_Lb1ELb0EPfS7_N6thrust23THRUST_200600_302600_NS5minusIfEEEE10hipError_tPvRmT2_T3_mT4_P12ihipStream_tbEUlT_E_NS1_11comp_targetILNS1_3genE8ELNS1_11target_archE1030ELNS1_3gpuE2ELNS1_3repE0EEENS1_30default_config_static_selectorELNS0_4arch9wavefront6targetE1EEEvT1_,"axG",@progbits,_ZN7rocprim17ROCPRIM_400000_NS6detail17trampoline_kernelINS0_14default_configENS1_35adjacent_difference_config_selectorILb1EfEEZNS1_24adjacent_difference_implIS3_Lb1ELb0EPfS7_N6thrust23THRUST_200600_302600_NS5minusIfEEEE10hipError_tPvRmT2_T3_mT4_P12ihipStream_tbEUlT_E_NS1_11comp_targetILNS1_3genE8ELNS1_11target_archE1030ELNS1_3gpuE2ELNS1_3repE0EEENS1_30default_config_static_selectorELNS0_4arch9wavefront6targetE1EEEvT1_,comdat
.Lfunc_end177:
	.size	_ZN7rocprim17ROCPRIM_400000_NS6detail17trampoline_kernelINS0_14default_configENS1_35adjacent_difference_config_selectorILb1EfEEZNS1_24adjacent_difference_implIS3_Lb1ELb0EPfS7_N6thrust23THRUST_200600_302600_NS5minusIfEEEE10hipError_tPvRmT2_T3_mT4_P12ihipStream_tbEUlT_E_NS1_11comp_targetILNS1_3genE8ELNS1_11target_archE1030ELNS1_3gpuE2ELNS1_3repE0EEENS1_30default_config_static_selectorELNS0_4arch9wavefront6targetE1EEEvT1_, .Lfunc_end177-_ZN7rocprim17ROCPRIM_400000_NS6detail17trampoline_kernelINS0_14default_configENS1_35adjacent_difference_config_selectorILb1EfEEZNS1_24adjacent_difference_implIS3_Lb1ELb0EPfS7_N6thrust23THRUST_200600_302600_NS5minusIfEEEE10hipError_tPvRmT2_T3_mT4_P12ihipStream_tbEUlT_E_NS1_11comp_targetILNS1_3genE8ELNS1_11target_archE1030ELNS1_3gpuE2ELNS1_3repE0EEENS1_30default_config_static_selectorELNS0_4arch9wavefront6targetE1EEEvT1_
                                        ; -- End function
	.section	.AMDGPU.csdata,"",@progbits
; Kernel info:
; codeLenInByte = 0
; NumSgprs: 4
; NumVgprs: 0
; NumAgprs: 0
; TotalNumVgprs: 0
; ScratchSize: 0
; MemoryBound: 0
; FloatMode: 240
; IeeeMode: 1
; LDSByteSize: 0 bytes/workgroup (compile time only)
; SGPRBlocks: 0
; VGPRBlocks: 0
; NumSGPRsForWavesPerEU: 4
; NumVGPRsForWavesPerEU: 1
; AccumOffset: 4
; Occupancy: 8
; WaveLimiterHint : 0
; COMPUTE_PGM_RSRC2:SCRATCH_EN: 0
; COMPUTE_PGM_RSRC2:USER_SGPR: 6
; COMPUTE_PGM_RSRC2:TRAP_HANDLER: 0
; COMPUTE_PGM_RSRC2:TGID_X_EN: 1
; COMPUTE_PGM_RSRC2:TGID_Y_EN: 0
; COMPUTE_PGM_RSRC2:TGID_Z_EN: 0
; COMPUTE_PGM_RSRC2:TIDIG_COMP_CNT: 0
; COMPUTE_PGM_RSRC3_GFX90A:ACCUM_OFFSET: 0
; COMPUTE_PGM_RSRC3_GFX90A:TG_SPLIT: 0
	.section	.text._ZN7rocprim17ROCPRIM_400000_NS6detail17trampoline_kernelINS0_14default_configENS1_35adjacent_difference_config_selectorILb0EfEEZNS1_24adjacent_difference_implIS3_Lb0ELb0EPfS7_N6thrust23THRUST_200600_302600_NS4plusIfEEEE10hipError_tPvRmT2_T3_mT4_P12ihipStream_tbEUlT_E_NS1_11comp_targetILNS1_3genE0ELNS1_11target_archE4294967295ELNS1_3gpuE0ELNS1_3repE0EEENS1_30default_config_static_selectorELNS0_4arch9wavefront6targetE1EEEvT1_,"axG",@progbits,_ZN7rocprim17ROCPRIM_400000_NS6detail17trampoline_kernelINS0_14default_configENS1_35adjacent_difference_config_selectorILb0EfEEZNS1_24adjacent_difference_implIS3_Lb0ELb0EPfS7_N6thrust23THRUST_200600_302600_NS4plusIfEEEE10hipError_tPvRmT2_T3_mT4_P12ihipStream_tbEUlT_E_NS1_11comp_targetILNS1_3genE0ELNS1_11target_archE4294967295ELNS1_3gpuE0ELNS1_3repE0EEENS1_30default_config_static_selectorELNS0_4arch9wavefront6targetE1EEEvT1_,comdat
	.protected	_ZN7rocprim17ROCPRIM_400000_NS6detail17trampoline_kernelINS0_14default_configENS1_35adjacent_difference_config_selectorILb0EfEEZNS1_24adjacent_difference_implIS3_Lb0ELb0EPfS7_N6thrust23THRUST_200600_302600_NS4plusIfEEEE10hipError_tPvRmT2_T3_mT4_P12ihipStream_tbEUlT_E_NS1_11comp_targetILNS1_3genE0ELNS1_11target_archE4294967295ELNS1_3gpuE0ELNS1_3repE0EEENS1_30default_config_static_selectorELNS0_4arch9wavefront6targetE1EEEvT1_ ; -- Begin function _ZN7rocprim17ROCPRIM_400000_NS6detail17trampoline_kernelINS0_14default_configENS1_35adjacent_difference_config_selectorILb0EfEEZNS1_24adjacent_difference_implIS3_Lb0ELb0EPfS7_N6thrust23THRUST_200600_302600_NS4plusIfEEEE10hipError_tPvRmT2_T3_mT4_P12ihipStream_tbEUlT_E_NS1_11comp_targetILNS1_3genE0ELNS1_11target_archE4294967295ELNS1_3gpuE0ELNS1_3repE0EEENS1_30default_config_static_selectorELNS0_4arch9wavefront6targetE1EEEvT1_
	.globl	_ZN7rocprim17ROCPRIM_400000_NS6detail17trampoline_kernelINS0_14default_configENS1_35adjacent_difference_config_selectorILb0EfEEZNS1_24adjacent_difference_implIS3_Lb0ELb0EPfS7_N6thrust23THRUST_200600_302600_NS4plusIfEEEE10hipError_tPvRmT2_T3_mT4_P12ihipStream_tbEUlT_E_NS1_11comp_targetILNS1_3genE0ELNS1_11target_archE4294967295ELNS1_3gpuE0ELNS1_3repE0EEENS1_30default_config_static_selectorELNS0_4arch9wavefront6targetE1EEEvT1_
	.p2align	8
	.type	_ZN7rocprim17ROCPRIM_400000_NS6detail17trampoline_kernelINS0_14default_configENS1_35adjacent_difference_config_selectorILb0EfEEZNS1_24adjacent_difference_implIS3_Lb0ELb0EPfS7_N6thrust23THRUST_200600_302600_NS4plusIfEEEE10hipError_tPvRmT2_T3_mT4_P12ihipStream_tbEUlT_E_NS1_11comp_targetILNS1_3genE0ELNS1_11target_archE4294967295ELNS1_3gpuE0ELNS1_3repE0EEENS1_30default_config_static_selectorELNS0_4arch9wavefront6targetE1EEEvT1_,@function
_ZN7rocprim17ROCPRIM_400000_NS6detail17trampoline_kernelINS0_14default_configENS1_35adjacent_difference_config_selectorILb0EfEEZNS1_24adjacent_difference_implIS3_Lb0ELb0EPfS7_N6thrust23THRUST_200600_302600_NS4plusIfEEEE10hipError_tPvRmT2_T3_mT4_P12ihipStream_tbEUlT_E_NS1_11comp_targetILNS1_3genE0ELNS1_11target_archE4294967295ELNS1_3gpuE0ELNS1_3repE0EEENS1_30default_config_static_selectorELNS0_4arch9wavefront6targetE1EEEvT1_: ; @_ZN7rocprim17ROCPRIM_400000_NS6detail17trampoline_kernelINS0_14default_configENS1_35adjacent_difference_config_selectorILb0EfEEZNS1_24adjacent_difference_implIS3_Lb0ELb0EPfS7_N6thrust23THRUST_200600_302600_NS4plusIfEEEE10hipError_tPvRmT2_T3_mT4_P12ihipStream_tbEUlT_E_NS1_11comp_targetILNS1_3genE0ELNS1_11target_archE4294967295ELNS1_3gpuE0ELNS1_3repE0EEENS1_30default_config_static_selectorELNS0_4arch9wavefront6targetE1EEEvT1_
; %bb.0:
	.section	.rodata,"a",@progbits
	.p2align	6, 0x0
	.amdhsa_kernel _ZN7rocprim17ROCPRIM_400000_NS6detail17trampoline_kernelINS0_14default_configENS1_35adjacent_difference_config_selectorILb0EfEEZNS1_24adjacent_difference_implIS3_Lb0ELb0EPfS7_N6thrust23THRUST_200600_302600_NS4plusIfEEEE10hipError_tPvRmT2_T3_mT4_P12ihipStream_tbEUlT_E_NS1_11comp_targetILNS1_3genE0ELNS1_11target_archE4294967295ELNS1_3gpuE0ELNS1_3repE0EEENS1_30default_config_static_selectorELNS0_4arch9wavefront6targetE1EEEvT1_
		.amdhsa_group_segment_fixed_size 0
		.amdhsa_private_segment_fixed_size 0
		.amdhsa_kernarg_size 56
		.amdhsa_user_sgpr_count 6
		.amdhsa_user_sgpr_private_segment_buffer 1
		.amdhsa_user_sgpr_dispatch_ptr 0
		.amdhsa_user_sgpr_queue_ptr 0
		.amdhsa_user_sgpr_kernarg_segment_ptr 1
		.amdhsa_user_sgpr_dispatch_id 0
		.amdhsa_user_sgpr_flat_scratch_init 0
		.amdhsa_user_sgpr_kernarg_preload_length 0
		.amdhsa_user_sgpr_kernarg_preload_offset 0
		.amdhsa_user_sgpr_private_segment_size 0
		.amdhsa_uses_dynamic_stack 0
		.amdhsa_system_sgpr_private_segment_wavefront_offset 0
		.amdhsa_system_sgpr_workgroup_id_x 1
		.amdhsa_system_sgpr_workgroup_id_y 0
		.amdhsa_system_sgpr_workgroup_id_z 0
		.amdhsa_system_sgpr_workgroup_info 0
		.amdhsa_system_vgpr_workitem_id 0
		.amdhsa_next_free_vgpr 1
		.amdhsa_next_free_sgpr 0
		.amdhsa_accum_offset 4
		.amdhsa_reserve_vcc 0
		.amdhsa_reserve_flat_scratch 0
		.amdhsa_float_round_mode_32 0
		.amdhsa_float_round_mode_16_64 0
		.amdhsa_float_denorm_mode_32 3
		.amdhsa_float_denorm_mode_16_64 3
		.amdhsa_dx10_clamp 1
		.amdhsa_ieee_mode 1
		.amdhsa_fp16_overflow 0
		.amdhsa_tg_split 0
		.amdhsa_exception_fp_ieee_invalid_op 0
		.amdhsa_exception_fp_denorm_src 0
		.amdhsa_exception_fp_ieee_div_zero 0
		.amdhsa_exception_fp_ieee_overflow 0
		.amdhsa_exception_fp_ieee_underflow 0
		.amdhsa_exception_fp_ieee_inexact 0
		.amdhsa_exception_int_div_zero 0
	.end_amdhsa_kernel
	.section	.text._ZN7rocprim17ROCPRIM_400000_NS6detail17trampoline_kernelINS0_14default_configENS1_35adjacent_difference_config_selectorILb0EfEEZNS1_24adjacent_difference_implIS3_Lb0ELb0EPfS7_N6thrust23THRUST_200600_302600_NS4plusIfEEEE10hipError_tPvRmT2_T3_mT4_P12ihipStream_tbEUlT_E_NS1_11comp_targetILNS1_3genE0ELNS1_11target_archE4294967295ELNS1_3gpuE0ELNS1_3repE0EEENS1_30default_config_static_selectorELNS0_4arch9wavefront6targetE1EEEvT1_,"axG",@progbits,_ZN7rocprim17ROCPRIM_400000_NS6detail17trampoline_kernelINS0_14default_configENS1_35adjacent_difference_config_selectorILb0EfEEZNS1_24adjacent_difference_implIS3_Lb0ELb0EPfS7_N6thrust23THRUST_200600_302600_NS4plusIfEEEE10hipError_tPvRmT2_T3_mT4_P12ihipStream_tbEUlT_E_NS1_11comp_targetILNS1_3genE0ELNS1_11target_archE4294967295ELNS1_3gpuE0ELNS1_3repE0EEENS1_30default_config_static_selectorELNS0_4arch9wavefront6targetE1EEEvT1_,comdat
.Lfunc_end178:
	.size	_ZN7rocprim17ROCPRIM_400000_NS6detail17trampoline_kernelINS0_14default_configENS1_35adjacent_difference_config_selectorILb0EfEEZNS1_24adjacent_difference_implIS3_Lb0ELb0EPfS7_N6thrust23THRUST_200600_302600_NS4plusIfEEEE10hipError_tPvRmT2_T3_mT4_P12ihipStream_tbEUlT_E_NS1_11comp_targetILNS1_3genE0ELNS1_11target_archE4294967295ELNS1_3gpuE0ELNS1_3repE0EEENS1_30default_config_static_selectorELNS0_4arch9wavefront6targetE1EEEvT1_, .Lfunc_end178-_ZN7rocprim17ROCPRIM_400000_NS6detail17trampoline_kernelINS0_14default_configENS1_35adjacent_difference_config_selectorILb0EfEEZNS1_24adjacent_difference_implIS3_Lb0ELb0EPfS7_N6thrust23THRUST_200600_302600_NS4plusIfEEEE10hipError_tPvRmT2_T3_mT4_P12ihipStream_tbEUlT_E_NS1_11comp_targetILNS1_3genE0ELNS1_11target_archE4294967295ELNS1_3gpuE0ELNS1_3repE0EEENS1_30default_config_static_selectorELNS0_4arch9wavefront6targetE1EEEvT1_
                                        ; -- End function
	.section	.AMDGPU.csdata,"",@progbits
; Kernel info:
; codeLenInByte = 0
; NumSgprs: 4
; NumVgprs: 0
; NumAgprs: 0
; TotalNumVgprs: 0
; ScratchSize: 0
; MemoryBound: 0
; FloatMode: 240
; IeeeMode: 1
; LDSByteSize: 0 bytes/workgroup (compile time only)
; SGPRBlocks: 0
; VGPRBlocks: 0
; NumSGPRsForWavesPerEU: 4
; NumVGPRsForWavesPerEU: 1
; AccumOffset: 4
; Occupancy: 8
; WaveLimiterHint : 0
; COMPUTE_PGM_RSRC2:SCRATCH_EN: 0
; COMPUTE_PGM_RSRC2:USER_SGPR: 6
; COMPUTE_PGM_RSRC2:TRAP_HANDLER: 0
; COMPUTE_PGM_RSRC2:TGID_X_EN: 1
; COMPUTE_PGM_RSRC2:TGID_Y_EN: 0
; COMPUTE_PGM_RSRC2:TGID_Z_EN: 0
; COMPUTE_PGM_RSRC2:TIDIG_COMP_CNT: 0
; COMPUTE_PGM_RSRC3_GFX90A:ACCUM_OFFSET: 0
; COMPUTE_PGM_RSRC3_GFX90A:TG_SPLIT: 0
	.section	.text._ZN7rocprim17ROCPRIM_400000_NS6detail17trampoline_kernelINS0_14default_configENS1_35adjacent_difference_config_selectorILb0EfEEZNS1_24adjacent_difference_implIS3_Lb0ELb0EPfS7_N6thrust23THRUST_200600_302600_NS4plusIfEEEE10hipError_tPvRmT2_T3_mT4_P12ihipStream_tbEUlT_E_NS1_11comp_targetILNS1_3genE10ELNS1_11target_archE1201ELNS1_3gpuE5ELNS1_3repE0EEENS1_30default_config_static_selectorELNS0_4arch9wavefront6targetE1EEEvT1_,"axG",@progbits,_ZN7rocprim17ROCPRIM_400000_NS6detail17trampoline_kernelINS0_14default_configENS1_35adjacent_difference_config_selectorILb0EfEEZNS1_24adjacent_difference_implIS3_Lb0ELb0EPfS7_N6thrust23THRUST_200600_302600_NS4plusIfEEEE10hipError_tPvRmT2_T3_mT4_P12ihipStream_tbEUlT_E_NS1_11comp_targetILNS1_3genE10ELNS1_11target_archE1201ELNS1_3gpuE5ELNS1_3repE0EEENS1_30default_config_static_selectorELNS0_4arch9wavefront6targetE1EEEvT1_,comdat
	.protected	_ZN7rocprim17ROCPRIM_400000_NS6detail17trampoline_kernelINS0_14default_configENS1_35adjacent_difference_config_selectorILb0EfEEZNS1_24adjacent_difference_implIS3_Lb0ELb0EPfS7_N6thrust23THRUST_200600_302600_NS4plusIfEEEE10hipError_tPvRmT2_T3_mT4_P12ihipStream_tbEUlT_E_NS1_11comp_targetILNS1_3genE10ELNS1_11target_archE1201ELNS1_3gpuE5ELNS1_3repE0EEENS1_30default_config_static_selectorELNS0_4arch9wavefront6targetE1EEEvT1_ ; -- Begin function _ZN7rocprim17ROCPRIM_400000_NS6detail17trampoline_kernelINS0_14default_configENS1_35adjacent_difference_config_selectorILb0EfEEZNS1_24adjacent_difference_implIS3_Lb0ELb0EPfS7_N6thrust23THRUST_200600_302600_NS4plusIfEEEE10hipError_tPvRmT2_T3_mT4_P12ihipStream_tbEUlT_E_NS1_11comp_targetILNS1_3genE10ELNS1_11target_archE1201ELNS1_3gpuE5ELNS1_3repE0EEENS1_30default_config_static_selectorELNS0_4arch9wavefront6targetE1EEEvT1_
	.globl	_ZN7rocprim17ROCPRIM_400000_NS6detail17trampoline_kernelINS0_14default_configENS1_35adjacent_difference_config_selectorILb0EfEEZNS1_24adjacent_difference_implIS3_Lb0ELb0EPfS7_N6thrust23THRUST_200600_302600_NS4plusIfEEEE10hipError_tPvRmT2_T3_mT4_P12ihipStream_tbEUlT_E_NS1_11comp_targetILNS1_3genE10ELNS1_11target_archE1201ELNS1_3gpuE5ELNS1_3repE0EEENS1_30default_config_static_selectorELNS0_4arch9wavefront6targetE1EEEvT1_
	.p2align	8
	.type	_ZN7rocprim17ROCPRIM_400000_NS6detail17trampoline_kernelINS0_14default_configENS1_35adjacent_difference_config_selectorILb0EfEEZNS1_24adjacent_difference_implIS3_Lb0ELb0EPfS7_N6thrust23THRUST_200600_302600_NS4plusIfEEEE10hipError_tPvRmT2_T3_mT4_P12ihipStream_tbEUlT_E_NS1_11comp_targetILNS1_3genE10ELNS1_11target_archE1201ELNS1_3gpuE5ELNS1_3repE0EEENS1_30default_config_static_selectorELNS0_4arch9wavefront6targetE1EEEvT1_,@function
_ZN7rocprim17ROCPRIM_400000_NS6detail17trampoline_kernelINS0_14default_configENS1_35adjacent_difference_config_selectorILb0EfEEZNS1_24adjacent_difference_implIS3_Lb0ELb0EPfS7_N6thrust23THRUST_200600_302600_NS4plusIfEEEE10hipError_tPvRmT2_T3_mT4_P12ihipStream_tbEUlT_E_NS1_11comp_targetILNS1_3genE10ELNS1_11target_archE1201ELNS1_3gpuE5ELNS1_3repE0EEENS1_30default_config_static_selectorELNS0_4arch9wavefront6targetE1EEEvT1_: ; @_ZN7rocprim17ROCPRIM_400000_NS6detail17trampoline_kernelINS0_14default_configENS1_35adjacent_difference_config_selectorILb0EfEEZNS1_24adjacent_difference_implIS3_Lb0ELb0EPfS7_N6thrust23THRUST_200600_302600_NS4plusIfEEEE10hipError_tPvRmT2_T3_mT4_P12ihipStream_tbEUlT_E_NS1_11comp_targetILNS1_3genE10ELNS1_11target_archE1201ELNS1_3gpuE5ELNS1_3repE0EEENS1_30default_config_static_selectorELNS0_4arch9wavefront6targetE1EEEvT1_
; %bb.0:
	.section	.rodata,"a",@progbits
	.p2align	6, 0x0
	.amdhsa_kernel _ZN7rocprim17ROCPRIM_400000_NS6detail17trampoline_kernelINS0_14default_configENS1_35adjacent_difference_config_selectorILb0EfEEZNS1_24adjacent_difference_implIS3_Lb0ELb0EPfS7_N6thrust23THRUST_200600_302600_NS4plusIfEEEE10hipError_tPvRmT2_T3_mT4_P12ihipStream_tbEUlT_E_NS1_11comp_targetILNS1_3genE10ELNS1_11target_archE1201ELNS1_3gpuE5ELNS1_3repE0EEENS1_30default_config_static_selectorELNS0_4arch9wavefront6targetE1EEEvT1_
		.amdhsa_group_segment_fixed_size 0
		.amdhsa_private_segment_fixed_size 0
		.amdhsa_kernarg_size 56
		.amdhsa_user_sgpr_count 6
		.amdhsa_user_sgpr_private_segment_buffer 1
		.amdhsa_user_sgpr_dispatch_ptr 0
		.amdhsa_user_sgpr_queue_ptr 0
		.amdhsa_user_sgpr_kernarg_segment_ptr 1
		.amdhsa_user_sgpr_dispatch_id 0
		.amdhsa_user_sgpr_flat_scratch_init 0
		.amdhsa_user_sgpr_kernarg_preload_length 0
		.amdhsa_user_sgpr_kernarg_preload_offset 0
		.amdhsa_user_sgpr_private_segment_size 0
		.amdhsa_uses_dynamic_stack 0
		.amdhsa_system_sgpr_private_segment_wavefront_offset 0
		.amdhsa_system_sgpr_workgroup_id_x 1
		.amdhsa_system_sgpr_workgroup_id_y 0
		.amdhsa_system_sgpr_workgroup_id_z 0
		.amdhsa_system_sgpr_workgroup_info 0
		.amdhsa_system_vgpr_workitem_id 0
		.amdhsa_next_free_vgpr 1
		.amdhsa_next_free_sgpr 0
		.amdhsa_accum_offset 4
		.amdhsa_reserve_vcc 0
		.amdhsa_reserve_flat_scratch 0
		.amdhsa_float_round_mode_32 0
		.amdhsa_float_round_mode_16_64 0
		.amdhsa_float_denorm_mode_32 3
		.amdhsa_float_denorm_mode_16_64 3
		.amdhsa_dx10_clamp 1
		.amdhsa_ieee_mode 1
		.amdhsa_fp16_overflow 0
		.amdhsa_tg_split 0
		.amdhsa_exception_fp_ieee_invalid_op 0
		.amdhsa_exception_fp_denorm_src 0
		.amdhsa_exception_fp_ieee_div_zero 0
		.amdhsa_exception_fp_ieee_overflow 0
		.amdhsa_exception_fp_ieee_underflow 0
		.amdhsa_exception_fp_ieee_inexact 0
		.amdhsa_exception_int_div_zero 0
	.end_amdhsa_kernel
	.section	.text._ZN7rocprim17ROCPRIM_400000_NS6detail17trampoline_kernelINS0_14default_configENS1_35adjacent_difference_config_selectorILb0EfEEZNS1_24adjacent_difference_implIS3_Lb0ELb0EPfS7_N6thrust23THRUST_200600_302600_NS4plusIfEEEE10hipError_tPvRmT2_T3_mT4_P12ihipStream_tbEUlT_E_NS1_11comp_targetILNS1_3genE10ELNS1_11target_archE1201ELNS1_3gpuE5ELNS1_3repE0EEENS1_30default_config_static_selectorELNS0_4arch9wavefront6targetE1EEEvT1_,"axG",@progbits,_ZN7rocprim17ROCPRIM_400000_NS6detail17trampoline_kernelINS0_14default_configENS1_35adjacent_difference_config_selectorILb0EfEEZNS1_24adjacent_difference_implIS3_Lb0ELb0EPfS7_N6thrust23THRUST_200600_302600_NS4plusIfEEEE10hipError_tPvRmT2_T3_mT4_P12ihipStream_tbEUlT_E_NS1_11comp_targetILNS1_3genE10ELNS1_11target_archE1201ELNS1_3gpuE5ELNS1_3repE0EEENS1_30default_config_static_selectorELNS0_4arch9wavefront6targetE1EEEvT1_,comdat
.Lfunc_end179:
	.size	_ZN7rocprim17ROCPRIM_400000_NS6detail17trampoline_kernelINS0_14default_configENS1_35adjacent_difference_config_selectorILb0EfEEZNS1_24adjacent_difference_implIS3_Lb0ELb0EPfS7_N6thrust23THRUST_200600_302600_NS4plusIfEEEE10hipError_tPvRmT2_T3_mT4_P12ihipStream_tbEUlT_E_NS1_11comp_targetILNS1_3genE10ELNS1_11target_archE1201ELNS1_3gpuE5ELNS1_3repE0EEENS1_30default_config_static_selectorELNS0_4arch9wavefront6targetE1EEEvT1_, .Lfunc_end179-_ZN7rocprim17ROCPRIM_400000_NS6detail17trampoline_kernelINS0_14default_configENS1_35adjacent_difference_config_selectorILb0EfEEZNS1_24adjacent_difference_implIS3_Lb0ELb0EPfS7_N6thrust23THRUST_200600_302600_NS4plusIfEEEE10hipError_tPvRmT2_T3_mT4_P12ihipStream_tbEUlT_E_NS1_11comp_targetILNS1_3genE10ELNS1_11target_archE1201ELNS1_3gpuE5ELNS1_3repE0EEENS1_30default_config_static_selectorELNS0_4arch9wavefront6targetE1EEEvT1_
                                        ; -- End function
	.section	.AMDGPU.csdata,"",@progbits
; Kernel info:
; codeLenInByte = 0
; NumSgprs: 4
; NumVgprs: 0
; NumAgprs: 0
; TotalNumVgprs: 0
; ScratchSize: 0
; MemoryBound: 0
; FloatMode: 240
; IeeeMode: 1
; LDSByteSize: 0 bytes/workgroup (compile time only)
; SGPRBlocks: 0
; VGPRBlocks: 0
; NumSGPRsForWavesPerEU: 4
; NumVGPRsForWavesPerEU: 1
; AccumOffset: 4
; Occupancy: 8
; WaveLimiterHint : 0
; COMPUTE_PGM_RSRC2:SCRATCH_EN: 0
; COMPUTE_PGM_RSRC2:USER_SGPR: 6
; COMPUTE_PGM_RSRC2:TRAP_HANDLER: 0
; COMPUTE_PGM_RSRC2:TGID_X_EN: 1
; COMPUTE_PGM_RSRC2:TGID_Y_EN: 0
; COMPUTE_PGM_RSRC2:TGID_Z_EN: 0
; COMPUTE_PGM_RSRC2:TIDIG_COMP_CNT: 0
; COMPUTE_PGM_RSRC3_GFX90A:ACCUM_OFFSET: 0
; COMPUTE_PGM_RSRC3_GFX90A:TG_SPLIT: 0
	.section	.text._ZN7rocprim17ROCPRIM_400000_NS6detail17trampoline_kernelINS0_14default_configENS1_35adjacent_difference_config_selectorILb0EfEEZNS1_24adjacent_difference_implIS3_Lb0ELb0EPfS7_N6thrust23THRUST_200600_302600_NS4plusIfEEEE10hipError_tPvRmT2_T3_mT4_P12ihipStream_tbEUlT_E_NS1_11comp_targetILNS1_3genE5ELNS1_11target_archE942ELNS1_3gpuE9ELNS1_3repE0EEENS1_30default_config_static_selectorELNS0_4arch9wavefront6targetE1EEEvT1_,"axG",@progbits,_ZN7rocprim17ROCPRIM_400000_NS6detail17trampoline_kernelINS0_14default_configENS1_35adjacent_difference_config_selectorILb0EfEEZNS1_24adjacent_difference_implIS3_Lb0ELb0EPfS7_N6thrust23THRUST_200600_302600_NS4plusIfEEEE10hipError_tPvRmT2_T3_mT4_P12ihipStream_tbEUlT_E_NS1_11comp_targetILNS1_3genE5ELNS1_11target_archE942ELNS1_3gpuE9ELNS1_3repE0EEENS1_30default_config_static_selectorELNS0_4arch9wavefront6targetE1EEEvT1_,comdat
	.protected	_ZN7rocprim17ROCPRIM_400000_NS6detail17trampoline_kernelINS0_14default_configENS1_35adjacent_difference_config_selectorILb0EfEEZNS1_24adjacent_difference_implIS3_Lb0ELb0EPfS7_N6thrust23THRUST_200600_302600_NS4plusIfEEEE10hipError_tPvRmT2_T3_mT4_P12ihipStream_tbEUlT_E_NS1_11comp_targetILNS1_3genE5ELNS1_11target_archE942ELNS1_3gpuE9ELNS1_3repE0EEENS1_30default_config_static_selectorELNS0_4arch9wavefront6targetE1EEEvT1_ ; -- Begin function _ZN7rocprim17ROCPRIM_400000_NS6detail17trampoline_kernelINS0_14default_configENS1_35adjacent_difference_config_selectorILb0EfEEZNS1_24adjacent_difference_implIS3_Lb0ELb0EPfS7_N6thrust23THRUST_200600_302600_NS4plusIfEEEE10hipError_tPvRmT2_T3_mT4_P12ihipStream_tbEUlT_E_NS1_11comp_targetILNS1_3genE5ELNS1_11target_archE942ELNS1_3gpuE9ELNS1_3repE0EEENS1_30default_config_static_selectorELNS0_4arch9wavefront6targetE1EEEvT1_
	.globl	_ZN7rocprim17ROCPRIM_400000_NS6detail17trampoline_kernelINS0_14default_configENS1_35adjacent_difference_config_selectorILb0EfEEZNS1_24adjacent_difference_implIS3_Lb0ELb0EPfS7_N6thrust23THRUST_200600_302600_NS4plusIfEEEE10hipError_tPvRmT2_T3_mT4_P12ihipStream_tbEUlT_E_NS1_11comp_targetILNS1_3genE5ELNS1_11target_archE942ELNS1_3gpuE9ELNS1_3repE0EEENS1_30default_config_static_selectorELNS0_4arch9wavefront6targetE1EEEvT1_
	.p2align	8
	.type	_ZN7rocprim17ROCPRIM_400000_NS6detail17trampoline_kernelINS0_14default_configENS1_35adjacent_difference_config_selectorILb0EfEEZNS1_24adjacent_difference_implIS3_Lb0ELb0EPfS7_N6thrust23THRUST_200600_302600_NS4plusIfEEEE10hipError_tPvRmT2_T3_mT4_P12ihipStream_tbEUlT_E_NS1_11comp_targetILNS1_3genE5ELNS1_11target_archE942ELNS1_3gpuE9ELNS1_3repE0EEENS1_30default_config_static_selectorELNS0_4arch9wavefront6targetE1EEEvT1_,@function
_ZN7rocprim17ROCPRIM_400000_NS6detail17trampoline_kernelINS0_14default_configENS1_35adjacent_difference_config_selectorILb0EfEEZNS1_24adjacent_difference_implIS3_Lb0ELb0EPfS7_N6thrust23THRUST_200600_302600_NS4plusIfEEEE10hipError_tPvRmT2_T3_mT4_P12ihipStream_tbEUlT_E_NS1_11comp_targetILNS1_3genE5ELNS1_11target_archE942ELNS1_3gpuE9ELNS1_3repE0EEENS1_30default_config_static_selectorELNS0_4arch9wavefront6targetE1EEEvT1_: ; @_ZN7rocprim17ROCPRIM_400000_NS6detail17trampoline_kernelINS0_14default_configENS1_35adjacent_difference_config_selectorILb0EfEEZNS1_24adjacent_difference_implIS3_Lb0ELb0EPfS7_N6thrust23THRUST_200600_302600_NS4plusIfEEEE10hipError_tPvRmT2_T3_mT4_P12ihipStream_tbEUlT_E_NS1_11comp_targetILNS1_3genE5ELNS1_11target_archE942ELNS1_3gpuE9ELNS1_3repE0EEENS1_30default_config_static_selectorELNS0_4arch9wavefront6targetE1EEEvT1_
; %bb.0:
	.section	.rodata,"a",@progbits
	.p2align	6, 0x0
	.amdhsa_kernel _ZN7rocprim17ROCPRIM_400000_NS6detail17trampoline_kernelINS0_14default_configENS1_35adjacent_difference_config_selectorILb0EfEEZNS1_24adjacent_difference_implIS3_Lb0ELb0EPfS7_N6thrust23THRUST_200600_302600_NS4plusIfEEEE10hipError_tPvRmT2_T3_mT4_P12ihipStream_tbEUlT_E_NS1_11comp_targetILNS1_3genE5ELNS1_11target_archE942ELNS1_3gpuE9ELNS1_3repE0EEENS1_30default_config_static_selectorELNS0_4arch9wavefront6targetE1EEEvT1_
		.amdhsa_group_segment_fixed_size 0
		.amdhsa_private_segment_fixed_size 0
		.amdhsa_kernarg_size 56
		.amdhsa_user_sgpr_count 6
		.amdhsa_user_sgpr_private_segment_buffer 1
		.amdhsa_user_sgpr_dispatch_ptr 0
		.amdhsa_user_sgpr_queue_ptr 0
		.amdhsa_user_sgpr_kernarg_segment_ptr 1
		.amdhsa_user_sgpr_dispatch_id 0
		.amdhsa_user_sgpr_flat_scratch_init 0
		.amdhsa_user_sgpr_kernarg_preload_length 0
		.amdhsa_user_sgpr_kernarg_preload_offset 0
		.amdhsa_user_sgpr_private_segment_size 0
		.amdhsa_uses_dynamic_stack 0
		.amdhsa_system_sgpr_private_segment_wavefront_offset 0
		.amdhsa_system_sgpr_workgroup_id_x 1
		.amdhsa_system_sgpr_workgroup_id_y 0
		.amdhsa_system_sgpr_workgroup_id_z 0
		.amdhsa_system_sgpr_workgroup_info 0
		.amdhsa_system_vgpr_workitem_id 0
		.amdhsa_next_free_vgpr 1
		.amdhsa_next_free_sgpr 0
		.amdhsa_accum_offset 4
		.amdhsa_reserve_vcc 0
		.amdhsa_reserve_flat_scratch 0
		.amdhsa_float_round_mode_32 0
		.amdhsa_float_round_mode_16_64 0
		.amdhsa_float_denorm_mode_32 3
		.amdhsa_float_denorm_mode_16_64 3
		.amdhsa_dx10_clamp 1
		.amdhsa_ieee_mode 1
		.amdhsa_fp16_overflow 0
		.amdhsa_tg_split 0
		.amdhsa_exception_fp_ieee_invalid_op 0
		.amdhsa_exception_fp_denorm_src 0
		.amdhsa_exception_fp_ieee_div_zero 0
		.amdhsa_exception_fp_ieee_overflow 0
		.amdhsa_exception_fp_ieee_underflow 0
		.amdhsa_exception_fp_ieee_inexact 0
		.amdhsa_exception_int_div_zero 0
	.end_amdhsa_kernel
	.section	.text._ZN7rocprim17ROCPRIM_400000_NS6detail17trampoline_kernelINS0_14default_configENS1_35adjacent_difference_config_selectorILb0EfEEZNS1_24adjacent_difference_implIS3_Lb0ELb0EPfS7_N6thrust23THRUST_200600_302600_NS4plusIfEEEE10hipError_tPvRmT2_T3_mT4_P12ihipStream_tbEUlT_E_NS1_11comp_targetILNS1_3genE5ELNS1_11target_archE942ELNS1_3gpuE9ELNS1_3repE0EEENS1_30default_config_static_selectorELNS0_4arch9wavefront6targetE1EEEvT1_,"axG",@progbits,_ZN7rocprim17ROCPRIM_400000_NS6detail17trampoline_kernelINS0_14default_configENS1_35adjacent_difference_config_selectorILb0EfEEZNS1_24adjacent_difference_implIS3_Lb0ELb0EPfS7_N6thrust23THRUST_200600_302600_NS4plusIfEEEE10hipError_tPvRmT2_T3_mT4_P12ihipStream_tbEUlT_E_NS1_11comp_targetILNS1_3genE5ELNS1_11target_archE942ELNS1_3gpuE9ELNS1_3repE0EEENS1_30default_config_static_selectorELNS0_4arch9wavefront6targetE1EEEvT1_,comdat
.Lfunc_end180:
	.size	_ZN7rocprim17ROCPRIM_400000_NS6detail17trampoline_kernelINS0_14default_configENS1_35adjacent_difference_config_selectorILb0EfEEZNS1_24adjacent_difference_implIS3_Lb0ELb0EPfS7_N6thrust23THRUST_200600_302600_NS4plusIfEEEE10hipError_tPvRmT2_T3_mT4_P12ihipStream_tbEUlT_E_NS1_11comp_targetILNS1_3genE5ELNS1_11target_archE942ELNS1_3gpuE9ELNS1_3repE0EEENS1_30default_config_static_selectorELNS0_4arch9wavefront6targetE1EEEvT1_, .Lfunc_end180-_ZN7rocprim17ROCPRIM_400000_NS6detail17trampoline_kernelINS0_14default_configENS1_35adjacent_difference_config_selectorILb0EfEEZNS1_24adjacent_difference_implIS3_Lb0ELb0EPfS7_N6thrust23THRUST_200600_302600_NS4plusIfEEEE10hipError_tPvRmT2_T3_mT4_P12ihipStream_tbEUlT_E_NS1_11comp_targetILNS1_3genE5ELNS1_11target_archE942ELNS1_3gpuE9ELNS1_3repE0EEENS1_30default_config_static_selectorELNS0_4arch9wavefront6targetE1EEEvT1_
                                        ; -- End function
	.section	.AMDGPU.csdata,"",@progbits
; Kernel info:
; codeLenInByte = 0
; NumSgprs: 4
; NumVgprs: 0
; NumAgprs: 0
; TotalNumVgprs: 0
; ScratchSize: 0
; MemoryBound: 0
; FloatMode: 240
; IeeeMode: 1
; LDSByteSize: 0 bytes/workgroup (compile time only)
; SGPRBlocks: 0
; VGPRBlocks: 0
; NumSGPRsForWavesPerEU: 4
; NumVGPRsForWavesPerEU: 1
; AccumOffset: 4
; Occupancy: 8
; WaveLimiterHint : 0
; COMPUTE_PGM_RSRC2:SCRATCH_EN: 0
; COMPUTE_PGM_RSRC2:USER_SGPR: 6
; COMPUTE_PGM_RSRC2:TRAP_HANDLER: 0
; COMPUTE_PGM_RSRC2:TGID_X_EN: 1
; COMPUTE_PGM_RSRC2:TGID_Y_EN: 0
; COMPUTE_PGM_RSRC2:TGID_Z_EN: 0
; COMPUTE_PGM_RSRC2:TIDIG_COMP_CNT: 0
; COMPUTE_PGM_RSRC3_GFX90A:ACCUM_OFFSET: 0
; COMPUTE_PGM_RSRC3_GFX90A:TG_SPLIT: 0
	.section	.text._ZN7rocprim17ROCPRIM_400000_NS6detail17trampoline_kernelINS0_14default_configENS1_35adjacent_difference_config_selectorILb0EfEEZNS1_24adjacent_difference_implIS3_Lb0ELb0EPfS7_N6thrust23THRUST_200600_302600_NS4plusIfEEEE10hipError_tPvRmT2_T3_mT4_P12ihipStream_tbEUlT_E_NS1_11comp_targetILNS1_3genE4ELNS1_11target_archE910ELNS1_3gpuE8ELNS1_3repE0EEENS1_30default_config_static_selectorELNS0_4arch9wavefront6targetE1EEEvT1_,"axG",@progbits,_ZN7rocprim17ROCPRIM_400000_NS6detail17trampoline_kernelINS0_14default_configENS1_35adjacent_difference_config_selectorILb0EfEEZNS1_24adjacent_difference_implIS3_Lb0ELb0EPfS7_N6thrust23THRUST_200600_302600_NS4plusIfEEEE10hipError_tPvRmT2_T3_mT4_P12ihipStream_tbEUlT_E_NS1_11comp_targetILNS1_3genE4ELNS1_11target_archE910ELNS1_3gpuE8ELNS1_3repE0EEENS1_30default_config_static_selectorELNS0_4arch9wavefront6targetE1EEEvT1_,comdat
	.protected	_ZN7rocprim17ROCPRIM_400000_NS6detail17trampoline_kernelINS0_14default_configENS1_35adjacent_difference_config_selectorILb0EfEEZNS1_24adjacent_difference_implIS3_Lb0ELb0EPfS7_N6thrust23THRUST_200600_302600_NS4plusIfEEEE10hipError_tPvRmT2_T3_mT4_P12ihipStream_tbEUlT_E_NS1_11comp_targetILNS1_3genE4ELNS1_11target_archE910ELNS1_3gpuE8ELNS1_3repE0EEENS1_30default_config_static_selectorELNS0_4arch9wavefront6targetE1EEEvT1_ ; -- Begin function _ZN7rocprim17ROCPRIM_400000_NS6detail17trampoline_kernelINS0_14default_configENS1_35adjacent_difference_config_selectorILb0EfEEZNS1_24adjacent_difference_implIS3_Lb0ELb0EPfS7_N6thrust23THRUST_200600_302600_NS4plusIfEEEE10hipError_tPvRmT2_T3_mT4_P12ihipStream_tbEUlT_E_NS1_11comp_targetILNS1_3genE4ELNS1_11target_archE910ELNS1_3gpuE8ELNS1_3repE0EEENS1_30default_config_static_selectorELNS0_4arch9wavefront6targetE1EEEvT1_
	.globl	_ZN7rocprim17ROCPRIM_400000_NS6detail17trampoline_kernelINS0_14default_configENS1_35adjacent_difference_config_selectorILb0EfEEZNS1_24adjacent_difference_implIS3_Lb0ELb0EPfS7_N6thrust23THRUST_200600_302600_NS4plusIfEEEE10hipError_tPvRmT2_T3_mT4_P12ihipStream_tbEUlT_E_NS1_11comp_targetILNS1_3genE4ELNS1_11target_archE910ELNS1_3gpuE8ELNS1_3repE0EEENS1_30default_config_static_selectorELNS0_4arch9wavefront6targetE1EEEvT1_
	.p2align	8
	.type	_ZN7rocprim17ROCPRIM_400000_NS6detail17trampoline_kernelINS0_14default_configENS1_35adjacent_difference_config_selectorILb0EfEEZNS1_24adjacent_difference_implIS3_Lb0ELb0EPfS7_N6thrust23THRUST_200600_302600_NS4plusIfEEEE10hipError_tPvRmT2_T3_mT4_P12ihipStream_tbEUlT_E_NS1_11comp_targetILNS1_3genE4ELNS1_11target_archE910ELNS1_3gpuE8ELNS1_3repE0EEENS1_30default_config_static_selectorELNS0_4arch9wavefront6targetE1EEEvT1_,@function
_ZN7rocprim17ROCPRIM_400000_NS6detail17trampoline_kernelINS0_14default_configENS1_35adjacent_difference_config_selectorILb0EfEEZNS1_24adjacent_difference_implIS3_Lb0ELb0EPfS7_N6thrust23THRUST_200600_302600_NS4plusIfEEEE10hipError_tPvRmT2_T3_mT4_P12ihipStream_tbEUlT_E_NS1_11comp_targetILNS1_3genE4ELNS1_11target_archE910ELNS1_3gpuE8ELNS1_3repE0EEENS1_30default_config_static_selectorELNS0_4arch9wavefront6targetE1EEEvT1_: ; @_ZN7rocprim17ROCPRIM_400000_NS6detail17trampoline_kernelINS0_14default_configENS1_35adjacent_difference_config_selectorILb0EfEEZNS1_24adjacent_difference_implIS3_Lb0ELb0EPfS7_N6thrust23THRUST_200600_302600_NS4plusIfEEEE10hipError_tPvRmT2_T3_mT4_P12ihipStream_tbEUlT_E_NS1_11comp_targetILNS1_3genE4ELNS1_11target_archE910ELNS1_3gpuE8ELNS1_3repE0EEENS1_30default_config_static_selectorELNS0_4arch9wavefront6targetE1EEEvT1_
; %bb.0:
	s_load_dwordx8 s[8:15], s[4:5], 0x0
	s_mov_b32 s2, 0x59999780
	s_load_dwordx2 s[0:1], s[4:5], 0x30
	s_movk_i32 s7, 0xa00
	s_mul_i32 s16, s6, 0xa00
	s_waitcnt lgkmcnt(0)
	s_lshl_b64 s[18:19], s[10:11], 2
	s_add_u32 s20, s8, s18
	s_addc_u32 s21, s9, s19
	s_add_u32 s2, 0xe0, s2
	s_addc_u32 s4, 0, 0
	v_add_co_u32_e64 v1, s[2:3], s2, 2.0
	s_cmp_lg_u64 s[2:3], 0
	s_addc_u32 s2, s4, 0x199999
	v_readfirstlane_b32 s4, v1
	s_mul_hi_u32 s5, s4, 0xfffff600
	s_mul_i32 s3, s2, 0xfffff600
	s_sub_i32 s5, s5, s4
	s_add_i32 s5, s5, s3
	s_mul_i32 s9, s4, 0xfffff600
	s_mul_hi_u32 s3, s4, s5
	s_mul_i32 s8, s4, s5
	s_mul_hi_u32 s4, s4, s9
	s_add_u32 s4, s4, s8
	s_addc_u32 s3, 0, s3
	s_mul_hi_u32 s10, s2, s9
	s_mul_i32 s9, s2, s9
	s_add_u32 s4, s4, s9
	s_mul_hi_u32 s8, s2, s5
	s_addc_u32 s3, s3, s10
	s_addc_u32 s4, s8, 0
	s_mul_i32 s5, s2, s5
	s_add_u32 s3, s3, s5
	s_addc_u32 s4, 0, s4
	v_add_co_u32_e32 v1, vcc, s3, v1
	s_cmp_lg_u64 vcc, 0
	s_addc_u32 s2, s2, s4
	v_readfirstlane_b32 s5, v1
	s_mul_i32 s4, s14, s2
	s_mul_hi_u32 s8, s14, s5
	s_mul_hi_u32 s3, s14, s2
	s_add_u32 s4, s8, s4
	s_addc_u32 s3, 0, s3
	s_mul_hi_u32 s9, s15, s5
	s_mul_i32 s5, s15, s5
	s_add_u32 s4, s4, s5
	s_mul_hi_u32 s8, s15, s2
	s_addc_u32 s3, s3, s9
	s_addc_u32 s4, s8, 0
	s_mul_i32 s2, s15, s2
	s_add_u32 s2, s3, s2
	s_addc_u32 s3, 0, s4
	s_add_u32 s4, s2, 1
	s_addc_u32 s5, s3, 0
	s_add_u32 s8, s2, 2
	s_mul_i32 s10, s3, 0xa00
	s_mul_hi_u32 s11, s2, 0xa00
	s_addc_u32 s9, s3, 0
	s_add_i32 s11, s11, s10
	s_mul_i32 s10, s2, 0xa00
	v_mov_b32_e32 v1, s10
	v_sub_co_u32_e32 v1, vcc, s14, v1
	s_cmp_lg_u64 vcc, 0
	s_subb_u32 s10, s15, s11
	v_subrev_co_u32_e32 v2, vcc, s7, v1
	s_cmp_lg_u64 vcc, 0
	s_subb_u32 s7, s10, 0
	v_readfirstlane_b32 s11, v2
	s_cmpk_gt_u32 s11, 0x9ff
	s_cselect_b32 s11, -1, 0
	s_cmp_eq_u32 s7, 0
	s_cselect_b32 s7, s11, -1
	s_cmp_lg_u32 s7, 0
	v_readfirstlane_b32 s7, v1
	s_cselect_b32 s4, s8, s4
	s_cselect_b32 s5, s9, s5
	s_cmpk_gt_u32 s7, 0x9ff
	s_cselect_b32 s7, -1, 0
	s_cmp_eq_u32 s10, 0
	s_cselect_b32 s7, s7, -1
	s_cmp_lg_u32 s7, 0
	s_cselect_b32 s5, s5, s3
	s_cselect_b32 s4, s4, s2
	s_mul_i32 s2, s5, 0xa00
	s_mul_hi_u32 s3, s4, 0xa00
	s_add_i32 s3, s3, s2
	s_mul_i32 s2, s4, 0xa00
	s_sub_u32 s2, s14, s2
	s_subb_u32 s3, s15, s3
	s_cmp_lg_u64 s[2:3], 0
	s_cselect_b64 s[2:3], -1, 0
	v_cndmask_b32_e64 v1, 0, 1, s[2:3]
	v_readfirstlane_b32 s2, v1
	s_add_u32 s2, s4, s2
	s_addc_u32 s3, s5, 0
	s_add_u32 s4, s0, s6
	s_addc_u32 s5, s1, 0
	s_add_u32 s6, s2, -1
	s_addc_u32 s7, s3, -1
	v_pk_mov_b32 v[2:3], s[6:7], s[6:7] op_sel:[0,1]
	v_cmp_ge_u64_e64 s[0:1], s[4:5], v[2:3]
	s_mov_b32 s17, 0
	s_mov_b64 s[8:9], -1
	s_and_b64 vcc, exec, s[0:1]
	s_mul_i32 s15, s6, 0xfffff600
	s_cbranch_vccz .LBB181_12
; %bb.1:
	s_add_i32 s22, s15, s14
	s_lshl_b64 s[8:9], s[16:17], 2
	s_add_u32 s8, s20, s8
	s_addc_u32 s9, s21, s9
	v_cmp_gt_u32_e32 vcc, s22, v0
                                        ; implicit-def: $vgpr2_vgpr3_vgpr4_vgpr5_vgpr6
	s_and_saveexec_b64 s[10:11], vcc
	s_cbranch_execz .LBB181_3
; %bb.2:
	v_lshlrev_b32_e32 v1, 2, v0
	global_load_dword v2, v1, s[8:9]
.LBB181_3:
	s_or_b64 exec, exec, s[10:11]
	v_or_b32_e32 v1, 0x200, v0
	v_cmp_gt_u32_e32 vcc, s22, v1
	s_and_saveexec_b64 s[10:11], vcc
	s_cbranch_execz .LBB181_5
; %bb.4:
	v_lshlrev_b32_e32 v1, 2, v0
	global_load_dword v3, v1, s[8:9] offset:2048
.LBB181_5:
	s_or_b64 exec, exec, s[10:11]
	v_or_b32_e32 v1, 0x400, v0
	v_cmp_gt_u32_e32 vcc, s22, v1
	s_and_saveexec_b64 s[10:11], vcc
	s_cbranch_execz .LBB181_7
; %bb.6:
	v_lshlrev_b32_e32 v1, 2, v1
	global_load_dword v4, v1, s[8:9]
.LBB181_7:
	s_or_b64 exec, exec, s[10:11]
	v_or_b32_e32 v1, 0x600, v0
	v_cmp_gt_u32_e32 vcc, s22, v1
	s_and_saveexec_b64 s[10:11], vcc
	s_cbranch_execz .LBB181_9
; %bb.8:
	v_lshlrev_b32_e32 v1, 2, v1
	global_load_dword v5, v1, s[8:9]
.LBB181_9:
	;; [unrolled: 9-line block ×3, first 2 shown]
	s_or_b64 exec, exec, s[10:11]
	v_lshlrev_b32_e32 v1, 2, v0
	s_mov_b64 s[8:9], 0
	s_waitcnt vmcnt(0)
	ds_write2st64_b32 v1, v2, v3 offset1:8
	ds_write2st64_b32 v1, v4, v5 offset0:16 offset1:24
	ds_write_b32 v1, v6 offset:8192
	s_waitcnt lgkmcnt(0)
	s_barrier
.LBB181_12:
	s_and_b64 vcc, exec, s[8:9]
	v_lshlrev_b32_e32 v1, 2, v0
	s_cbranch_vccz .LBB181_14
; %bb.13:
	s_lshl_b64 s[8:9], s[16:17], 2
	s_add_u32 s8, s20, s8
	s_addc_u32 s9, s21, s9
	v_mov_b32_e32 v2, s9
	v_add_co_u32_e32 v4, vcc, s8, v1
	v_addc_co_u32_e32 v5, vcc, 0, v2, vcc
	v_add_co_u32_e32 v2, vcc, 0x1000, v4
	v_addc_co_u32_e32 v3, vcc, 0, v5, vcc
	global_load_dword v6, v1, s[8:9]
	global_load_dword v7, v1, s[8:9] offset:2048
	global_load_dword v8, v[2:3], off
	global_load_dword v9, v[2:3], off offset:2048
	v_add_co_u32_e32 v2, vcc, 0x2000, v4
	v_addc_co_u32_e32 v3, vcc, 0, v5, vcc
	global_load_dword v2, v[2:3], off
	s_waitcnt vmcnt(3)
	ds_write2st64_b32 v1, v6, v7 offset1:8
	s_waitcnt vmcnt(1)
	ds_write2st64_b32 v1, v8, v9 offset0:16 offset1:24
	s_waitcnt vmcnt(0)
	ds_write_b32 v1, v2 offset:8192
	s_waitcnt lgkmcnt(0)
	s_barrier
.LBB181_14:
	v_mul_u32_u24_e32 v2, 5, v0
	v_lshlrev_b32_e32 v2, 2, v2
	ds_read2_b32 v[4:5], v2 offset1:1
	ds_read2_b32 v[6:7], v2 offset0:2 offset1:3
	ds_read_b32 v11, v2 offset:16
	s_cmp_eq_u64 s[4:5], 0
	s_waitcnt lgkmcnt(0)
	s_barrier
	s_cbranch_scc1 .LBB181_19
; %bb.15:
	s_lshl_b64 s[8:9], s[16:17], 2
	s_add_u32 s8, s20, s8
	s_addc_u32 s9, s21, s9
	s_add_u32 s8, s8, -4
	s_addc_u32 s9, s9, -1
	s_load_dword s8, s[8:9], 0x0
	s_cmp_eq_u64 s[4:5], s[6:7]
	s_cbranch_scc1 .LBB181_20
; %bb.16:
	v_cmp_ne_u32_e32 vcc, 0, v0
	s_waitcnt lgkmcnt(0)
	v_mov_b32_e32 v12, s8
	ds_write_b32 v1, v11
	s_waitcnt lgkmcnt(0)
	s_barrier
	s_and_saveexec_b64 s[6:7], vcc
	s_cbranch_execz .LBB181_18
; %bb.17:
	v_add_u32_e32 v2, -4, v1
	ds_read_b32 v12, v2
.LBB181_18:
	s_or_b64 exec, exec, s[6:7]
	v_mov_b32_e32 v10, v6
	v_mov_b32_e32 v8, v4
	;; [unrolled: 1-line block ×3, first 2 shown]
	v_pk_add_f32 v[2:3], v[6:7], v[10:11] op_sel:[1,0]
	v_pk_add_f32 v[8:9], v[4:5], v[8:9] op_sel:[1,0]
	s_waitcnt lgkmcnt(0)
	v_add_f32_e32 v12, v4, v12
	s_branch .LBB181_24
.LBB181_19:
                                        ; implicit-def: $vgpr3
                                        ; implicit-def: $vgpr9
                                        ; implicit-def: $vgpr12
	s_branch .LBB181_25
.LBB181_20:
                                        ; implicit-def: $vgpr3
                                        ; implicit-def: $vgpr9
                                        ; implicit-def: $vgpr12
	s_cbranch_execz .LBB181_24
; %bb.21:
	v_mul_u32_u24_e32 v10, 5, v0
	v_cmp_ne_u32_e32 vcc, 0, v0
	s_waitcnt lgkmcnt(0)
	v_mov_b32_e32 v12, s8
	ds_write_b32 v1, v11
	s_waitcnt lgkmcnt(0)
	s_barrier
	s_and_saveexec_b64 s[6:7], vcc
	s_cbranch_execz .LBB181_23
; %bb.22:
	v_add_u32_e32 v2, -4, v1
	ds_read_b32 v12, v2
.LBB181_23:
	s_or_b64 exec, exec, s[6:7]
	s_mulk_i32 s4, 0xf600
	s_add_i32 s4, s4, s14
	v_add_u32_e32 v2, 4, v10
	v_add_f32_e32 v3, v7, v11
	v_cmp_gt_u32_e32 vcc, s4, v2
	v_cndmask_b32_e32 v3, v11, v3, vcc
	v_add_u32_e32 v13, 3, v10
	v_mov_b32_e32 v2, v7
	v_pk_add_f32 v[8:9], v[6:7], v[2:3]
	v_cmp_gt_u32_e32 vcc, s4, v13
	v_cndmask_b32_e32 v2, v7, v8, vcc
	v_add_u32_e32 v13, 2, v10
	v_mov_b32_e32 v8, v5
	v_pk_add_f32 v[8:9], v[8:9], v[6:7]
	v_cmp_gt_u32_e32 vcc, s4, v13
	v_cndmask_b32_e32 v9, v6, v8, vcc
	v_add_u32_e32 v8, 1, v10
	v_mov_b32_e32 v13, v4
	s_waitcnt lgkmcnt(0)
	v_pk_add_f32 v[14:15], v[12:13], v[4:5]
	v_cmp_gt_u32_e32 vcc, s4, v8
	v_cndmask_b32_e32 v8, v5, v15, vcc
	v_add_f32_e32 v12, v4, v12
	v_cmp_gt_u32_e32 vcc, s4, v10
	v_cndmask_b32_e32 v12, v4, v12, vcc
.LBB181_24:
	s_cbranch_execnz .LBB181_33
.LBB181_25:
	s_cmp_eq_u64 s[2:3], 1
	v_cmp_ne_u32_e32 vcc, 0, v0
	s_cbranch_scc1 .LBB181_29
; %bb.26:
	v_mov_b32_e32 v10, v7
	v_mov_b32_e32 v8, v5
	;; [unrolled: 1-line block ×3, first 2 shown]
	v_pk_add_f32 v[2:3], v[6:7], v[10:11]
	v_pk_add_f32 v[8:9], v[4:5], v[8:9]
	v_mov_b32_e32 v12, v4
	ds_write_b32 v1, v11
	s_waitcnt lgkmcnt(0)
	s_barrier
	s_and_saveexec_b64 s[2:3], vcc
	s_cbranch_execz .LBB181_28
; %bb.27:
	v_add_u32_e32 v10, -4, v1
	ds_read_b32 v10, v10
	s_waitcnt lgkmcnt(0)
	v_add_f32_e32 v12, v4, v10
.LBB181_28:
	s_or_b64 exec, exec, s[2:3]
	s_cbranch_execz .LBB181_30
	s_branch .LBB181_33
.LBB181_29:
                                        ; implicit-def: $vgpr3
                                        ; implicit-def: $vgpr9
                                        ; implicit-def: $vgpr12
.LBB181_30:
	v_mad_u32_u24 v2, v0, 5, 4
	v_cmp_gt_u32_e32 vcc, s14, v2
	v_mad_u32_u24 v2, v0, 5, 3
	v_cmp_gt_u32_e64 s[2:3], s14, v2
	v_mov_b32_e32 v2, v7
	v_pk_add_f32 v[2:3], v[6:7], v[2:3]
	v_mad_u32_u24 v3, v0, 5, 2
	v_mul_u32_u24_e32 v14, 5, v0
	v_cmp_gt_u32_e64 s[4:5], s14, v3
	v_mad_u32_u24 v3, v0, 5, 1
	v_mov_b32_e32 v8, v5
	v_cmp_gt_u32_e64 s[6:7], s14, v3
	v_mov_b32_e32 v3, v4
	s_waitcnt lgkmcnt(0)
	v_cmp_ne_u32_e64 s[8:9], 0, v0
	v_cmp_gt_u32_e64 s[10:11], s14, v14
	v_add_f32_e32 v10, v7, v11
	v_pk_add_f32 v[8:9], v[8:9], v[6:7]
	v_pk_add_f32 v[12:13], v[2:3], v[4:5]
	s_and_b64 s[10:11], s[8:9], s[10:11]
	ds_write_b32 v1, v11
	s_waitcnt lgkmcnt(0)
	s_barrier
	s_and_saveexec_b64 s[8:9], s[10:11]
	s_cbranch_execz .LBB181_32
; %bb.31:
	v_add_u32_e32 v3, -4, v1
	ds_read_b32 v3, v3
	s_waitcnt lgkmcnt(0)
	v_add_f32_e32 v4, v4, v3
.LBB181_32:
	s_or_b64 exec, exec, s[8:9]
	v_cndmask_b32_e32 v3, v11, v10, vcc
	v_cndmask_b32_e64 v2, v7, v2, s[2:3]
	v_cndmask_b32_e64 v9, v6, v8, s[4:5]
	;; [unrolled: 1-line block ×3, first 2 shown]
	v_mov_b32_e32 v12, v4
.LBB181_33:
	s_add_u32 s4, s12, s18
	s_addc_u32 s5, s13, s19
	s_and_b64 vcc, exec, s[0:1]
	v_mul_u32_u24_e32 v13, 20, v0
	v_lshlrev_b32_e32 v14, 4, v0
	s_waitcnt lgkmcnt(0)
	s_barrier
	s_cbranch_vccz .LBB181_43
; %bb.34:
	s_add_i32 s15, s15, s14
	s_lshl_b64 s[0:1], s[16:17], 2
	v_sub_u32_e32 v4, v13, v14
	s_add_u32 s0, s4, s0
	ds_write2_b32 v13, v12, v8 offset1:1
	ds_write2_b32 v13, v9, v2 offset0:2 offset1:3
	ds_write_b32 v13, v3 offset:16
	s_waitcnt lgkmcnt(0)
	s_barrier
	ds_read2st64_b32 v[10:11], v4 offset0:8 offset1:16
	ds_read2st64_b32 v[4:5], v4 offset0:24 offset1:32
	s_addc_u32 s1, s5, s1
	v_mov_b32_e32 v7, s1
	v_add_co_u32_e32 v6, vcc, s0, v1
	v_addc_co_u32_e32 v7, vcc, 0, v7, vcc
	v_cmp_gt_u32_e32 vcc, s15, v0
	s_and_saveexec_b64 s[0:1], vcc
	s_cbranch_execz .LBB181_36
; %bb.35:
	v_sub_u32_e32 v15, 0, v14
	v_add_u32_e32 v15, v13, v15
	ds_read_b32 v15, v15
	s_waitcnt lgkmcnt(0)
	global_store_dword v[6:7], v15, off
.LBB181_36:
	s_or_b64 exec, exec, s[0:1]
	v_or_b32_e32 v15, 0x200, v0
	v_cmp_gt_u32_e32 vcc, s15, v15
	s_and_saveexec_b64 s[0:1], vcc
	s_cbranch_execz .LBB181_38
; %bb.37:
	s_waitcnt lgkmcnt(1)
	global_store_dword v[6:7], v10, off offset:2048
.LBB181_38:
	s_or_b64 exec, exec, s[0:1]
	s_waitcnt lgkmcnt(1)
	v_or_b32_e32 v10, 0x400, v0
	v_cmp_gt_u32_e32 vcc, s15, v10
	s_and_saveexec_b64 s[0:1], vcc
	s_cbranch_execz .LBB181_40
; %bb.39:
	v_add_co_u32_e32 v16, vcc, 0x1000, v6
	v_addc_co_u32_e32 v17, vcc, 0, v7, vcc
	global_store_dword v[16:17], v11, off
.LBB181_40:
	s_or_b64 exec, exec, s[0:1]
	v_or_b32_e32 v10, 0x600, v0
	v_cmp_gt_u32_e32 vcc, s15, v10
	s_and_saveexec_b64 s[0:1], vcc
	s_cbranch_execz .LBB181_42
; %bb.41:
	v_add_co_u32_e32 v10, vcc, 0x1000, v6
	v_addc_co_u32_e32 v11, vcc, 0, v7, vcc
	s_waitcnt lgkmcnt(0)
	global_store_dword v[10:11], v4, off offset:2048
.LBB181_42:
	s_or_b64 exec, exec, s[0:1]
	v_or_b32_e32 v0, 0x800, v0
	v_cmp_gt_u32_e64 s[0:1], s15, v0
	s_branch .LBB181_45
.LBB181_43:
	s_mov_b64 s[0:1], 0
                                        ; implicit-def: $vgpr5
                                        ; implicit-def: $vgpr6_vgpr7
	s_cbranch_execz .LBB181_45
; %bb.44:
	s_lshl_b64 s[2:3], s[16:17], 2
	s_add_u32 s2, s4, s2
	s_addc_u32 s3, s5, s3
	v_sub_u32_e32 v0, v13, v14
	ds_write2_b32 v13, v12, v8 offset1:1
	ds_write2_b32 v13, v9, v2 offset0:2 offset1:3
	ds_write_b32 v13, v3 offset:16
	s_waitcnt lgkmcnt(0)
	s_barrier
	ds_read2st64_b32 v[2:3], v0 offset1:8
	ds_read2st64_b32 v[8:9], v0 offset0:16 offset1:24
	ds_read_b32 v5, v0 offset:8192
	v_mov_b32_e32 v0, s3
	v_add_co_u32_e32 v6, vcc, s2, v1
	v_addc_co_u32_e32 v7, vcc, 0, v0, vcc
	v_add_co_u32_e32 v0, vcc, 0x1000, v6
	s_waitcnt lgkmcnt(2)
	global_store_dword v1, v2, s[2:3]
	global_store_dword v1, v3, s[2:3] offset:2048
	v_addc_co_u32_e32 v1, vcc, 0, v7, vcc
	s_or_b64 s[0:1], s[0:1], exec
	s_waitcnt lgkmcnt(1)
	global_store_dword v[0:1], v8, off
	global_store_dword v[0:1], v9, off offset:2048
.LBB181_45:
	s_and_saveexec_b64 s[2:3], s[0:1]
	s_cbranch_execnz .LBB181_47
; %bb.46:
	s_endpgm
.LBB181_47:
	v_add_co_u32_e32 v0, vcc, 0x2000, v6
	v_addc_co_u32_e32 v1, vcc, 0, v7, vcc
	s_waitcnt lgkmcnt(0)
	global_store_dword v[0:1], v5, off
	s_endpgm
	.section	.rodata,"a",@progbits
	.p2align	6, 0x0
	.amdhsa_kernel _ZN7rocprim17ROCPRIM_400000_NS6detail17trampoline_kernelINS0_14default_configENS1_35adjacent_difference_config_selectorILb0EfEEZNS1_24adjacent_difference_implIS3_Lb0ELb0EPfS7_N6thrust23THRUST_200600_302600_NS4plusIfEEEE10hipError_tPvRmT2_T3_mT4_P12ihipStream_tbEUlT_E_NS1_11comp_targetILNS1_3genE4ELNS1_11target_archE910ELNS1_3gpuE8ELNS1_3repE0EEENS1_30default_config_static_selectorELNS0_4arch9wavefront6targetE1EEEvT1_
		.amdhsa_group_segment_fixed_size 10240
		.amdhsa_private_segment_fixed_size 0
		.amdhsa_kernarg_size 56
		.amdhsa_user_sgpr_count 6
		.amdhsa_user_sgpr_private_segment_buffer 1
		.amdhsa_user_sgpr_dispatch_ptr 0
		.amdhsa_user_sgpr_queue_ptr 0
		.amdhsa_user_sgpr_kernarg_segment_ptr 1
		.amdhsa_user_sgpr_dispatch_id 0
		.amdhsa_user_sgpr_flat_scratch_init 0
		.amdhsa_user_sgpr_kernarg_preload_length 0
		.amdhsa_user_sgpr_kernarg_preload_offset 0
		.amdhsa_user_sgpr_private_segment_size 0
		.amdhsa_uses_dynamic_stack 0
		.amdhsa_system_sgpr_private_segment_wavefront_offset 0
		.amdhsa_system_sgpr_workgroup_id_x 1
		.amdhsa_system_sgpr_workgroup_id_y 0
		.amdhsa_system_sgpr_workgroup_id_z 0
		.amdhsa_system_sgpr_workgroup_info 0
		.amdhsa_system_vgpr_workitem_id 0
		.amdhsa_next_free_vgpr 18
		.amdhsa_next_free_sgpr 23
		.amdhsa_accum_offset 20
		.amdhsa_reserve_vcc 1
		.amdhsa_reserve_flat_scratch 0
		.amdhsa_float_round_mode_32 0
		.amdhsa_float_round_mode_16_64 0
		.amdhsa_float_denorm_mode_32 3
		.amdhsa_float_denorm_mode_16_64 3
		.amdhsa_dx10_clamp 1
		.amdhsa_ieee_mode 1
		.amdhsa_fp16_overflow 0
		.amdhsa_tg_split 0
		.amdhsa_exception_fp_ieee_invalid_op 0
		.amdhsa_exception_fp_denorm_src 0
		.amdhsa_exception_fp_ieee_div_zero 0
		.amdhsa_exception_fp_ieee_overflow 0
		.amdhsa_exception_fp_ieee_underflow 0
		.amdhsa_exception_fp_ieee_inexact 0
		.amdhsa_exception_int_div_zero 0
	.end_amdhsa_kernel
	.section	.text._ZN7rocprim17ROCPRIM_400000_NS6detail17trampoline_kernelINS0_14default_configENS1_35adjacent_difference_config_selectorILb0EfEEZNS1_24adjacent_difference_implIS3_Lb0ELb0EPfS7_N6thrust23THRUST_200600_302600_NS4plusIfEEEE10hipError_tPvRmT2_T3_mT4_P12ihipStream_tbEUlT_E_NS1_11comp_targetILNS1_3genE4ELNS1_11target_archE910ELNS1_3gpuE8ELNS1_3repE0EEENS1_30default_config_static_selectorELNS0_4arch9wavefront6targetE1EEEvT1_,"axG",@progbits,_ZN7rocprim17ROCPRIM_400000_NS6detail17trampoline_kernelINS0_14default_configENS1_35adjacent_difference_config_selectorILb0EfEEZNS1_24adjacent_difference_implIS3_Lb0ELb0EPfS7_N6thrust23THRUST_200600_302600_NS4plusIfEEEE10hipError_tPvRmT2_T3_mT4_P12ihipStream_tbEUlT_E_NS1_11comp_targetILNS1_3genE4ELNS1_11target_archE910ELNS1_3gpuE8ELNS1_3repE0EEENS1_30default_config_static_selectorELNS0_4arch9wavefront6targetE1EEEvT1_,comdat
.Lfunc_end181:
	.size	_ZN7rocprim17ROCPRIM_400000_NS6detail17trampoline_kernelINS0_14default_configENS1_35adjacent_difference_config_selectorILb0EfEEZNS1_24adjacent_difference_implIS3_Lb0ELb0EPfS7_N6thrust23THRUST_200600_302600_NS4plusIfEEEE10hipError_tPvRmT2_T3_mT4_P12ihipStream_tbEUlT_E_NS1_11comp_targetILNS1_3genE4ELNS1_11target_archE910ELNS1_3gpuE8ELNS1_3repE0EEENS1_30default_config_static_selectorELNS0_4arch9wavefront6targetE1EEEvT1_, .Lfunc_end181-_ZN7rocprim17ROCPRIM_400000_NS6detail17trampoline_kernelINS0_14default_configENS1_35adjacent_difference_config_selectorILb0EfEEZNS1_24adjacent_difference_implIS3_Lb0ELb0EPfS7_N6thrust23THRUST_200600_302600_NS4plusIfEEEE10hipError_tPvRmT2_T3_mT4_P12ihipStream_tbEUlT_E_NS1_11comp_targetILNS1_3genE4ELNS1_11target_archE910ELNS1_3gpuE8ELNS1_3repE0EEENS1_30default_config_static_selectorELNS0_4arch9wavefront6targetE1EEEvT1_
                                        ; -- End function
	.section	.AMDGPU.csdata,"",@progbits
; Kernel info:
; codeLenInByte = 2040
; NumSgprs: 27
; NumVgprs: 18
; NumAgprs: 0
; TotalNumVgprs: 18
; ScratchSize: 0
; MemoryBound: 0
; FloatMode: 240
; IeeeMode: 1
; LDSByteSize: 10240 bytes/workgroup (compile time only)
; SGPRBlocks: 3
; VGPRBlocks: 2
; NumSGPRsForWavesPerEU: 27
; NumVGPRsForWavesPerEU: 18
; AccumOffset: 20
; Occupancy: 8
; WaveLimiterHint : 1
; COMPUTE_PGM_RSRC2:SCRATCH_EN: 0
; COMPUTE_PGM_RSRC2:USER_SGPR: 6
; COMPUTE_PGM_RSRC2:TRAP_HANDLER: 0
; COMPUTE_PGM_RSRC2:TGID_X_EN: 1
; COMPUTE_PGM_RSRC2:TGID_Y_EN: 0
; COMPUTE_PGM_RSRC2:TGID_Z_EN: 0
; COMPUTE_PGM_RSRC2:TIDIG_COMP_CNT: 0
; COMPUTE_PGM_RSRC3_GFX90A:ACCUM_OFFSET: 4
; COMPUTE_PGM_RSRC3_GFX90A:TG_SPLIT: 0
	.section	.text._ZN7rocprim17ROCPRIM_400000_NS6detail17trampoline_kernelINS0_14default_configENS1_35adjacent_difference_config_selectorILb0EfEEZNS1_24adjacent_difference_implIS3_Lb0ELb0EPfS7_N6thrust23THRUST_200600_302600_NS4plusIfEEEE10hipError_tPvRmT2_T3_mT4_P12ihipStream_tbEUlT_E_NS1_11comp_targetILNS1_3genE3ELNS1_11target_archE908ELNS1_3gpuE7ELNS1_3repE0EEENS1_30default_config_static_selectorELNS0_4arch9wavefront6targetE1EEEvT1_,"axG",@progbits,_ZN7rocprim17ROCPRIM_400000_NS6detail17trampoline_kernelINS0_14default_configENS1_35adjacent_difference_config_selectorILb0EfEEZNS1_24adjacent_difference_implIS3_Lb0ELb0EPfS7_N6thrust23THRUST_200600_302600_NS4plusIfEEEE10hipError_tPvRmT2_T3_mT4_P12ihipStream_tbEUlT_E_NS1_11comp_targetILNS1_3genE3ELNS1_11target_archE908ELNS1_3gpuE7ELNS1_3repE0EEENS1_30default_config_static_selectorELNS0_4arch9wavefront6targetE1EEEvT1_,comdat
	.protected	_ZN7rocprim17ROCPRIM_400000_NS6detail17trampoline_kernelINS0_14default_configENS1_35adjacent_difference_config_selectorILb0EfEEZNS1_24adjacent_difference_implIS3_Lb0ELb0EPfS7_N6thrust23THRUST_200600_302600_NS4plusIfEEEE10hipError_tPvRmT2_T3_mT4_P12ihipStream_tbEUlT_E_NS1_11comp_targetILNS1_3genE3ELNS1_11target_archE908ELNS1_3gpuE7ELNS1_3repE0EEENS1_30default_config_static_selectorELNS0_4arch9wavefront6targetE1EEEvT1_ ; -- Begin function _ZN7rocprim17ROCPRIM_400000_NS6detail17trampoline_kernelINS0_14default_configENS1_35adjacent_difference_config_selectorILb0EfEEZNS1_24adjacent_difference_implIS3_Lb0ELb0EPfS7_N6thrust23THRUST_200600_302600_NS4plusIfEEEE10hipError_tPvRmT2_T3_mT4_P12ihipStream_tbEUlT_E_NS1_11comp_targetILNS1_3genE3ELNS1_11target_archE908ELNS1_3gpuE7ELNS1_3repE0EEENS1_30default_config_static_selectorELNS0_4arch9wavefront6targetE1EEEvT1_
	.globl	_ZN7rocprim17ROCPRIM_400000_NS6detail17trampoline_kernelINS0_14default_configENS1_35adjacent_difference_config_selectorILb0EfEEZNS1_24adjacent_difference_implIS3_Lb0ELb0EPfS7_N6thrust23THRUST_200600_302600_NS4plusIfEEEE10hipError_tPvRmT2_T3_mT4_P12ihipStream_tbEUlT_E_NS1_11comp_targetILNS1_3genE3ELNS1_11target_archE908ELNS1_3gpuE7ELNS1_3repE0EEENS1_30default_config_static_selectorELNS0_4arch9wavefront6targetE1EEEvT1_
	.p2align	8
	.type	_ZN7rocprim17ROCPRIM_400000_NS6detail17trampoline_kernelINS0_14default_configENS1_35adjacent_difference_config_selectorILb0EfEEZNS1_24adjacent_difference_implIS3_Lb0ELb0EPfS7_N6thrust23THRUST_200600_302600_NS4plusIfEEEE10hipError_tPvRmT2_T3_mT4_P12ihipStream_tbEUlT_E_NS1_11comp_targetILNS1_3genE3ELNS1_11target_archE908ELNS1_3gpuE7ELNS1_3repE0EEENS1_30default_config_static_selectorELNS0_4arch9wavefront6targetE1EEEvT1_,@function
_ZN7rocprim17ROCPRIM_400000_NS6detail17trampoline_kernelINS0_14default_configENS1_35adjacent_difference_config_selectorILb0EfEEZNS1_24adjacent_difference_implIS3_Lb0ELb0EPfS7_N6thrust23THRUST_200600_302600_NS4plusIfEEEE10hipError_tPvRmT2_T3_mT4_P12ihipStream_tbEUlT_E_NS1_11comp_targetILNS1_3genE3ELNS1_11target_archE908ELNS1_3gpuE7ELNS1_3repE0EEENS1_30default_config_static_selectorELNS0_4arch9wavefront6targetE1EEEvT1_: ; @_ZN7rocprim17ROCPRIM_400000_NS6detail17trampoline_kernelINS0_14default_configENS1_35adjacent_difference_config_selectorILb0EfEEZNS1_24adjacent_difference_implIS3_Lb0ELb0EPfS7_N6thrust23THRUST_200600_302600_NS4plusIfEEEE10hipError_tPvRmT2_T3_mT4_P12ihipStream_tbEUlT_E_NS1_11comp_targetILNS1_3genE3ELNS1_11target_archE908ELNS1_3gpuE7ELNS1_3repE0EEENS1_30default_config_static_selectorELNS0_4arch9wavefront6targetE1EEEvT1_
; %bb.0:
	.section	.rodata,"a",@progbits
	.p2align	6, 0x0
	.amdhsa_kernel _ZN7rocprim17ROCPRIM_400000_NS6detail17trampoline_kernelINS0_14default_configENS1_35adjacent_difference_config_selectorILb0EfEEZNS1_24adjacent_difference_implIS3_Lb0ELb0EPfS7_N6thrust23THRUST_200600_302600_NS4plusIfEEEE10hipError_tPvRmT2_T3_mT4_P12ihipStream_tbEUlT_E_NS1_11comp_targetILNS1_3genE3ELNS1_11target_archE908ELNS1_3gpuE7ELNS1_3repE0EEENS1_30default_config_static_selectorELNS0_4arch9wavefront6targetE1EEEvT1_
		.amdhsa_group_segment_fixed_size 0
		.amdhsa_private_segment_fixed_size 0
		.amdhsa_kernarg_size 56
		.amdhsa_user_sgpr_count 6
		.amdhsa_user_sgpr_private_segment_buffer 1
		.amdhsa_user_sgpr_dispatch_ptr 0
		.amdhsa_user_sgpr_queue_ptr 0
		.amdhsa_user_sgpr_kernarg_segment_ptr 1
		.amdhsa_user_sgpr_dispatch_id 0
		.amdhsa_user_sgpr_flat_scratch_init 0
		.amdhsa_user_sgpr_kernarg_preload_length 0
		.amdhsa_user_sgpr_kernarg_preload_offset 0
		.amdhsa_user_sgpr_private_segment_size 0
		.amdhsa_uses_dynamic_stack 0
		.amdhsa_system_sgpr_private_segment_wavefront_offset 0
		.amdhsa_system_sgpr_workgroup_id_x 1
		.amdhsa_system_sgpr_workgroup_id_y 0
		.amdhsa_system_sgpr_workgroup_id_z 0
		.amdhsa_system_sgpr_workgroup_info 0
		.amdhsa_system_vgpr_workitem_id 0
		.amdhsa_next_free_vgpr 1
		.amdhsa_next_free_sgpr 0
		.amdhsa_accum_offset 4
		.amdhsa_reserve_vcc 0
		.amdhsa_reserve_flat_scratch 0
		.amdhsa_float_round_mode_32 0
		.amdhsa_float_round_mode_16_64 0
		.amdhsa_float_denorm_mode_32 3
		.amdhsa_float_denorm_mode_16_64 3
		.amdhsa_dx10_clamp 1
		.amdhsa_ieee_mode 1
		.amdhsa_fp16_overflow 0
		.amdhsa_tg_split 0
		.amdhsa_exception_fp_ieee_invalid_op 0
		.amdhsa_exception_fp_denorm_src 0
		.amdhsa_exception_fp_ieee_div_zero 0
		.amdhsa_exception_fp_ieee_overflow 0
		.amdhsa_exception_fp_ieee_underflow 0
		.amdhsa_exception_fp_ieee_inexact 0
		.amdhsa_exception_int_div_zero 0
	.end_amdhsa_kernel
	.section	.text._ZN7rocprim17ROCPRIM_400000_NS6detail17trampoline_kernelINS0_14default_configENS1_35adjacent_difference_config_selectorILb0EfEEZNS1_24adjacent_difference_implIS3_Lb0ELb0EPfS7_N6thrust23THRUST_200600_302600_NS4plusIfEEEE10hipError_tPvRmT2_T3_mT4_P12ihipStream_tbEUlT_E_NS1_11comp_targetILNS1_3genE3ELNS1_11target_archE908ELNS1_3gpuE7ELNS1_3repE0EEENS1_30default_config_static_selectorELNS0_4arch9wavefront6targetE1EEEvT1_,"axG",@progbits,_ZN7rocprim17ROCPRIM_400000_NS6detail17trampoline_kernelINS0_14default_configENS1_35adjacent_difference_config_selectorILb0EfEEZNS1_24adjacent_difference_implIS3_Lb0ELb0EPfS7_N6thrust23THRUST_200600_302600_NS4plusIfEEEE10hipError_tPvRmT2_T3_mT4_P12ihipStream_tbEUlT_E_NS1_11comp_targetILNS1_3genE3ELNS1_11target_archE908ELNS1_3gpuE7ELNS1_3repE0EEENS1_30default_config_static_selectorELNS0_4arch9wavefront6targetE1EEEvT1_,comdat
.Lfunc_end182:
	.size	_ZN7rocprim17ROCPRIM_400000_NS6detail17trampoline_kernelINS0_14default_configENS1_35adjacent_difference_config_selectorILb0EfEEZNS1_24adjacent_difference_implIS3_Lb0ELb0EPfS7_N6thrust23THRUST_200600_302600_NS4plusIfEEEE10hipError_tPvRmT2_T3_mT4_P12ihipStream_tbEUlT_E_NS1_11comp_targetILNS1_3genE3ELNS1_11target_archE908ELNS1_3gpuE7ELNS1_3repE0EEENS1_30default_config_static_selectorELNS0_4arch9wavefront6targetE1EEEvT1_, .Lfunc_end182-_ZN7rocprim17ROCPRIM_400000_NS6detail17trampoline_kernelINS0_14default_configENS1_35adjacent_difference_config_selectorILb0EfEEZNS1_24adjacent_difference_implIS3_Lb0ELb0EPfS7_N6thrust23THRUST_200600_302600_NS4plusIfEEEE10hipError_tPvRmT2_T3_mT4_P12ihipStream_tbEUlT_E_NS1_11comp_targetILNS1_3genE3ELNS1_11target_archE908ELNS1_3gpuE7ELNS1_3repE0EEENS1_30default_config_static_selectorELNS0_4arch9wavefront6targetE1EEEvT1_
                                        ; -- End function
	.section	.AMDGPU.csdata,"",@progbits
; Kernel info:
; codeLenInByte = 0
; NumSgprs: 4
; NumVgprs: 0
; NumAgprs: 0
; TotalNumVgprs: 0
; ScratchSize: 0
; MemoryBound: 0
; FloatMode: 240
; IeeeMode: 1
; LDSByteSize: 0 bytes/workgroup (compile time only)
; SGPRBlocks: 0
; VGPRBlocks: 0
; NumSGPRsForWavesPerEU: 4
; NumVGPRsForWavesPerEU: 1
; AccumOffset: 4
; Occupancy: 8
; WaveLimiterHint : 0
; COMPUTE_PGM_RSRC2:SCRATCH_EN: 0
; COMPUTE_PGM_RSRC2:USER_SGPR: 6
; COMPUTE_PGM_RSRC2:TRAP_HANDLER: 0
; COMPUTE_PGM_RSRC2:TGID_X_EN: 1
; COMPUTE_PGM_RSRC2:TGID_Y_EN: 0
; COMPUTE_PGM_RSRC2:TGID_Z_EN: 0
; COMPUTE_PGM_RSRC2:TIDIG_COMP_CNT: 0
; COMPUTE_PGM_RSRC3_GFX90A:ACCUM_OFFSET: 0
; COMPUTE_PGM_RSRC3_GFX90A:TG_SPLIT: 0
	.section	.text._ZN7rocprim17ROCPRIM_400000_NS6detail17trampoline_kernelINS0_14default_configENS1_35adjacent_difference_config_selectorILb0EfEEZNS1_24adjacent_difference_implIS3_Lb0ELb0EPfS7_N6thrust23THRUST_200600_302600_NS4plusIfEEEE10hipError_tPvRmT2_T3_mT4_P12ihipStream_tbEUlT_E_NS1_11comp_targetILNS1_3genE2ELNS1_11target_archE906ELNS1_3gpuE6ELNS1_3repE0EEENS1_30default_config_static_selectorELNS0_4arch9wavefront6targetE1EEEvT1_,"axG",@progbits,_ZN7rocprim17ROCPRIM_400000_NS6detail17trampoline_kernelINS0_14default_configENS1_35adjacent_difference_config_selectorILb0EfEEZNS1_24adjacent_difference_implIS3_Lb0ELb0EPfS7_N6thrust23THRUST_200600_302600_NS4plusIfEEEE10hipError_tPvRmT2_T3_mT4_P12ihipStream_tbEUlT_E_NS1_11comp_targetILNS1_3genE2ELNS1_11target_archE906ELNS1_3gpuE6ELNS1_3repE0EEENS1_30default_config_static_selectorELNS0_4arch9wavefront6targetE1EEEvT1_,comdat
	.protected	_ZN7rocprim17ROCPRIM_400000_NS6detail17trampoline_kernelINS0_14default_configENS1_35adjacent_difference_config_selectorILb0EfEEZNS1_24adjacent_difference_implIS3_Lb0ELb0EPfS7_N6thrust23THRUST_200600_302600_NS4plusIfEEEE10hipError_tPvRmT2_T3_mT4_P12ihipStream_tbEUlT_E_NS1_11comp_targetILNS1_3genE2ELNS1_11target_archE906ELNS1_3gpuE6ELNS1_3repE0EEENS1_30default_config_static_selectorELNS0_4arch9wavefront6targetE1EEEvT1_ ; -- Begin function _ZN7rocprim17ROCPRIM_400000_NS6detail17trampoline_kernelINS0_14default_configENS1_35adjacent_difference_config_selectorILb0EfEEZNS1_24adjacent_difference_implIS3_Lb0ELb0EPfS7_N6thrust23THRUST_200600_302600_NS4plusIfEEEE10hipError_tPvRmT2_T3_mT4_P12ihipStream_tbEUlT_E_NS1_11comp_targetILNS1_3genE2ELNS1_11target_archE906ELNS1_3gpuE6ELNS1_3repE0EEENS1_30default_config_static_selectorELNS0_4arch9wavefront6targetE1EEEvT1_
	.globl	_ZN7rocprim17ROCPRIM_400000_NS6detail17trampoline_kernelINS0_14default_configENS1_35adjacent_difference_config_selectorILb0EfEEZNS1_24adjacent_difference_implIS3_Lb0ELb0EPfS7_N6thrust23THRUST_200600_302600_NS4plusIfEEEE10hipError_tPvRmT2_T3_mT4_P12ihipStream_tbEUlT_E_NS1_11comp_targetILNS1_3genE2ELNS1_11target_archE906ELNS1_3gpuE6ELNS1_3repE0EEENS1_30default_config_static_selectorELNS0_4arch9wavefront6targetE1EEEvT1_
	.p2align	8
	.type	_ZN7rocprim17ROCPRIM_400000_NS6detail17trampoline_kernelINS0_14default_configENS1_35adjacent_difference_config_selectorILb0EfEEZNS1_24adjacent_difference_implIS3_Lb0ELb0EPfS7_N6thrust23THRUST_200600_302600_NS4plusIfEEEE10hipError_tPvRmT2_T3_mT4_P12ihipStream_tbEUlT_E_NS1_11comp_targetILNS1_3genE2ELNS1_11target_archE906ELNS1_3gpuE6ELNS1_3repE0EEENS1_30default_config_static_selectorELNS0_4arch9wavefront6targetE1EEEvT1_,@function
_ZN7rocprim17ROCPRIM_400000_NS6detail17trampoline_kernelINS0_14default_configENS1_35adjacent_difference_config_selectorILb0EfEEZNS1_24adjacent_difference_implIS3_Lb0ELb0EPfS7_N6thrust23THRUST_200600_302600_NS4plusIfEEEE10hipError_tPvRmT2_T3_mT4_P12ihipStream_tbEUlT_E_NS1_11comp_targetILNS1_3genE2ELNS1_11target_archE906ELNS1_3gpuE6ELNS1_3repE0EEENS1_30default_config_static_selectorELNS0_4arch9wavefront6targetE1EEEvT1_: ; @_ZN7rocprim17ROCPRIM_400000_NS6detail17trampoline_kernelINS0_14default_configENS1_35adjacent_difference_config_selectorILb0EfEEZNS1_24adjacent_difference_implIS3_Lb0ELb0EPfS7_N6thrust23THRUST_200600_302600_NS4plusIfEEEE10hipError_tPvRmT2_T3_mT4_P12ihipStream_tbEUlT_E_NS1_11comp_targetILNS1_3genE2ELNS1_11target_archE906ELNS1_3gpuE6ELNS1_3repE0EEENS1_30default_config_static_selectorELNS0_4arch9wavefront6targetE1EEEvT1_
; %bb.0:
	.section	.rodata,"a",@progbits
	.p2align	6, 0x0
	.amdhsa_kernel _ZN7rocprim17ROCPRIM_400000_NS6detail17trampoline_kernelINS0_14default_configENS1_35adjacent_difference_config_selectorILb0EfEEZNS1_24adjacent_difference_implIS3_Lb0ELb0EPfS7_N6thrust23THRUST_200600_302600_NS4plusIfEEEE10hipError_tPvRmT2_T3_mT4_P12ihipStream_tbEUlT_E_NS1_11comp_targetILNS1_3genE2ELNS1_11target_archE906ELNS1_3gpuE6ELNS1_3repE0EEENS1_30default_config_static_selectorELNS0_4arch9wavefront6targetE1EEEvT1_
		.amdhsa_group_segment_fixed_size 0
		.amdhsa_private_segment_fixed_size 0
		.amdhsa_kernarg_size 56
		.amdhsa_user_sgpr_count 6
		.amdhsa_user_sgpr_private_segment_buffer 1
		.amdhsa_user_sgpr_dispatch_ptr 0
		.amdhsa_user_sgpr_queue_ptr 0
		.amdhsa_user_sgpr_kernarg_segment_ptr 1
		.amdhsa_user_sgpr_dispatch_id 0
		.amdhsa_user_sgpr_flat_scratch_init 0
		.amdhsa_user_sgpr_kernarg_preload_length 0
		.amdhsa_user_sgpr_kernarg_preload_offset 0
		.amdhsa_user_sgpr_private_segment_size 0
		.amdhsa_uses_dynamic_stack 0
		.amdhsa_system_sgpr_private_segment_wavefront_offset 0
		.amdhsa_system_sgpr_workgroup_id_x 1
		.amdhsa_system_sgpr_workgroup_id_y 0
		.amdhsa_system_sgpr_workgroup_id_z 0
		.amdhsa_system_sgpr_workgroup_info 0
		.amdhsa_system_vgpr_workitem_id 0
		.amdhsa_next_free_vgpr 1
		.amdhsa_next_free_sgpr 0
		.amdhsa_accum_offset 4
		.amdhsa_reserve_vcc 0
		.amdhsa_reserve_flat_scratch 0
		.amdhsa_float_round_mode_32 0
		.amdhsa_float_round_mode_16_64 0
		.amdhsa_float_denorm_mode_32 3
		.amdhsa_float_denorm_mode_16_64 3
		.amdhsa_dx10_clamp 1
		.amdhsa_ieee_mode 1
		.amdhsa_fp16_overflow 0
		.amdhsa_tg_split 0
		.amdhsa_exception_fp_ieee_invalid_op 0
		.amdhsa_exception_fp_denorm_src 0
		.amdhsa_exception_fp_ieee_div_zero 0
		.amdhsa_exception_fp_ieee_overflow 0
		.amdhsa_exception_fp_ieee_underflow 0
		.amdhsa_exception_fp_ieee_inexact 0
		.amdhsa_exception_int_div_zero 0
	.end_amdhsa_kernel
	.section	.text._ZN7rocprim17ROCPRIM_400000_NS6detail17trampoline_kernelINS0_14default_configENS1_35adjacent_difference_config_selectorILb0EfEEZNS1_24adjacent_difference_implIS3_Lb0ELb0EPfS7_N6thrust23THRUST_200600_302600_NS4plusIfEEEE10hipError_tPvRmT2_T3_mT4_P12ihipStream_tbEUlT_E_NS1_11comp_targetILNS1_3genE2ELNS1_11target_archE906ELNS1_3gpuE6ELNS1_3repE0EEENS1_30default_config_static_selectorELNS0_4arch9wavefront6targetE1EEEvT1_,"axG",@progbits,_ZN7rocprim17ROCPRIM_400000_NS6detail17trampoline_kernelINS0_14default_configENS1_35adjacent_difference_config_selectorILb0EfEEZNS1_24adjacent_difference_implIS3_Lb0ELb0EPfS7_N6thrust23THRUST_200600_302600_NS4plusIfEEEE10hipError_tPvRmT2_T3_mT4_P12ihipStream_tbEUlT_E_NS1_11comp_targetILNS1_3genE2ELNS1_11target_archE906ELNS1_3gpuE6ELNS1_3repE0EEENS1_30default_config_static_selectorELNS0_4arch9wavefront6targetE1EEEvT1_,comdat
.Lfunc_end183:
	.size	_ZN7rocprim17ROCPRIM_400000_NS6detail17trampoline_kernelINS0_14default_configENS1_35adjacent_difference_config_selectorILb0EfEEZNS1_24adjacent_difference_implIS3_Lb0ELb0EPfS7_N6thrust23THRUST_200600_302600_NS4plusIfEEEE10hipError_tPvRmT2_T3_mT4_P12ihipStream_tbEUlT_E_NS1_11comp_targetILNS1_3genE2ELNS1_11target_archE906ELNS1_3gpuE6ELNS1_3repE0EEENS1_30default_config_static_selectorELNS0_4arch9wavefront6targetE1EEEvT1_, .Lfunc_end183-_ZN7rocprim17ROCPRIM_400000_NS6detail17trampoline_kernelINS0_14default_configENS1_35adjacent_difference_config_selectorILb0EfEEZNS1_24adjacent_difference_implIS3_Lb0ELb0EPfS7_N6thrust23THRUST_200600_302600_NS4plusIfEEEE10hipError_tPvRmT2_T3_mT4_P12ihipStream_tbEUlT_E_NS1_11comp_targetILNS1_3genE2ELNS1_11target_archE906ELNS1_3gpuE6ELNS1_3repE0EEENS1_30default_config_static_selectorELNS0_4arch9wavefront6targetE1EEEvT1_
                                        ; -- End function
	.section	.AMDGPU.csdata,"",@progbits
; Kernel info:
; codeLenInByte = 0
; NumSgprs: 4
; NumVgprs: 0
; NumAgprs: 0
; TotalNumVgprs: 0
; ScratchSize: 0
; MemoryBound: 0
; FloatMode: 240
; IeeeMode: 1
; LDSByteSize: 0 bytes/workgroup (compile time only)
; SGPRBlocks: 0
; VGPRBlocks: 0
; NumSGPRsForWavesPerEU: 4
; NumVGPRsForWavesPerEU: 1
; AccumOffset: 4
; Occupancy: 8
; WaveLimiterHint : 0
; COMPUTE_PGM_RSRC2:SCRATCH_EN: 0
; COMPUTE_PGM_RSRC2:USER_SGPR: 6
; COMPUTE_PGM_RSRC2:TRAP_HANDLER: 0
; COMPUTE_PGM_RSRC2:TGID_X_EN: 1
; COMPUTE_PGM_RSRC2:TGID_Y_EN: 0
; COMPUTE_PGM_RSRC2:TGID_Z_EN: 0
; COMPUTE_PGM_RSRC2:TIDIG_COMP_CNT: 0
; COMPUTE_PGM_RSRC3_GFX90A:ACCUM_OFFSET: 0
; COMPUTE_PGM_RSRC3_GFX90A:TG_SPLIT: 0
	.section	.text._ZN7rocprim17ROCPRIM_400000_NS6detail17trampoline_kernelINS0_14default_configENS1_35adjacent_difference_config_selectorILb0EfEEZNS1_24adjacent_difference_implIS3_Lb0ELb0EPfS7_N6thrust23THRUST_200600_302600_NS4plusIfEEEE10hipError_tPvRmT2_T3_mT4_P12ihipStream_tbEUlT_E_NS1_11comp_targetILNS1_3genE9ELNS1_11target_archE1100ELNS1_3gpuE3ELNS1_3repE0EEENS1_30default_config_static_selectorELNS0_4arch9wavefront6targetE1EEEvT1_,"axG",@progbits,_ZN7rocprim17ROCPRIM_400000_NS6detail17trampoline_kernelINS0_14default_configENS1_35adjacent_difference_config_selectorILb0EfEEZNS1_24adjacent_difference_implIS3_Lb0ELb0EPfS7_N6thrust23THRUST_200600_302600_NS4plusIfEEEE10hipError_tPvRmT2_T3_mT4_P12ihipStream_tbEUlT_E_NS1_11comp_targetILNS1_3genE9ELNS1_11target_archE1100ELNS1_3gpuE3ELNS1_3repE0EEENS1_30default_config_static_selectorELNS0_4arch9wavefront6targetE1EEEvT1_,comdat
	.protected	_ZN7rocprim17ROCPRIM_400000_NS6detail17trampoline_kernelINS0_14default_configENS1_35adjacent_difference_config_selectorILb0EfEEZNS1_24adjacent_difference_implIS3_Lb0ELb0EPfS7_N6thrust23THRUST_200600_302600_NS4plusIfEEEE10hipError_tPvRmT2_T3_mT4_P12ihipStream_tbEUlT_E_NS1_11comp_targetILNS1_3genE9ELNS1_11target_archE1100ELNS1_3gpuE3ELNS1_3repE0EEENS1_30default_config_static_selectorELNS0_4arch9wavefront6targetE1EEEvT1_ ; -- Begin function _ZN7rocprim17ROCPRIM_400000_NS6detail17trampoline_kernelINS0_14default_configENS1_35adjacent_difference_config_selectorILb0EfEEZNS1_24adjacent_difference_implIS3_Lb0ELb0EPfS7_N6thrust23THRUST_200600_302600_NS4plusIfEEEE10hipError_tPvRmT2_T3_mT4_P12ihipStream_tbEUlT_E_NS1_11comp_targetILNS1_3genE9ELNS1_11target_archE1100ELNS1_3gpuE3ELNS1_3repE0EEENS1_30default_config_static_selectorELNS0_4arch9wavefront6targetE1EEEvT1_
	.globl	_ZN7rocprim17ROCPRIM_400000_NS6detail17trampoline_kernelINS0_14default_configENS1_35adjacent_difference_config_selectorILb0EfEEZNS1_24adjacent_difference_implIS3_Lb0ELb0EPfS7_N6thrust23THRUST_200600_302600_NS4plusIfEEEE10hipError_tPvRmT2_T3_mT4_P12ihipStream_tbEUlT_E_NS1_11comp_targetILNS1_3genE9ELNS1_11target_archE1100ELNS1_3gpuE3ELNS1_3repE0EEENS1_30default_config_static_selectorELNS0_4arch9wavefront6targetE1EEEvT1_
	.p2align	8
	.type	_ZN7rocprim17ROCPRIM_400000_NS6detail17trampoline_kernelINS0_14default_configENS1_35adjacent_difference_config_selectorILb0EfEEZNS1_24adjacent_difference_implIS3_Lb0ELb0EPfS7_N6thrust23THRUST_200600_302600_NS4plusIfEEEE10hipError_tPvRmT2_T3_mT4_P12ihipStream_tbEUlT_E_NS1_11comp_targetILNS1_3genE9ELNS1_11target_archE1100ELNS1_3gpuE3ELNS1_3repE0EEENS1_30default_config_static_selectorELNS0_4arch9wavefront6targetE1EEEvT1_,@function
_ZN7rocprim17ROCPRIM_400000_NS6detail17trampoline_kernelINS0_14default_configENS1_35adjacent_difference_config_selectorILb0EfEEZNS1_24adjacent_difference_implIS3_Lb0ELb0EPfS7_N6thrust23THRUST_200600_302600_NS4plusIfEEEE10hipError_tPvRmT2_T3_mT4_P12ihipStream_tbEUlT_E_NS1_11comp_targetILNS1_3genE9ELNS1_11target_archE1100ELNS1_3gpuE3ELNS1_3repE0EEENS1_30default_config_static_selectorELNS0_4arch9wavefront6targetE1EEEvT1_: ; @_ZN7rocprim17ROCPRIM_400000_NS6detail17trampoline_kernelINS0_14default_configENS1_35adjacent_difference_config_selectorILb0EfEEZNS1_24adjacent_difference_implIS3_Lb0ELb0EPfS7_N6thrust23THRUST_200600_302600_NS4plusIfEEEE10hipError_tPvRmT2_T3_mT4_P12ihipStream_tbEUlT_E_NS1_11comp_targetILNS1_3genE9ELNS1_11target_archE1100ELNS1_3gpuE3ELNS1_3repE0EEENS1_30default_config_static_selectorELNS0_4arch9wavefront6targetE1EEEvT1_
; %bb.0:
	.section	.rodata,"a",@progbits
	.p2align	6, 0x0
	.amdhsa_kernel _ZN7rocprim17ROCPRIM_400000_NS6detail17trampoline_kernelINS0_14default_configENS1_35adjacent_difference_config_selectorILb0EfEEZNS1_24adjacent_difference_implIS3_Lb0ELb0EPfS7_N6thrust23THRUST_200600_302600_NS4plusIfEEEE10hipError_tPvRmT2_T3_mT4_P12ihipStream_tbEUlT_E_NS1_11comp_targetILNS1_3genE9ELNS1_11target_archE1100ELNS1_3gpuE3ELNS1_3repE0EEENS1_30default_config_static_selectorELNS0_4arch9wavefront6targetE1EEEvT1_
		.amdhsa_group_segment_fixed_size 0
		.amdhsa_private_segment_fixed_size 0
		.amdhsa_kernarg_size 56
		.amdhsa_user_sgpr_count 6
		.amdhsa_user_sgpr_private_segment_buffer 1
		.amdhsa_user_sgpr_dispatch_ptr 0
		.amdhsa_user_sgpr_queue_ptr 0
		.amdhsa_user_sgpr_kernarg_segment_ptr 1
		.amdhsa_user_sgpr_dispatch_id 0
		.amdhsa_user_sgpr_flat_scratch_init 0
		.amdhsa_user_sgpr_kernarg_preload_length 0
		.amdhsa_user_sgpr_kernarg_preload_offset 0
		.amdhsa_user_sgpr_private_segment_size 0
		.amdhsa_uses_dynamic_stack 0
		.amdhsa_system_sgpr_private_segment_wavefront_offset 0
		.amdhsa_system_sgpr_workgroup_id_x 1
		.amdhsa_system_sgpr_workgroup_id_y 0
		.amdhsa_system_sgpr_workgroup_id_z 0
		.amdhsa_system_sgpr_workgroup_info 0
		.amdhsa_system_vgpr_workitem_id 0
		.amdhsa_next_free_vgpr 1
		.amdhsa_next_free_sgpr 0
		.amdhsa_accum_offset 4
		.amdhsa_reserve_vcc 0
		.amdhsa_reserve_flat_scratch 0
		.amdhsa_float_round_mode_32 0
		.amdhsa_float_round_mode_16_64 0
		.amdhsa_float_denorm_mode_32 3
		.amdhsa_float_denorm_mode_16_64 3
		.amdhsa_dx10_clamp 1
		.amdhsa_ieee_mode 1
		.amdhsa_fp16_overflow 0
		.amdhsa_tg_split 0
		.amdhsa_exception_fp_ieee_invalid_op 0
		.amdhsa_exception_fp_denorm_src 0
		.amdhsa_exception_fp_ieee_div_zero 0
		.amdhsa_exception_fp_ieee_overflow 0
		.amdhsa_exception_fp_ieee_underflow 0
		.amdhsa_exception_fp_ieee_inexact 0
		.amdhsa_exception_int_div_zero 0
	.end_amdhsa_kernel
	.section	.text._ZN7rocprim17ROCPRIM_400000_NS6detail17trampoline_kernelINS0_14default_configENS1_35adjacent_difference_config_selectorILb0EfEEZNS1_24adjacent_difference_implIS3_Lb0ELb0EPfS7_N6thrust23THRUST_200600_302600_NS4plusIfEEEE10hipError_tPvRmT2_T3_mT4_P12ihipStream_tbEUlT_E_NS1_11comp_targetILNS1_3genE9ELNS1_11target_archE1100ELNS1_3gpuE3ELNS1_3repE0EEENS1_30default_config_static_selectorELNS0_4arch9wavefront6targetE1EEEvT1_,"axG",@progbits,_ZN7rocprim17ROCPRIM_400000_NS6detail17trampoline_kernelINS0_14default_configENS1_35adjacent_difference_config_selectorILb0EfEEZNS1_24adjacent_difference_implIS3_Lb0ELb0EPfS7_N6thrust23THRUST_200600_302600_NS4plusIfEEEE10hipError_tPvRmT2_T3_mT4_P12ihipStream_tbEUlT_E_NS1_11comp_targetILNS1_3genE9ELNS1_11target_archE1100ELNS1_3gpuE3ELNS1_3repE0EEENS1_30default_config_static_selectorELNS0_4arch9wavefront6targetE1EEEvT1_,comdat
.Lfunc_end184:
	.size	_ZN7rocprim17ROCPRIM_400000_NS6detail17trampoline_kernelINS0_14default_configENS1_35adjacent_difference_config_selectorILb0EfEEZNS1_24adjacent_difference_implIS3_Lb0ELb0EPfS7_N6thrust23THRUST_200600_302600_NS4plusIfEEEE10hipError_tPvRmT2_T3_mT4_P12ihipStream_tbEUlT_E_NS1_11comp_targetILNS1_3genE9ELNS1_11target_archE1100ELNS1_3gpuE3ELNS1_3repE0EEENS1_30default_config_static_selectorELNS0_4arch9wavefront6targetE1EEEvT1_, .Lfunc_end184-_ZN7rocprim17ROCPRIM_400000_NS6detail17trampoline_kernelINS0_14default_configENS1_35adjacent_difference_config_selectorILb0EfEEZNS1_24adjacent_difference_implIS3_Lb0ELb0EPfS7_N6thrust23THRUST_200600_302600_NS4plusIfEEEE10hipError_tPvRmT2_T3_mT4_P12ihipStream_tbEUlT_E_NS1_11comp_targetILNS1_3genE9ELNS1_11target_archE1100ELNS1_3gpuE3ELNS1_3repE0EEENS1_30default_config_static_selectorELNS0_4arch9wavefront6targetE1EEEvT1_
                                        ; -- End function
	.section	.AMDGPU.csdata,"",@progbits
; Kernel info:
; codeLenInByte = 0
; NumSgprs: 4
; NumVgprs: 0
; NumAgprs: 0
; TotalNumVgprs: 0
; ScratchSize: 0
; MemoryBound: 0
; FloatMode: 240
; IeeeMode: 1
; LDSByteSize: 0 bytes/workgroup (compile time only)
; SGPRBlocks: 0
; VGPRBlocks: 0
; NumSGPRsForWavesPerEU: 4
; NumVGPRsForWavesPerEU: 1
; AccumOffset: 4
; Occupancy: 8
; WaveLimiterHint : 0
; COMPUTE_PGM_RSRC2:SCRATCH_EN: 0
; COMPUTE_PGM_RSRC2:USER_SGPR: 6
; COMPUTE_PGM_RSRC2:TRAP_HANDLER: 0
; COMPUTE_PGM_RSRC2:TGID_X_EN: 1
; COMPUTE_PGM_RSRC2:TGID_Y_EN: 0
; COMPUTE_PGM_RSRC2:TGID_Z_EN: 0
; COMPUTE_PGM_RSRC2:TIDIG_COMP_CNT: 0
; COMPUTE_PGM_RSRC3_GFX90A:ACCUM_OFFSET: 0
; COMPUTE_PGM_RSRC3_GFX90A:TG_SPLIT: 0
	.section	.text._ZN7rocprim17ROCPRIM_400000_NS6detail17trampoline_kernelINS0_14default_configENS1_35adjacent_difference_config_selectorILb0EfEEZNS1_24adjacent_difference_implIS3_Lb0ELb0EPfS7_N6thrust23THRUST_200600_302600_NS4plusIfEEEE10hipError_tPvRmT2_T3_mT4_P12ihipStream_tbEUlT_E_NS1_11comp_targetILNS1_3genE8ELNS1_11target_archE1030ELNS1_3gpuE2ELNS1_3repE0EEENS1_30default_config_static_selectorELNS0_4arch9wavefront6targetE1EEEvT1_,"axG",@progbits,_ZN7rocprim17ROCPRIM_400000_NS6detail17trampoline_kernelINS0_14default_configENS1_35adjacent_difference_config_selectorILb0EfEEZNS1_24adjacent_difference_implIS3_Lb0ELb0EPfS7_N6thrust23THRUST_200600_302600_NS4plusIfEEEE10hipError_tPvRmT2_T3_mT4_P12ihipStream_tbEUlT_E_NS1_11comp_targetILNS1_3genE8ELNS1_11target_archE1030ELNS1_3gpuE2ELNS1_3repE0EEENS1_30default_config_static_selectorELNS0_4arch9wavefront6targetE1EEEvT1_,comdat
	.protected	_ZN7rocprim17ROCPRIM_400000_NS6detail17trampoline_kernelINS0_14default_configENS1_35adjacent_difference_config_selectorILb0EfEEZNS1_24adjacent_difference_implIS3_Lb0ELb0EPfS7_N6thrust23THRUST_200600_302600_NS4plusIfEEEE10hipError_tPvRmT2_T3_mT4_P12ihipStream_tbEUlT_E_NS1_11comp_targetILNS1_3genE8ELNS1_11target_archE1030ELNS1_3gpuE2ELNS1_3repE0EEENS1_30default_config_static_selectorELNS0_4arch9wavefront6targetE1EEEvT1_ ; -- Begin function _ZN7rocprim17ROCPRIM_400000_NS6detail17trampoline_kernelINS0_14default_configENS1_35adjacent_difference_config_selectorILb0EfEEZNS1_24adjacent_difference_implIS3_Lb0ELb0EPfS7_N6thrust23THRUST_200600_302600_NS4plusIfEEEE10hipError_tPvRmT2_T3_mT4_P12ihipStream_tbEUlT_E_NS1_11comp_targetILNS1_3genE8ELNS1_11target_archE1030ELNS1_3gpuE2ELNS1_3repE0EEENS1_30default_config_static_selectorELNS0_4arch9wavefront6targetE1EEEvT1_
	.globl	_ZN7rocprim17ROCPRIM_400000_NS6detail17trampoline_kernelINS0_14default_configENS1_35adjacent_difference_config_selectorILb0EfEEZNS1_24adjacent_difference_implIS3_Lb0ELb0EPfS7_N6thrust23THRUST_200600_302600_NS4plusIfEEEE10hipError_tPvRmT2_T3_mT4_P12ihipStream_tbEUlT_E_NS1_11comp_targetILNS1_3genE8ELNS1_11target_archE1030ELNS1_3gpuE2ELNS1_3repE0EEENS1_30default_config_static_selectorELNS0_4arch9wavefront6targetE1EEEvT1_
	.p2align	8
	.type	_ZN7rocprim17ROCPRIM_400000_NS6detail17trampoline_kernelINS0_14default_configENS1_35adjacent_difference_config_selectorILb0EfEEZNS1_24adjacent_difference_implIS3_Lb0ELb0EPfS7_N6thrust23THRUST_200600_302600_NS4plusIfEEEE10hipError_tPvRmT2_T3_mT4_P12ihipStream_tbEUlT_E_NS1_11comp_targetILNS1_3genE8ELNS1_11target_archE1030ELNS1_3gpuE2ELNS1_3repE0EEENS1_30default_config_static_selectorELNS0_4arch9wavefront6targetE1EEEvT1_,@function
_ZN7rocprim17ROCPRIM_400000_NS6detail17trampoline_kernelINS0_14default_configENS1_35adjacent_difference_config_selectorILb0EfEEZNS1_24adjacent_difference_implIS3_Lb0ELb0EPfS7_N6thrust23THRUST_200600_302600_NS4plusIfEEEE10hipError_tPvRmT2_T3_mT4_P12ihipStream_tbEUlT_E_NS1_11comp_targetILNS1_3genE8ELNS1_11target_archE1030ELNS1_3gpuE2ELNS1_3repE0EEENS1_30default_config_static_selectorELNS0_4arch9wavefront6targetE1EEEvT1_: ; @_ZN7rocprim17ROCPRIM_400000_NS6detail17trampoline_kernelINS0_14default_configENS1_35adjacent_difference_config_selectorILb0EfEEZNS1_24adjacent_difference_implIS3_Lb0ELb0EPfS7_N6thrust23THRUST_200600_302600_NS4plusIfEEEE10hipError_tPvRmT2_T3_mT4_P12ihipStream_tbEUlT_E_NS1_11comp_targetILNS1_3genE8ELNS1_11target_archE1030ELNS1_3gpuE2ELNS1_3repE0EEENS1_30default_config_static_selectorELNS0_4arch9wavefront6targetE1EEEvT1_
; %bb.0:
	.section	.rodata,"a",@progbits
	.p2align	6, 0x0
	.amdhsa_kernel _ZN7rocprim17ROCPRIM_400000_NS6detail17trampoline_kernelINS0_14default_configENS1_35adjacent_difference_config_selectorILb0EfEEZNS1_24adjacent_difference_implIS3_Lb0ELb0EPfS7_N6thrust23THRUST_200600_302600_NS4plusIfEEEE10hipError_tPvRmT2_T3_mT4_P12ihipStream_tbEUlT_E_NS1_11comp_targetILNS1_3genE8ELNS1_11target_archE1030ELNS1_3gpuE2ELNS1_3repE0EEENS1_30default_config_static_selectorELNS0_4arch9wavefront6targetE1EEEvT1_
		.amdhsa_group_segment_fixed_size 0
		.amdhsa_private_segment_fixed_size 0
		.amdhsa_kernarg_size 56
		.amdhsa_user_sgpr_count 6
		.amdhsa_user_sgpr_private_segment_buffer 1
		.amdhsa_user_sgpr_dispatch_ptr 0
		.amdhsa_user_sgpr_queue_ptr 0
		.amdhsa_user_sgpr_kernarg_segment_ptr 1
		.amdhsa_user_sgpr_dispatch_id 0
		.amdhsa_user_sgpr_flat_scratch_init 0
		.amdhsa_user_sgpr_kernarg_preload_length 0
		.amdhsa_user_sgpr_kernarg_preload_offset 0
		.amdhsa_user_sgpr_private_segment_size 0
		.amdhsa_uses_dynamic_stack 0
		.amdhsa_system_sgpr_private_segment_wavefront_offset 0
		.amdhsa_system_sgpr_workgroup_id_x 1
		.amdhsa_system_sgpr_workgroup_id_y 0
		.amdhsa_system_sgpr_workgroup_id_z 0
		.amdhsa_system_sgpr_workgroup_info 0
		.amdhsa_system_vgpr_workitem_id 0
		.amdhsa_next_free_vgpr 1
		.amdhsa_next_free_sgpr 0
		.amdhsa_accum_offset 4
		.amdhsa_reserve_vcc 0
		.amdhsa_reserve_flat_scratch 0
		.amdhsa_float_round_mode_32 0
		.amdhsa_float_round_mode_16_64 0
		.amdhsa_float_denorm_mode_32 3
		.amdhsa_float_denorm_mode_16_64 3
		.amdhsa_dx10_clamp 1
		.amdhsa_ieee_mode 1
		.amdhsa_fp16_overflow 0
		.amdhsa_tg_split 0
		.amdhsa_exception_fp_ieee_invalid_op 0
		.amdhsa_exception_fp_denorm_src 0
		.amdhsa_exception_fp_ieee_div_zero 0
		.amdhsa_exception_fp_ieee_overflow 0
		.amdhsa_exception_fp_ieee_underflow 0
		.amdhsa_exception_fp_ieee_inexact 0
		.amdhsa_exception_int_div_zero 0
	.end_amdhsa_kernel
	.section	.text._ZN7rocprim17ROCPRIM_400000_NS6detail17trampoline_kernelINS0_14default_configENS1_35adjacent_difference_config_selectorILb0EfEEZNS1_24adjacent_difference_implIS3_Lb0ELb0EPfS7_N6thrust23THRUST_200600_302600_NS4plusIfEEEE10hipError_tPvRmT2_T3_mT4_P12ihipStream_tbEUlT_E_NS1_11comp_targetILNS1_3genE8ELNS1_11target_archE1030ELNS1_3gpuE2ELNS1_3repE0EEENS1_30default_config_static_selectorELNS0_4arch9wavefront6targetE1EEEvT1_,"axG",@progbits,_ZN7rocprim17ROCPRIM_400000_NS6detail17trampoline_kernelINS0_14default_configENS1_35adjacent_difference_config_selectorILb0EfEEZNS1_24adjacent_difference_implIS3_Lb0ELb0EPfS7_N6thrust23THRUST_200600_302600_NS4plusIfEEEE10hipError_tPvRmT2_T3_mT4_P12ihipStream_tbEUlT_E_NS1_11comp_targetILNS1_3genE8ELNS1_11target_archE1030ELNS1_3gpuE2ELNS1_3repE0EEENS1_30default_config_static_selectorELNS0_4arch9wavefront6targetE1EEEvT1_,comdat
.Lfunc_end185:
	.size	_ZN7rocprim17ROCPRIM_400000_NS6detail17trampoline_kernelINS0_14default_configENS1_35adjacent_difference_config_selectorILb0EfEEZNS1_24adjacent_difference_implIS3_Lb0ELb0EPfS7_N6thrust23THRUST_200600_302600_NS4plusIfEEEE10hipError_tPvRmT2_T3_mT4_P12ihipStream_tbEUlT_E_NS1_11comp_targetILNS1_3genE8ELNS1_11target_archE1030ELNS1_3gpuE2ELNS1_3repE0EEENS1_30default_config_static_selectorELNS0_4arch9wavefront6targetE1EEEvT1_, .Lfunc_end185-_ZN7rocprim17ROCPRIM_400000_NS6detail17trampoline_kernelINS0_14default_configENS1_35adjacent_difference_config_selectorILb0EfEEZNS1_24adjacent_difference_implIS3_Lb0ELb0EPfS7_N6thrust23THRUST_200600_302600_NS4plusIfEEEE10hipError_tPvRmT2_T3_mT4_P12ihipStream_tbEUlT_E_NS1_11comp_targetILNS1_3genE8ELNS1_11target_archE1030ELNS1_3gpuE2ELNS1_3repE0EEENS1_30default_config_static_selectorELNS0_4arch9wavefront6targetE1EEEvT1_
                                        ; -- End function
	.section	.AMDGPU.csdata,"",@progbits
; Kernel info:
; codeLenInByte = 0
; NumSgprs: 4
; NumVgprs: 0
; NumAgprs: 0
; TotalNumVgprs: 0
; ScratchSize: 0
; MemoryBound: 0
; FloatMode: 240
; IeeeMode: 1
; LDSByteSize: 0 bytes/workgroup (compile time only)
; SGPRBlocks: 0
; VGPRBlocks: 0
; NumSGPRsForWavesPerEU: 4
; NumVGPRsForWavesPerEU: 1
; AccumOffset: 4
; Occupancy: 8
; WaveLimiterHint : 0
; COMPUTE_PGM_RSRC2:SCRATCH_EN: 0
; COMPUTE_PGM_RSRC2:USER_SGPR: 6
; COMPUTE_PGM_RSRC2:TRAP_HANDLER: 0
; COMPUTE_PGM_RSRC2:TGID_X_EN: 1
; COMPUTE_PGM_RSRC2:TGID_Y_EN: 0
; COMPUTE_PGM_RSRC2:TGID_Z_EN: 0
; COMPUTE_PGM_RSRC2:TIDIG_COMP_CNT: 0
; COMPUTE_PGM_RSRC3_GFX90A:ACCUM_OFFSET: 0
; COMPUTE_PGM_RSRC3_GFX90A:TG_SPLIT: 0
	.section	.text._ZN7rocprim17ROCPRIM_400000_NS6detail17trampoline_kernelINS0_14default_configENS1_25transform_config_selectorIfLb0EEEZNS1_14transform_implILb0ES3_S5_NS0_18transform_iteratorINS0_17counting_iteratorImlEEZNS1_24adjacent_difference_implIS3_Lb1ELb0EPfSB_N6thrust23THRUST_200600_302600_NS4plusIfEEEE10hipError_tPvRmT2_T3_mT4_P12ihipStream_tbEUlmE_fEESB_NS0_8identityIvEEEESG_SJ_SK_mSL_SN_bEUlT_E_NS1_11comp_targetILNS1_3genE0ELNS1_11target_archE4294967295ELNS1_3gpuE0ELNS1_3repE0EEENS1_30default_config_static_selectorELNS0_4arch9wavefront6targetE1EEEvT1_,"axG",@progbits,_ZN7rocprim17ROCPRIM_400000_NS6detail17trampoline_kernelINS0_14default_configENS1_25transform_config_selectorIfLb0EEEZNS1_14transform_implILb0ES3_S5_NS0_18transform_iteratorINS0_17counting_iteratorImlEEZNS1_24adjacent_difference_implIS3_Lb1ELb0EPfSB_N6thrust23THRUST_200600_302600_NS4plusIfEEEE10hipError_tPvRmT2_T3_mT4_P12ihipStream_tbEUlmE_fEESB_NS0_8identityIvEEEESG_SJ_SK_mSL_SN_bEUlT_E_NS1_11comp_targetILNS1_3genE0ELNS1_11target_archE4294967295ELNS1_3gpuE0ELNS1_3repE0EEENS1_30default_config_static_selectorELNS0_4arch9wavefront6targetE1EEEvT1_,comdat
	.protected	_ZN7rocprim17ROCPRIM_400000_NS6detail17trampoline_kernelINS0_14default_configENS1_25transform_config_selectorIfLb0EEEZNS1_14transform_implILb0ES3_S5_NS0_18transform_iteratorINS0_17counting_iteratorImlEEZNS1_24adjacent_difference_implIS3_Lb1ELb0EPfSB_N6thrust23THRUST_200600_302600_NS4plusIfEEEE10hipError_tPvRmT2_T3_mT4_P12ihipStream_tbEUlmE_fEESB_NS0_8identityIvEEEESG_SJ_SK_mSL_SN_bEUlT_E_NS1_11comp_targetILNS1_3genE0ELNS1_11target_archE4294967295ELNS1_3gpuE0ELNS1_3repE0EEENS1_30default_config_static_selectorELNS0_4arch9wavefront6targetE1EEEvT1_ ; -- Begin function _ZN7rocprim17ROCPRIM_400000_NS6detail17trampoline_kernelINS0_14default_configENS1_25transform_config_selectorIfLb0EEEZNS1_14transform_implILb0ES3_S5_NS0_18transform_iteratorINS0_17counting_iteratorImlEEZNS1_24adjacent_difference_implIS3_Lb1ELb0EPfSB_N6thrust23THRUST_200600_302600_NS4plusIfEEEE10hipError_tPvRmT2_T3_mT4_P12ihipStream_tbEUlmE_fEESB_NS0_8identityIvEEEESG_SJ_SK_mSL_SN_bEUlT_E_NS1_11comp_targetILNS1_3genE0ELNS1_11target_archE4294967295ELNS1_3gpuE0ELNS1_3repE0EEENS1_30default_config_static_selectorELNS0_4arch9wavefront6targetE1EEEvT1_
	.globl	_ZN7rocprim17ROCPRIM_400000_NS6detail17trampoline_kernelINS0_14default_configENS1_25transform_config_selectorIfLb0EEEZNS1_14transform_implILb0ES3_S5_NS0_18transform_iteratorINS0_17counting_iteratorImlEEZNS1_24adjacent_difference_implIS3_Lb1ELb0EPfSB_N6thrust23THRUST_200600_302600_NS4plusIfEEEE10hipError_tPvRmT2_T3_mT4_P12ihipStream_tbEUlmE_fEESB_NS0_8identityIvEEEESG_SJ_SK_mSL_SN_bEUlT_E_NS1_11comp_targetILNS1_3genE0ELNS1_11target_archE4294967295ELNS1_3gpuE0ELNS1_3repE0EEENS1_30default_config_static_selectorELNS0_4arch9wavefront6targetE1EEEvT1_
	.p2align	8
	.type	_ZN7rocprim17ROCPRIM_400000_NS6detail17trampoline_kernelINS0_14default_configENS1_25transform_config_selectorIfLb0EEEZNS1_14transform_implILb0ES3_S5_NS0_18transform_iteratorINS0_17counting_iteratorImlEEZNS1_24adjacent_difference_implIS3_Lb1ELb0EPfSB_N6thrust23THRUST_200600_302600_NS4plusIfEEEE10hipError_tPvRmT2_T3_mT4_P12ihipStream_tbEUlmE_fEESB_NS0_8identityIvEEEESG_SJ_SK_mSL_SN_bEUlT_E_NS1_11comp_targetILNS1_3genE0ELNS1_11target_archE4294967295ELNS1_3gpuE0ELNS1_3repE0EEENS1_30default_config_static_selectorELNS0_4arch9wavefront6targetE1EEEvT1_,@function
_ZN7rocprim17ROCPRIM_400000_NS6detail17trampoline_kernelINS0_14default_configENS1_25transform_config_selectorIfLb0EEEZNS1_14transform_implILb0ES3_S5_NS0_18transform_iteratorINS0_17counting_iteratorImlEEZNS1_24adjacent_difference_implIS3_Lb1ELb0EPfSB_N6thrust23THRUST_200600_302600_NS4plusIfEEEE10hipError_tPvRmT2_T3_mT4_P12ihipStream_tbEUlmE_fEESB_NS0_8identityIvEEEESG_SJ_SK_mSL_SN_bEUlT_E_NS1_11comp_targetILNS1_3genE0ELNS1_11target_archE4294967295ELNS1_3gpuE0ELNS1_3repE0EEENS1_30default_config_static_selectorELNS0_4arch9wavefront6targetE1EEEvT1_: ; @_ZN7rocprim17ROCPRIM_400000_NS6detail17trampoline_kernelINS0_14default_configENS1_25transform_config_selectorIfLb0EEEZNS1_14transform_implILb0ES3_S5_NS0_18transform_iteratorINS0_17counting_iteratorImlEEZNS1_24adjacent_difference_implIS3_Lb1ELb0EPfSB_N6thrust23THRUST_200600_302600_NS4plusIfEEEE10hipError_tPvRmT2_T3_mT4_P12ihipStream_tbEUlmE_fEESB_NS0_8identityIvEEEESG_SJ_SK_mSL_SN_bEUlT_E_NS1_11comp_targetILNS1_3genE0ELNS1_11target_archE4294967295ELNS1_3gpuE0ELNS1_3repE0EEENS1_30default_config_static_selectorELNS0_4arch9wavefront6targetE1EEEvT1_
; %bb.0:
	.section	.rodata,"a",@progbits
	.p2align	6, 0x0
	.amdhsa_kernel _ZN7rocprim17ROCPRIM_400000_NS6detail17trampoline_kernelINS0_14default_configENS1_25transform_config_selectorIfLb0EEEZNS1_14transform_implILb0ES3_S5_NS0_18transform_iteratorINS0_17counting_iteratorImlEEZNS1_24adjacent_difference_implIS3_Lb1ELb0EPfSB_N6thrust23THRUST_200600_302600_NS4plusIfEEEE10hipError_tPvRmT2_T3_mT4_P12ihipStream_tbEUlmE_fEESB_NS0_8identityIvEEEESG_SJ_SK_mSL_SN_bEUlT_E_NS1_11comp_targetILNS1_3genE0ELNS1_11target_archE4294967295ELNS1_3gpuE0ELNS1_3repE0EEENS1_30default_config_static_selectorELNS0_4arch9wavefront6targetE1EEEvT1_
		.amdhsa_group_segment_fixed_size 0
		.amdhsa_private_segment_fixed_size 0
		.amdhsa_kernarg_size 56
		.amdhsa_user_sgpr_count 6
		.amdhsa_user_sgpr_private_segment_buffer 1
		.amdhsa_user_sgpr_dispatch_ptr 0
		.amdhsa_user_sgpr_queue_ptr 0
		.amdhsa_user_sgpr_kernarg_segment_ptr 1
		.amdhsa_user_sgpr_dispatch_id 0
		.amdhsa_user_sgpr_flat_scratch_init 0
		.amdhsa_user_sgpr_kernarg_preload_length 0
		.amdhsa_user_sgpr_kernarg_preload_offset 0
		.amdhsa_user_sgpr_private_segment_size 0
		.amdhsa_uses_dynamic_stack 0
		.amdhsa_system_sgpr_private_segment_wavefront_offset 0
		.amdhsa_system_sgpr_workgroup_id_x 1
		.amdhsa_system_sgpr_workgroup_id_y 0
		.amdhsa_system_sgpr_workgroup_id_z 0
		.amdhsa_system_sgpr_workgroup_info 0
		.amdhsa_system_vgpr_workitem_id 0
		.amdhsa_next_free_vgpr 1
		.amdhsa_next_free_sgpr 0
		.amdhsa_accum_offset 4
		.amdhsa_reserve_vcc 0
		.amdhsa_reserve_flat_scratch 0
		.amdhsa_float_round_mode_32 0
		.amdhsa_float_round_mode_16_64 0
		.amdhsa_float_denorm_mode_32 3
		.amdhsa_float_denorm_mode_16_64 3
		.amdhsa_dx10_clamp 1
		.amdhsa_ieee_mode 1
		.amdhsa_fp16_overflow 0
		.amdhsa_tg_split 0
		.amdhsa_exception_fp_ieee_invalid_op 0
		.amdhsa_exception_fp_denorm_src 0
		.amdhsa_exception_fp_ieee_div_zero 0
		.amdhsa_exception_fp_ieee_overflow 0
		.amdhsa_exception_fp_ieee_underflow 0
		.amdhsa_exception_fp_ieee_inexact 0
		.amdhsa_exception_int_div_zero 0
	.end_amdhsa_kernel
	.section	.text._ZN7rocprim17ROCPRIM_400000_NS6detail17trampoline_kernelINS0_14default_configENS1_25transform_config_selectorIfLb0EEEZNS1_14transform_implILb0ES3_S5_NS0_18transform_iteratorINS0_17counting_iteratorImlEEZNS1_24adjacent_difference_implIS3_Lb1ELb0EPfSB_N6thrust23THRUST_200600_302600_NS4plusIfEEEE10hipError_tPvRmT2_T3_mT4_P12ihipStream_tbEUlmE_fEESB_NS0_8identityIvEEEESG_SJ_SK_mSL_SN_bEUlT_E_NS1_11comp_targetILNS1_3genE0ELNS1_11target_archE4294967295ELNS1_3gpuE0ELNS1_3repE0EEENS1_30default_config_static_selectorELNS0_4arch9wavefront6targetE1EEEvT1_,"axG",@progbits,_ZN7rocprim17ROCPRIM_400000_NS6detail17trampoline_kernelINS0_14default_configENS1_25transform_config_selectorIfLb0EEEZNS1_14transform_implILb0ES3_S5_NS0_18transform_iteratorINS0_17counting_iteratorImlEEZNS1_24adjacent_difference_implIS3_Lb1ELb0EPfSB_N6thrust23THRUST_200600_302600_NS4plusIfEEEE10hipError_tPvRmT2_T3_mT4_P12ihipStream_tbEUlmE_fEESB_NS0_8identityIvEEEESG_SJ_SK_mSL_SN_bEUlT_E_NS1_11comp_targetILNS1_3genE0ELNS1_11target_archE4294967295ELNS1_3gpuE0ELNS1_3repE0EEENS1_30default_config_static_selectorELNS0_4arch9wavefront6targetE1EEEvT1_,comdat
.Lfunc_end186:
	.size	_ZN7rocprim17ROCPRIM_400000_NS6detail17trampoline_kernelINS0_14default_configENS1_25transform_config_selectorIfLb0EEEZNS1_14transform_implILb0ES3_S5_NS0_18transform_iteratorINS0_17counting_iteratorImlEEZNS1_24adjacent_difference_implIS3_Lb1ELb0EPfSB_N6thrust23THRUST_200600_302600_NS4plusIfEEEE10hipError_tPvRmT2_T3_mT4_P12ihipStream_tbEUlmE_fEESB_NS0_8identityIvEEEESG_SJ_SK_mSL_SN_bEUlT_E_NS1_11comp_targetILNS1_3genE0ELNS1_11target_archE4294967295ELNS1_3gpuE0ELNS1_3repE0EEENS1_30default_config_static_selectorELNS0_4arch9wavefront6targetE1EEEvT1_, .Lfunc_end186-_ZN7rocprim17ROCPRIM_400000_NS6detail17trampoline_kernelINS0_14default_configENS1_25transform_config_selectorIfLb0EEEZNS1_14transform_implILb0ES3_S5_NS0_18transform_iteratorINS0_17counting_iteratorImlEEZNS1_24adjacent_difference_implIS3_Lb1ELb0EPfSB_N6thrust23THRUST_200600_302600_NS4plusIfEEEE10hipError_tPvRmT2_T3_mT4_P12ihipStream_tbEUlmE_fEESB_NS0_8identityIvEEEESG_SJ_SK_mSL_SN_bEUlT_E_NS1_11comp_targetILNS1_3genE0ELNS1_11target_archE4294967295ELNS1_3gpuE0ELNS1_3repE0EEENS1_30default_config_static_selectorELNS0_4arch9wavefront6targetE1EEEvT1_
                                        ; -- End function
	.section	.AMDGPU.csdata,"",@progbits
; Kernel info:
; codeLenInByte = 0
; NumSgprs: 4
; NumVgprs: 0
; NumAgprs: 0
; TotalNumVgprs: 0
; ScratchSize: 0
; MemoryBound: 0
; FloatMode: 240
; IeeeMode: 1
; LDSByteSize: 0 bytes/workgroup (compile time only)
; SGPRBlocks: 0
; VGPRBlocks: 0
; NumSGPRsForWavesPerEU: 4
; NumVGPRsForWavesPerEU: 1
; AccumOffset: 4
; Occupancy: 8
; WaveLimiterHint : 0
; COMPUTE_PGM_RSRC2:SCRATCH_EN: 0
; COMPUTE_PGM_RSRC2:USER_SGPR: 6
; COMPUTE_PGM_RSRC2:TRAP_HANDLER: 0
; COMPUTE_PGM_RSRC2:TGID_X_EN: 1
; COMPUTE_PGM_RSRC2:TGID_Y_EN: 0
; COMPUTE_PGM_RSRC2:TGID_Z_EN: 0
; COMPUTE_PGM_RSRC2:TIDIG_COMP_CNT: 0
; COMPUTE_PGM_RSRC3_GFX90A:ACCUM_OFFSET: 0
; COMPUTE_PGM_RSRC3_GFX90A:TG_SPLIT: 0
	.section	.text._ZN7rocprim17ROCPRIM_400000_NS6detail17trampoline_kernelINS0_14default_configENS1_25transform_config_selectorIfLb0EEEZNS1_14transform_implILb0ES3_S5_NS0_18transform_iteratorINS0_17counting_iteratorImlEEZNS1_24adjacent_difference_implIS3_Lb1ELb0EPfSB_N6thrust23THRUST_200600_302600_NS4plusIfEEEE10hipError_tPvRmT2_T3_mT4_P12ihipStream_tbEUlmE_fEESB_NS0_8identityIvEEEESG_SJ_SK_mSL_SN_bEUlT_E_NS1_11comp_targetILNS1_3genE5ELNS1_11target_archE942ELNS1_3gpuE9ELNS1_3repE0EEENS1_30default_config_static_selectorELNS0_4arch9wavefront6targetE1EEEvT1_,"axG",@progbits,_ZN7rocprim17ROCPRIM_400000_NS6detail17trampoline_kernelINS0_14default_configENS1_25transform_config_selectorIfLb0EEEZNS1_14transform_implILb0ES3_S5_NS0_18transform_iteratorINS0_17counting_iteratorImlEEZNS1_24adjacent_difference_implIS3_Lb1ELb0EPfSB_N6thrust23THRUST_200600_302600_NS4plusIfEEEE10hipError_tPvRmT2_T3_mT4_P12ihipStream_tbEUlmE_fEESB_NS0_8identityIvEEEESG_SJ_SK_mSL_SN_bEUlT_E_NS1_11comp_targetILNS1_3genE5ELNS1_11target_archE942ELNS1_3gpuE9ELNS1_3repE0EEENS1_30default_config_static_selectorELNS0_4arch9wavefront6targetE1EEEvT1_,comdat
	.protected	_ZN7rocprim17ROCPRIM_400000_NS6detail17trampoline_kernelINS0_14default_configENS1_25transform_config_selectorIfLb0EEEZNS1_14transform_implILb0ES3_S5_NS0_18transform_iteratorINS0_17counting_iteratorImlEEZNS1_24adjacent_difference_implIS3_Lb1ELb0EPfSB_N6thrust23THRUST_200600_302600_NS4plusIfEEEE10hipError_tPvRmT2_T3_mT4_P12ihipStream_tbEUlmE_fEESB_NS0_8identityIvEEEESG_SJ_SK_mSL_SN_bEUlT_E_NS1_11comp_targetILNS1_3genE5ELNS1_11target_archE942ELNS1_3gpuE9ELNS1_3repE0EEENS1_30default_config_static_selectorELNS0_4arch9wavefront6targetE1EEEvT1_ ; -- Begin function _ZN7rocprim17ROCPRIM_400000_NS6detail17trampoline_kernelINS0_14default_configENS1_25transform_config_selectorIfLb0EEEZNS1_14transform_implILb0ES3_S5_NS0_18transform_iteratorINS0_17counting_iteratorImlEEZNS1_24adjacent_difference_implIS3_Lb1ELb0EPfSB_N6thrust23THRUST_200600_302600_NS4plusIfEEEE10hipError_tPvRmT2_T3_mT4_P12ihipStream_tbEUlmE_fEESB_NS0_8identityIvEEEESG_SJ_SK_mSL_SN_bEUlT_E_NS1_11comp_targetILNS1_3genE5ELNS1_11target_archE942ELNS1_3gpuE9ELNS1_3repE0EEENS1_30default_config_static_selectorELNS0_4arch9wavefront6targetE1EEEvT1_
	.globl	_ZN7rocprim17ROCPRIM_400000_NS6detail17trampoline_kernelINS0_14default_configENS1_25transform_config_selectorIfLb0EEEZNS1_14transform_implILb0ES3_S5_NS0_18transform_iteratorINS0_17counting_iteratorImlEEZNS1_24adjacent_difference_implIS3_Lb1ELb0EPfSB_N6thrust23THRUST_200600_302600_NS4plusIfEEEE10hipError_tPvRmT2_T3_mT4_P12ihipStream_tbEUlmE_fEESB_NS0_8identityIvEEEESG_SJ_SK_mSL_SN_bEUlT_E_NS1_11comp_targetILNS1_3genE5ELNS1_11target_archE942ELNS1_3gpuE9ELNS1_3repE0EEENS1_30default_config_static_selectorELNS0_4arch9wavefront6targetE1EEEvT1_
	.p2align	8
	.type	_ZN7rocprim17ROCPRIM_400000_NS6detail17trampoline_kernelINS0_14default_configENS1_25transform_config_selectorIfLb0EEEZNS1_14transform_implILb0ES3_S5_NS0_18transform_iteratorINS0_17counting_iteratorImlEEZNS1_24adjacent_difference_implIS3_Lb1ELb0EPfSB_N6thrust23THRUST_200600_302600_NS4plusIfEEEE10hipError_tPvRmT2_T3_mT4_P12ihipStream_tbEUlmE_fEESB_NS0_8identityIvEEEESG_SJ_SK_mSL_SN_bEUlT_E_NS1_11comp_targetILNS1_3genE5ELNS1_11target_archE942ELNS1_3gpuE9ELNS1_3repE0EEENS1_30default_config_static_selectorELNS0_4arch9wavefront6targetE1EEEvT1_,@function
_ZN7rocprim17ROCPRIM_400000_NS6detail17trampoline_kernelINS0_14default_configENS1_25transform_config_selectorIfLb0EEEZNS1_14transform_implILb0ES3_S5_NS0_18transform_iteratorINS0_17counting_iteratorImlEEZNS1_24adjacent_difference_implIS3_Lb1ELb0EPfSB_N6thrust23THRUST_200600_302600_NS4plusIfEEEE10hipError_tPvRmT2_T3_mT4_P12ihipStream_tbEUlmE_fEESB_NS0_8identityIvEEEESG_SJ_SK_mSL_SN_bEUlT_E_NS1_11comp_targetILNS1_3genE5ELNS1_11target_archE942ELNS1_3gpuE9ELNS1_3repE0EEENS1_30default_config_static_selectorELNS0_4arch9wavefront6targetE1EEEvT1_: ; @_ZN7rocprim17ROCPRIM_400000_NS6detail17trampoline_kernelINS0_14default_configENS1_25transform_config_selectorIfLb0EEEZNS1_14transform_implILb0ES3_S5_NS0_18transform_iteratorINS0_17counting_iteratorImlEEZNS1_24adjacent_difference_implIS3_Lb1ELb0EPfSB_N6thrust23THRUST_200600_302600_NS4plusIfEEEE10hipError_tPvRmT2_T3_mT4_P12ihipStream_tbEUlmE_fEESB_NS0_8identityIvEEEESG_SJ_SK_mSL_SN_bEUlT_E_NS1_11comp_targetILNS1_3genE5ELNS1_11target_archE942ELNS1_3gpuE9ELNS1_3repE0EEENS1_30default_config_static_selectorELNS0_4arch9wavefront6targetE1EEEvT1_
; %bb.0:
	.section	.rodata,"a",@progbits
	.p2align	6, 0x0
	.amdhsa_kernel _ZN7rocprim17ROCPRIM_400000_NS6detail17trampoline_kernelINS0_14default_configENS1_25transform_config_selectorIfLb0EEEZNS1_14transform_implILb0ES3_S5_NS0_18transform_iteratorINS0_17counting_iteratorImlEEZNS1_24adjacent_difference_implIS3_Lb1ELb0EPfSB_N6thrust23THRUST_200600_302600_NS4plusIfEEEE10hipError_tPvRmT2_T3_mT4_P12ihipStream_tbEUlmE_fEESB_NS0_8identityIvEEEESG_SJ_SK_mSL_SN_bEUlT_E_NS1_11comp_targetILNS1_3genE5ELNS1_11target_archE942ELNS1_3gpuE9ELNS1_3repE0EEENS1_30default_config_static_selectorELNS0_4arch9wavefront6targetE1EEEvT1_
		.amdhsa_group_segment_fixed_size 0
		.amdhsa_private_segment_fixed_size 0
		.amdhsa_kernarg_size 56
		.amdhsa_user_sgpr_count 6
		.amdhsa_user_sgpr_private_segment_buffer 1
		.amdhsa_user_sgpr_dispatch_ptr 0
		.amdhsa_user_sgpr_queue_ptr 0
		.amdhsa_user_sgpr_kernarg_segment_ptr 1
		.amdhsa_user_sgpr_dispatch_id 0
		.amdhsa_user_sgpr_flat_scratch_init 0
		.amdhsa_user_sgpr_kernarg_preload_length 0
		.amdhsa_user_sgpr_kernarg_preload_offset 0
		.amdhsa_user_sgpr_private_segment_size 0
		.amdhsa_uses_dynamic_stack 0
		.amdhsa_system_sgpr_private_segment_wavefront_offset 0
		.amdhsa_system_sgpr_workgroup_id_x 1
		.amdhsa_system_sgpr_workgroup_id_y 0
		.amdhsa_system_sgpr_workgroup_id_z 0
		.amdhsa_system_sgpr_workgroup_info 0
		.amdhsa_system_vgpr_workitem_id 0
		.amdhsa_next_free_vgpr 1
		.amdhsa_next_free_sgpr 0
		.amdhsa_accum_offset 4
		.amdhsa_reserve_vcc 0
		.amdhsa_reserve_flat_scratch 0
		.amdhsa_float_round_mode_32 0
		.amdhsa_float_round_mode_16_64 0
		.amdhsa_float_denorm_mode_32 3
		.amdhsa_float_denorm_mode_16_64 3
		.amdhsa_dx10_clamp 1
		.amdhsa_ieee_mode 1
		.amdhsa_fp16_overflow 0
		.amdhsa_tg_split 0
		.amdhsa_exception_fp_ieee_invalid_op 0
		.amdhsa_exception_fp_denorm_src 0
		.amdhsa_exception_fp_ieee_div_zero 0
		.amdhsa_exception_fp_ieee_overflow 0
		.amdhsa_exception_fp_ieee_underflow 0
		.amdhsa_exception_fp_ieee_inexact 0
		.amdhsa_exception_int_div_zero 0
	.end_amdhsa_kernel
	.section	.text._ZN7rocprim17ROCPRIM_400000_NS6detail17trampoline_kernelINS0_14default_configENS1_25transform_config_selectorIfLb0EEEZNS1_14transform_implILb0ES3_S5_NS0_18transform_iteratorINS0_17counting_iteratorImlEEZNS1_24adjacent_difference_implIS3_Lb1ELb0EPfSB_N6thrust23THRUST_200600_302600_NS4plusIfEEEE10hipError_tPvRmT2_T3_mT4_P12ihipStream_tbEUlmE_fEESB_NS0_8identityIvEEEESG_SJ_SK_mSL_SN_bEUlT_E_NS1_11comp_targetILNS1_3genE5ELNS1_11target_archE942ELNS1_3gpuE9ELNS1_3repE0EEENS1_30default_config_static_selectorELNS0_4arch9wavefront6targetE1EEEvT1_,"axG",@progbits,_ZN7rocprim17ROCPRIM_400000_NS6detail17trampoline_kernelINS0_14default_configENS1_25transform_config_selectorIfLb0EEEZNS1_14transform_implILb0ES3_S5_NS0_18transform_iteratorINS0_17counting_iteratorImlEEZNS1_24adjacent_difference_implIS3_Lb1ELb0EPfSB_N6thrust23THRUST_200600_302600_NS4plusIfEEEE10hipError_tPvRmT2_T3_mT4_P12ihipStream_tbEUlmE_fEESB_NS0_8identityIvEEEESG_SJ_SK_mSL_SN_bEUlT_E_NS1_11comp_targetILNS1_3genE5ELNS1_11target_archE942ELNS1_3gpuE9ELNS1_3repE0EEENS1_30default_config_static_selectorELNS0_4arch9wavefront6targetE1EEEvT1_,comdat
.Lfunc_end187:
	.size	_ZN7rocprim17ROCPRIM_400000_NS6detail17trampoline_kernelINS0_14default_configENS1_25transform_config_selectorIfLb0EEEZNS1_14transform_implILb0ES3_S5_NS0_18transform_iteratorINS0_17counting_iteratorImlEEZNS1_24adjacent_difference_implIS3_Lb1ELb0EPfSB_N6thrust23THRUST_200600_302600_NS4plusIfEEEE10hipError_tPvRmT2_T3_mT4_P12ihipStream_tbEUlmE_fEESB_NS0_8identityIvEEEESG_SJ_SK_mSL_SN_bEUlT_E_NS1_11comp_targetILNS1_3genE5ELNS1_11target_archE942ELNS1_3gpuE9ELNS1_3repE0EEENS1_30default_config_static_selectorELNS0_4arch9wavefront6targetE1EEEvT1_, .Lfunc_end187-_ZN7rocprim17ROCPRIM_400000_NS6detail17trampoline_kernelINS0_14default_configENS1_25transform_config_selectorIfLb0EEEZNS1_14transform_implILb0ES3_S5_NS0_18transform_iteratorINS0_17counting_iteratorImlEEZNS1_24adjacent_difference_implIS3_Lb1ELb0EPfSB_N6thrust23THRUST_200600_302600_NS4plusIfEEEE10hipError_tPvRmT2_T3_mT4_P12ihipStream_tbEUlmE_fEESB_NS0_8identityIvEEEESG_SJ_SK_mSL_SN_bEUlT_E_NS1_11comp_targetILNS1_3genE5ELNS1_11target_archE942ELNS1_3gpuE9ELNS1_3repE0EEENS1_30default_config_static_selectorELNS0_4arch9wavefront6targetE1EEEvT1_
                                        ; -- End function
	.section	.AMDGPU.csdata,"",@progbits
; Kernel info:
; codeLenInByte = 0
; NumSgprs: 4
; NumVgprs: 0
; NumAgprs: 0
; TotalNumVgprs: 0
; ScratchSize: 0
; MemoryBound: 0
; FloatMode: 240
; IeeeMode: 1
; LDSByteSize: 0 bytes/workgroup (compile time only)
; SGPRBlocks: 0
; VGPRBlocks: 0
; NumSGPRsForWavesPerEU: 4
; NumVGPRsForWavesPerEU: 1
; AccumOffset: 4
; Occupancy: 8
; WaveLimiterHint : 0
; COMPUTE_PGM_RSRC2:SCRATCH_EN: 0
; COMPUTE_PGM_RSRC2:USER_SGPR: 6
; COMPUTE_PGM_RSRC2:TRAP_HANDLER: 0
; COMPUTE_PGM_RSRC2:TGID_X_EN: 1
; COMPUTE_PGM_RSRC2:TGID_Y_EN: 0
; COMPUTE_PGM_RSRC2:TGID_Z_EN: 0
; COMPUTE_PGM_RSRC2:TIDIG_COMP_CNT: 0
; COMPUTE_PGM_RSRC3_GFX90A:ACCUM_OFFSET: 0
; COMPUTE_PGM_RSRC3_GFX90A:TG_SPLIT: 0
	.section	.text._ZN7rocprim17ROCPRIM_400000_NS6detail17trampoline_kernelINS0_14default_configENS1_25transform_config_selectorIfLb0EEEZNS1_14transform_implILb0ES3_S5_NS0_18transform_iteratorINS0_17counting_iteratorImlEEZNS1_24adjacent_difference_implIS3_Lb1ELb0EPfSB_N6thrust23THRUST_200600_302600_NS4plusIfEEEE10hipError_tPvRmT2_T3_mT4_P12ihipStream_tbEUlmE_fEESB_NS0_8identityIvEEEESG_SJ_SK_mSL_SN_bEUlT_E_NS1_11comp_targetILNS1_3genE4ELNS1_11target_archE910ELNS1_3gpuE8ELNS1_3repE0EEENS1_30default_config_static_selectorELNS0_4arch9wavefront6targetE1EEEvT1_,"axG",@progbits,_ZN7rocprim17ROCPRIM_400000_NS6detail17trampoline_kernelINS0_14default_configENS1_25transform_config_selectorIfLb0EEEZNS1_14transform_implILb0ES3_S5_NS0_18transform_iteratorINS0_17counting_iteratorImlEEZNS1_24adjacent_difference_implIS3_Lb1ELb0EPfSB_N6thrust23THRUST_200600_302600_NS4plusIfEEEE10hipError_tPvRmT2_T3_mT4_P12ihipStream_tbEUlmE_fEESB_NS0_8identityIvEEEESG_SJ_SK_mSL_SN_bEUlT_E_NS1_11comp_targetILNS1_3genE4ELNS1_11target_archE910ELNS1_3gpuE8ELNS1_3repE0EEENS1_30default_config_static_selectorELNS0_4arch9wavefront6targetE1EEEvT1_,comdat
	.protected	_ZN7rocprim17ROCPRIM_400000_NS6detail17trampoline_kernelINS0_14default_configENS1_25transform_config_selectorIfLb0EEEZNS1_14transform_implILb0ES3_S5_NS0_18transform_iteratorINS0_17counting_iteratorImlEEZNS1_24adjacent_difference_implIS3_Lb1ELb0EPfSB_N6thrust23THRUST_200600_302600_NS4plusIfEEEE10hipError_tPvRmT2_T3_mT4_P12ihipStream_tbEUlmE_fEESB_NS0_8identityIvEEEESG_SJ_SK_mSL_SN_bEUlT_E_NS1_11comp_targetILNS1_3genE4ELNS1_11target_archE910ELNS1_3gpuE8ELNS1_3repE0EEENS1_30default_config_static_selectorELNS0_4arch9wavefront6targetE1EEEvT1_ ; -- Begin function _ZN7rocprim17ROCPRIM_400000_NS6detail17trampoline_kernelINS0_14default_configENS1_25transform_config_selectorIfLb0EEEZNS1_14transform_implILb0ES3_S5_NS0_18transform_iteratorINS0_17counting_iteratorImlEEZNS1_24adjacent_difference_implIS3_Lb1ELb0EPfSB_N6thrust23THRUST_200600_302600_NS4plusIfEEEE10hipError_tPvRmT2_T3_mT4_P12ihipStream_tbEUlmE_fEESB_NS0_8identityIvEEEESG_SJ_SK_mSL_SN_bEUlT_E_NS1_11comp_targetILNS1_3genE4ELNS1_11target_archE910ELNS1_3gpuE8ELNS1_3repE0EEENS1_30default_config_static_selectorELNS0_4arch9wavefront6targetE1EEEvT1_
	.globl	_ZN7rocprim17ROCPRIM_400000_NS6detail17trampoline_kernelINS0_14default_configENS1_25transform_config_selectorIfLb0EEEZNS1_14transform_implILb0ES3_S5_NS0_18transform_iteratorINS0_17counting_iteratorImlEEZNS1_24adjacent_difference_implIS3_Lb1ELb0EPfSB_N6thrust23THRUST_200600_302600_NS4plusIfEEEE10hipError_tPvRmT2_T3_mT4_P12ihipStream_tbEUlmE_fEESB_NS0_8identityIvEEEESG_SJ_SK_mSL_SN_bEUlT_E_NS1_11comp_targetILNS1_3genE4ELNS1_11target_archE910ELNS1_3gpuE8ELNS1_3repE0EEENS1_30default_config_static_selectorELNS0_4arch9wavefront6targetE1EEEvT1_
	.p2align	8
	.type	_ZN7rocprim17ROCPRIM_400000_NS6detail17trampoline_kernelINS0_14default_configENS1_25transform_config_selectorIfLb0EEEZNS1_14transform_implILb0ES3_S5_NS0_18transform_iteratorINS0_17counting_iteratorImlEEZNS1_24adjacent_difference_implIS3_Lb1ELb0EPfSB_N6thrust23THRUST_200600_302600_NS4plusIfEEEE10hipError_tPvRmT2_T3_mT4_P12ihipStream_tbEUlmE_fEESB_NS0_8identityIvEEEESG_SJ_SK_mSL_SN_bEUlT_E_NS1_11comp_targetILNS1_3genE4ELNS1_11target_archE910ELNS1_3gpuE8ELNS1_3repE0EEENS1_30default_config_static_selectorELNS0_4arch9wavefront6targetE1EEEvT1_,@function
_ZN7rocprim17ROCPRIM_400000_NS6detail17trampoline_kernelINS0_14default_configENS1_25transform_config_selectorIfLb0EEEZNS1_14transform_implILb0ES3_S5_NS0_18transform_iteratorINS0_17counting_iteratorImlEEZNS1_24adjacent_difference_implIS3_Lb1ELb0EPfSB_N6thrust23THRUST_200600_302600_NS4plusIfEEEE10hipError_tPvRmT2_T3_mT4_P12ihipStream_tbEUlmE_fEESB_NS0_8identityIvEEEESG_SJ_SK_mSL_SN_bEUlT_E_NS1_11comp_targetILNS1_3genE4ELNS1_11target_archE910ELNS1_3gpuE8ELNS1_3repE0EEENS1_30default_config_static_selectorELNS0_4arch9wavefront6targetE1EEEvT1_: ; @_ZN7rocprim17ROCPRIM_400000_NS6detail17trampoline_kernelINS0_14default_configENS1_25transform_config_selectorIfLb0EEEZNS1_14transform_implILb0ES3_S5_NS0_18transform_iteratorINS0_17counting_iteratorImlEEZNS1_24adjacent_difference_implIS3_Lb1ELb0EPfSB_N6thrust23THRUST_200600_302600_NS4plusIfEEEE10hipError_tPvRmT2_T3_mT4_P12ihipStream_tbEUlmE_fEESB_NS0_8identityIvEEEESG_SJ_SK_mSL_SN_bEUlT_E_NS1_11comp_targetILNS1_3genE4ELNS1_11target_archE910ELNS1_3gpuE8ELNS1_3repE0EEENS1_30default_config_static_selectorELNS0_4arch9wavefront6targetE1EEEvT1_
; %bb.0:
	s_load_dwordx4 s[0:3], s[4:5], 0x18
	s_load_dwordx2 s[14:15], s[4:5], 0x28
	s_load_dwordx4 s[8:11], s[4:5], 0x0
	s_load_dword s12, s[4:5], 0x10
	s_waitcnt lgkmcnt(0)
	s_load_dword s3, s[4:5], 0x38
                                        ; kill: killed $sgpr4_sgpr5
	s_lshl_b64 s[4:5], s[0:1], 2
	s_add_u32 s14, s14, s4
	s_addc_u32 s15, s15, s5
	s_lshl_b32 s4, s6, 11
	s_waitcnt lgkmcnt(0)
	s_add_i32 s3, s3, -1
	s_add_u32 s7, s8, s4
	s_addc_u32 s8, s9, 0
	s_add_u32 s16, s7, s0
	s_addc_u32 s17, s8, s1
	s_mov_b32 s5, 0
	s_cmp_lg_u32 s6, s3
	v_lshlrev_b32_e32 v1, 2, v0
	s_cbranch_scc0 .LBB188_2
; %bb.1:
	v_mov_b32_e32 v2, s17
	v_add_co_u32_e32 v3, vcc, s16, v0
	v_addc_co_u32_e32 v5, vcc, 0, v2, vcc
	v_mad_u64_u32 v[2:3], s[0:1], v3, s12, 0
	v_mov_b32_e32 v4, v3
	v_mad_u64_u32 v[4:5], s[0:1], v5, s12, v[4:5]
	v_mov_b32_e32 v3, v4
	v_lshlrev_b64 v[2:3], 2, v[2:3]
	s_mov_b32 s13, s5
	v_mov_b32_e32 v4, s11
	v_add_co_u32_e32 v2, vcc, s10, v2
	v_addc_co_u32_e32 v3, vcc, v4, v3, vcc
	s_lshl_b64 s[0:1], s[12:13], 12
	global_load_dword v6, v[2:3], off
	v_mov_b32_e32 v4, s1
	v_add_co_u32_e32 v2, vcc, s0, v2
	v_addc_co_u32_e32 v3, vcc, v3, v4, vcc
	global_load_dword v3, v[2:3], off
	s_lshl_b64 s[6:7], s[4:5], 2
	s_add_u32 s6, s14, s6
	s_addc_u32 s7, s15, s7
	v_mov_b32_e32 v2, s7
	v_add_co_u32_e32 v4, vcc, s6, v1
	v_addc_co_u32_e32 v5, vcc, 0, v2, vcc
	s_waitcnt vmcnt(1)
	global_store_dword v1, v6, s[6:7]
	s_mov_b64 s[6:7], -1
	s_cbranch_execz .LBB188_3
	s_branch .LBB188_12
.LBB188_2:
	s_mov_b64 s[6:7], 0
                                        ; implicit-def: $vgpr3
                                        ; implicit-def: $vgpr4_vgpr5
.LBB188_3:
	s_sub_i32 s8, s2, s4
	v_cmp_gt_u32_e32 vcc, s8, v0
                                        ; implicit-def: $vgpr2_vgpr3
	s_and_saveexec_b64 s[2:3], vcc
	s_cbranch_execz .LBB188_5
; %bb.4:
	v_mov_b32_e32 v2, s17
	s_waitcnt vmcnt(1)
	v_add_co_u32_e64 v3, s[0:1], s16, v0
	v_addc_co_u32_e64 v5, s[0:1], 0, v2, s[0:1]
	v_mad_u64_u32 v[2:3], s[0:1], v3, s12, 0
	v_mov_b32_e32 v4, v3
	v_mad_u64_u32 v[4:5], s[0:1], v5, s12, v[4:5]
	v_mov_b32_e32 v3, v4
	v_lshlrev_b64 v[2:3], 2, v[2:3]
	v_mov_b32_e32 v4, s11
	v_add_co_u32_e64 v2, s[0:1], s10, v2
	v_addc_co_u32_e64 v3, s[0:1], v4, v3, s[0:1]
	global_load_dword v2, v[2:3], off
.LBB188_5:
	s_or_b64 exec, exec, s[2:3]
	v_or_b32_e32 v0, 0x400, v0
	v_cmp_gt_u32_e64 s[0:1], s8, v0
	s_and_saveexec_b64 s[8:9], s[0:1]
	s_cbranch_execz .LBB188_7
; %bb.6:
	s_waitcnt vmcnt(1)
	v_mov_b32_e32 v3, s17
	v_add_co_u32_e64 v0, s[2:3], s16, v0
	v_addc_co_u32_e64 v3, s[2:3], 0, v3, s[2:3]
	v_mad_u64_u32 v[4:5], s[2:3], v0, s12, 0
	v_mov_b32_e32 v0, v5
	v_mad_u64_u32 v[6:7], s[2:3], v3, s12, v[0:1]
	v_mov_b32_e32 v5, v6
	v_lshlrev_b64 v[4:5], 2, v[4:5]
	v_mov_b32_e32 v0, s11
	v_add_co_u32_e64 v4, s[2:3], s10, v4
	v_addc_co_u32_e64 v5, s[2:3], v0, v5, s[2:3]
	global_load_dword v3, v[4:5], off
.LBB188_7:
	s_or_b64 exec, exec, s[8:9]
	s_lshl_b64 s[2:3], s[4:5], 2
	s_add_u32 s2, s14, s2
	s_addc_u32 s3, s15, s3
	v_mov_b32_e32 v0, s3
	v_add_co_u32_e64 v4, s[2:3], s2, v1
	v_addc_co_u32_e64 v5, s[2:3], 0, v0, s[2:3]
	s_and_saveexec_b64 s[2:3], vcc
	s_cbranch_execz .LBB188_9
; %bb.8:
	s_waitcnt vmcnt(0)
	global_store_dword v[4:5], v2, off
.LBB188_9:
	s_or_b64 exec, exec, s[2:3]
	s_and_saveexec_b64 s[2:3], s[0:1]
; %bb.10:
	s_or_b64 s[6:7], s[6:7], exec
; %bb.11:
	s_or_b64 exec, exec, s[2:3]
.LBB188_12:
	s_and_saveexec_b64 s[0:1], s[6:7]
	s_cbranch_execnz .LBB188_14
; %bb.13:
	s_endpgm
.LBB188_14:
	v_add_co_u32_e32 v0, vcc, 0x1000, v4
	v_addc_co_u32_e32 v1, vcc, 0, v5, vcc
	s_waitcnt vmcnt(0)
	global_store_dword v[0:1], v3, off
	s_endpgm
	.section	.rodata,"a",@progbits
	.p2align	6, 0x0
	.amdhsa_kernel _ZN7rocprim17ROCPRIM_400000_NS6detail17trampoline_kernelINS0_14default_configENS1_25transform_config_selectorIfLb0EEEZNS1_14transform_implILb0ES3_S5_NS0_18transform_iteratorINS0_17counting_iteratorImlEEZNS1_24adjacent_difference_implIS3_Lb1ELb0EPfSB_N6thrust23THRUST_200600_302600_NS4plusIfEEEE10hipError_tPvRmT2_T3_mT4_P12ihipStream_tbEUlmE_fEESB_NS0_8identityIvEEEESG_SJ_SK_mSL_SN_bEUlT_E_NS1_11comp_targetILNS1_3genE4ELNS1_11target_archE910ELNS1_3gpuE8ELNS1_3repE0EEENS1_30default_config_static_selectorELNS0_4arch9wavefront6targetE1EEEvT1_
		.amdhsa_group_segment_fixed_size 0
		.amdhsa_private_segment_fixed_size 0
		.amdhsa_kernarg_size 312
		.amdhsa_user_sgpr_count 6
		.amdhsa_user_sgpr_private_segment_buffer 1
		.amdhsa_user_sgpr_dispatch_ptr 0
		.amdhsa_user_sgpr_queue_ptr 0
		.amdhsa_user_sgpr_kernarg_segment_ptr 1
		.amdhsa_user_sgpr_dispatch_id 0
		.amdhsa_user_sgpr_flat_scratch_init 0
		.amdhsa_user_sgpr_kernarg_preload_length 0
		.amdhsa_user_sgpr_kernarg_preload_offset 0
		.amdhsa_user_sgpr_private_segment_size 0
		.amdhsa_uses_dynamic_stack 0
		.amdhsa_system_sgpr_private_segment_wavefront_offset 0
		.amdhsa_system_sgpr_workgroup_id_x 1
		.amdhsa_system_sgpr_workgroup_id_y 0
		.amdhsa_system_sgpr_workgroup_id_z 0
		.amdhsa_system_sgpr_workgroup_info 0
		.amdhsa_system_vgpr_workitem_id 0
		.amdhsa_next_free_vgpr 8
		.amdhsa_next_free_sgpr 18
		.amdhsa_accum_offset 8
		.amdhsa_reserve_vcc 1
		.amdhsa_reserve_flat_scratch 0
		.amdhsa_float_round_mode_32 0
		.amdhsa_float_round_mode_16_64 0
		.amdhsa_float_denorm_mode_32 3
		.amdhsa_float_denorm_mode_16_64 3
		.amdhsa_dx10_clamp 1
		.amdhsa_ieee_mode 1
		.amdhsa_fp16_overflow 0
		.amdhsa_tg_split 0
		.amdhsa_exception_fp_ieee_invalid_op 0
		.amdhsa_exception_fp_denorm_src 0
		.amdhsa_exception_fp_ieee_div_zero 0
		.amdhsa_exception_fp_ieee_overflow 0
		.amdhsa_exception_fp_ieee_underflow 0
		.amdhsa_exception_fp_ieee_inexact 0
		.amdhsa_exception_int_div_zero 0
	.end_amdhsa_kernel
	.section	.text._ZN7rocprim17ROCPRIM_400000_NS6detail17trampoline_kernelINS0_14default_configENS1_25transform_config_selectorIfLb0EEEZNS1_14transform_implILb0ES3_S5_NS0_18transform_iteratorINS0_17counting_iteratorImlEEZNS1_24adjacent_difference_implIS3_Lb1ELb0EPfSB_N6thrust23THRUST_200600_302600_NS4plusIfEEEE10hipError_tPvRmT2_T3_mT4_P12ihipStream_tbEUlmE_fEESB_NS0_8identityIvEEEESG_SJ_SK_mSL_SN_bEUlT_E_NS1_11comp_targetILNS1_3genE4ELNS1_11target_archE910ELNS1_3gpuE8ELNS1_3repE0EEENS1_30default_config_static_selectorELNS0_4arch9wavefront6targetE1EEEvT1_,"axG",@progbits,_ZN7rocprim17ROCPRIM_400000_NS6detail17trampoline_kernelINS0_14default_configENS1_25transform_config_selectorIfLb0EEEZNS1_14transform_implILb0ES3_S5_NS0_18transform_iteratorINS0_17counting_iteratorImlEEZNS1_24adjacent_difference_implIS3_Lb1ELb0EPfSB_N6thrust23THRUST_200600_302600_NS4plusIfEEEE10hipError_tPvRmT2_T3_mT4_P12ihipStream_tbEUlmE_fEESB_NS0_8identityIvEEEESG_SJ_SK_mSL_SN_bEUlT_E_NS1_11comp_targetILNS1_3genE4ELNS1_11target_archE910ELNS1_3gpuE8ELNS1_3repE0EEENS1_30default_config_static_selectorELNS0_4arch9wavefront6targetE1EEEvT1_,comdat
.Lfunc_end188:
	.size	_ZN7rocprim17ROCPRIM_400000_NS6detail17trampoline_kernelINS0_14default_configENS1_25transform_config_selectorIfLb0EEEZNS1_14transform_implILb0ES3_S5_NS0_18transform_iteratorINS0_17counting_iteratorImlEEZNS1_24adjacent_difference_implIS3_Lb1ELb0EPfSB_N6thrust23THRUST_200600_302600_NS4plusIfEEEE10hipError_tPvRmT2_T3_mT4_P12ihipStream_tbEUlmE_fEESB_NS0_8identityIvEEEESG_SJ_SK_mSL_SN_bEUlT_E_NS1_11comp_targetILNS1_3genE4ELNS1_11target_archE910ELNS1_3gpuE8ELNS1_3repE0EEENS1_30default_config_static_selectorELNS0_4arch9wavefront6targetE1EEEvT1_, .Lfunc_end188-_ZN7rocprim17ROCPRIM_400000_NS6detail17trampoline_kernelINS0_14default_configENS1_25transform_config_selectorIfLb0EEEZNS1_14transform_implILb0ES3_S5_NS0_18transform_iteratorINS0_17counting_iteratorImlEEZNS1_24adjacent_difference_implIS3_Lb1ELb0EPfSB_N6thrust23THRUST_200600_302600_NS4plusIfEEEE10hipError_tPvRmT2_T3_mT4_P12ihipStream_tbEUlmE_fEESB_NS0_8identityIvEEEESG_SJ_SK_mSL_SN_bEUlT_E_NS1_11comp_targetILNS1_3genE4ELNS1_11target_archE910ELNS1_3gpuE8ELNS1_3repE0EEENS1_30default_config_static_selectorELNS0_4arch9wavefront6targetE1EEEvT1_
                                        ; -- End function
	.section	.AMDGPU.csdata,"",@progbits
; Kernel info:
; codeLenInByte = 568
; NumSgprs: 22
; NumVgprs: 8
; NumAgprs: 0
; TotalNumVgprs: 8
; ScratchSize: 0
; MemoryBound: 0
; FloatMode: 240
; IeeeMode: 1
; LDSByteSize: 0 bytes/workgroup (compile time only)
; SGPRBlocks: 2
; VGPRBlocks: 0
; NumSGPRsForWavesPerEU: 22
; NumVGPRsForWavesPerEU: 8
; AccumOffset: 8
; Occupancy: 8
; WaveLimiterHint : 0
; COMPUTE_PGM_RSRC2:SCRATCH_EN: 0
; COMPUTE_PGM_RSRC2:USER_SGPR: 6
; COMPUTE_PGM_RSRC2:TRAP_HANDLER: 0
; COMPUTE_PGM_RSRC2:TGID_X_EN: 1
; COMPUTE_PGM_RSRC2:TGID_Y_EN: 0
; COMPUTE_PGM_RSRC2:TGID_Z_EN: 0
; COMPUTE_PGM_RSRC2:TIDIG_COMP_CNT: 0
; COMPUTE_PGM_RSRC3_GFX90A:ACCUM_OFFSET: 1
; COMPUTE_PGM_RSRC3_GFX90A:TG_SPLIT: 0
	.section	.text._ZN7rocprim17ROCPRIM_400000_NS6detail17trampoline_kernelINS0_14default_configENS1_25transform_config_selectorIfLb0EEEZNS1_14transform_implILb0ES3_S5_NS0_18transform_iteratorINS0_17counting_iteratorImlEEZNS1_24adjacent_difference_implIS3_Lb1ELb0EPfSB_N6thrust23THRUST_200600_302600_NS4plusIfEEEE10hipError_tPvRmT2_T3_mT4_P12ihipStream_tbEUlmE_fEESB_NS0_8identityIvEEEESG_SJ_SK_mSL_SN_bEUlT_E_NS1_11comp_targetILNS1_3genE3ELNS1_11target_archE908ELNS1_3gpuE7ELNS1_3repE0EEENS1_30default_config_static_selectorELNS0_4arch9wavefront6targetE1EEEvT1_,"axG",@progbits,_ZN7rocprim17ROCPRIM_400000_NS6detail17trampoline_kernelINS0_14default_configENS1_25transform_config_selectorIfLb0EEEZNS1_14transform_implILb0ES3_S5_NS0_18transform_iteratorINS0_17counting_iteratorImlEEZNS1_24adjacent_difference_implIS3_Lb1ELb0EPfSB_N6thrust23THRUST_200600_302600_NS4plusIfEEEE10hipError_tPvRmT2_T3_mT4_P12ihipStream_tbEUlmE_fEESB_NS0_8identityIvEEEESG_SJ_SK_mSL_SN_bEUlT_E_NS1_11comp_targetILNS1_3genE3ELNS1_11target_archE908ELNS1_3gpuE7ELNS1_3repE0EEENS1_30default_config_static_selectorELNS0_4arch9wavefront6targetE1EEEvT1_,comdat
	.protected	_ZN7rocprim17ROCPRIM_400000_NS6detail17trampoline_kernelINS0_14default_configENS1_25transform_config_selectorIfLb0EEEZNS1_14transform_implILb0ES3_S5_NS0_18transform_iteratorINS0_17counting_iteratorImlEEZNS1_24adjacent_difference_implIS3_Lb1ELb0EPfSB_N6thrust23THRUST_200600_302600_NS4plusIfEEEE10hipError_tPvRmT2_T3_mT4_P12ihipStream_tbEUlmE_fEESB_NS0_8identityIvEEEESG_SJ_SK_mSL_SN_bEUlT_E_NS1_11comp_targetILNS1_3genE3ELNS1_11target_archE908ELNS1_3gpuE7ELNS1_3repE0EEENS1_30default_config_static_selectorELNS0_4arch9wavefront6targetE1EEEvT1_ ; -- Begin function _ZN7rocprim17ROCPRIM_400000_NS6detail17trampoline_kernelINS0_14default_configENS1_25transform_config_selectorIfLb0EEEZNS1_14transform_implILb0ES3_S5_NS0_18transform_iteratorINS0_17counting_iteratorImlEEZNS1_24adjacent_difference_implIS3_Lb1ELb0EPfSB_N6thrust23THRUST_200600_302600_NS4plusIfEEEE10hipError_tPvRmT2_T3_mT4_P12ihipStream_tbEUlmE_fEESB_NS0_8identityIvEEEESG_SJ_SK_mSL_SN_bEUlT_E_NS1_11comp_targetILNS1_3genE3ELNS1_11target_archE908ELNS1_3gpuE7ELNS1_3repE0EEENS1_30default_config_static_selectorELNS0_4arch9wavefront6targetE1EEEvT1_
	.globl	_ZN7rocprim17ROCPRIM_400000_NS6detail17trampoline_kernelINS0_14default_configENS1_25transform_config_selectorIfLb0EEEZNS1_14transform_implILb0ES3_S5_NS0_18transform_iteratorINS0_17counting_iteratorImlEEZNS1_24adjacent_difference_implIS3_Lb1ELb0EPfSB_N6thrust23THRUST_200600_302600_NS4plusIfEEEE10hipError_tPvRmT2_T3_mT4_P12ihipStream_tbEUlmE_fEESB_NS0_8identityIvEEEESG_SJ_SK_mSL_SN_bEUlT_E_NS1_11comp_targetILNS1_3genE3ELNS1_11target_archE908ELNS1_3gpuE7ELNS1_3repE0EEENS1_30default_config_static_selectorELNS0_4arch9wavefront6targetE1EEEvT1_
	.p2align	8
	.type	_ZN7rocprim17ROCPRIM_400000_NS6detail17trampoline_kernelINS0_14default_configENS1_25transform_config_selectorIfLb0EEEZNS1_14transform_implILb0ES3_S5_NS0_18transform_iteratorINS0_17counting_iteratorImlEEZNS1_24adjacent_difference_implIS3_Lb1ELb0EPfSB_N6thrust23THRUST_200600_302600_NS4plusIfEEEE10hipError_tPvRmT2_T3_mT4_P12ihipStream_tbEUlmE_fEESB_NS0_8identityIvEEEESG_SJ_SK_mSL_SN_bEUlT_E_NS1_11comp_targetILNS1_3genE3ELNS1_11target_archE908ELNS1_3gpuE7ELNS1_3repE0EEENS1_30default_config_static_selectorELNS0_4arch9wavefront6targetE1EEEvT1_,@function
_ZN7rocprim17ROCPRIM_400000_NS6detail17trampoline_kernelINS0_14default_configENS1_25transform_config_selectorIfLb0EEEZNS1_14transform_implILb0ES3_S5_NS0_18transform_iteratorINS0_17counting_iteratorImlEEZNS1_24adjacent_difference_implIS3_Lb1ELb0EPfSB_N6thrust23THRUST_200600_302600_NS4plusIfEEEE10hipError_tPvRmT2_T3_mT4_P12ihipStream_tbEUlmE_fEESB_NS0_8identityIvEEEESG_SJ_SK_mSL_SN_bEUlT_E_NS1_11comp_targetILNS1_3genE3ELNS1_11target_archE908ELNS1_3gpuE7ELNS1_3repE0EEENS1_30default_config_static_selectorELNS0_4arch9wavefront6targetE1EEEvT1_: ; @_ZN7rocprim17ROCPRIM_400000_NS6detail17trampoline_kernelINS0_14default_configENS1_25transform_config_selectorIfLb0EEEZNS1_14transform_implILb0ES3_S5_NS0_18transform_iteratorINS0_17counting_iteratorImlEEZNS1_24adjacent_difference_implIS3_Lb1ELb0EPfSB_N6thrust23THRUST_200600_302600_NS4plusIfEEEE10hipError_tPvRmT2_T3_mT4_P12ihipStream_tbEUlmE_fEESB_NS0_8identityIvEEEESG_SJ_SK_mSL_SN_bEUlT_E_NS1_11comp_targetILNS1_3genE3ELNS1_11target_archE908ELNS1_3gpuE7ELNS1_3repE0EEENS1_30default_config_static_selectorELNS0_4arch9wavefront6targetE1EEEvT1_
; %bb.0:
	.section	.rodata,"a",@progbits
	.p2align	6, 0x0
	.amdhsa_kernel _ZN7rocprim17ROCPRIM_400000_NS6detail17trampoline_kernelINS0_14default_configENS1_25transform_config_selectorIfLb0EEEZNS1_14transform_implILb0ES3_S5_NS0_18transform_iteratorINS0_17counting_iteratorImlEEZNS1_24adjacent_difference_implIS3_Lb1ELb0EPfSB_N6thrust23THRUST_200600_302600_NS4plusIfEEEE10hipError_tPvRmT2_T3_mT4_P12ihipStream_tbEUlmE_fEESB_NS0_8identityIvEEEESG_SJ_SK_mSL_SN_bEUlT_E_NS1_11comp_targetILNS1_3genE3ELNS1_11target_archE908ELNS1_3gpuE7ELNS1_3repE0EEENS1_30default_config_static_selectorELNS0_4arch9wavefront6targetE1EEEvT1_
		.amdhsa_group_segment_fixed_size 0
		.amdhsa_private_segment_fixed_size 0
		.amdhsa_kernarg_size 56
		.amdhsa_user_sgpr_count 6
		.amdhsa_user_sgpr_private_segment_buffer 1
		.amdhsa_user_sgpr_dispatch_ptr 0
		.amdhsa_user_sgpr_queue_ptr 0
		.amdhsa_user_sgpr_kernarg_segment_ptr 1
		.amdhsa_user_sgpr_dispatch_id 0
		.amdhsa_user_sgpr_flat_scratch_init 0
		.amdhsa_user_sgpr_kernarg_preload_length 0
		.amdhsa_user_sgpr_kernarg_preload_offset 0
		.amdhsa_user_sgpr_private_segment_size 0
		.amdhsa_uses_dynamic_stack 0
		.amdhsa_system_sgpr_private_segment_wavefront_offset 0
		.amdhsa_system_sgpr_workgroup_id_x 1
		.amdhsa_system_sgpr_workgroup_id_y 0
		.amdhsa_system_sgpr_workgroup_id_z 0
		.amdhsa_system_sgpr_workgroup_info 0
		.amdhsa_system_vgpr_workitem_id 0
		.amdhsa_next_free_vgpr 1
		.amdhsa_next_free_sgpr 0
		.amdhsa_accum_offset 4
		.amdhsa_reserve_vcc 0
		.amdhsa_reserve_flat_scratch 0
		.amdhsa_float_round_mode_32 0
		.amdhsa_float_round_mode_16_64 0
		.amdhsa_float_denorm_mode_32 3
		.amdhsa_float_denorm_mode_16_64 3
		.amdhsa_dx10_clamp 1
		.amdhsa_ieee_mode 1
		.amdhsa_fp16_overflow 0
		.amdhsa_tg_split 0
		.amdhsa_exception_fp_ieee_invalid_op 0
		.amdhsa_exception_fp_denorm_src 0
		.amdhsa_exception_fp_ieee_div_zero 0
		.amdhsa_exception_fp_ieee_overflow 0
		.amdhsa_exception_fp_ieee_underflow 0
		.amdhsa_exception_fp_ieee_inexact 0
		.amdhsa_exception_int_div_zero 0
	.end_amdhsa_kernel
	.section	.text._ZN7rocprim17ROCPRIM_400000_NS6detail17trampoline_kernelINS0_14default_configENS1_25transform_config_selectorIfLb0EEEZNS1_14transform_implILb0ES3_S5_NS0_18transform_iteratorINS0_17counting_iteratorImlEEZNS1_24adjacent_difference_implIS3_Lb1ELb0EPfSB_N6thrust23THRUST_200600_302600_NS4plusIfEEEE10hipError_tPvRmT2_T3_mT4_P12ihipStream_tbEUlmE_fEESB_NS0_8identityIvEEEESG_SJ_SK_mSL_SN_bEUlT_E_NS1_11comp_targetILNS1_3genE3ELNS1_11target_archE908ELNS1_3gpuE7ELNS1_3repE0EEENS1_30default_config_static_selectorELNS0_4arch9wavefront6targetE1EEEvT1_,"axG",@progbits,_ZN7rocprim17ROCPRIM_400000_NS6detail17trampoline_kernelINS0_14default_configENS1_25transform_config_selectorIfLb0EEEZNS1_14transform_implILb0ES3_S5_NS0_18transform_iteratorINS0_17counting_iteratorImlEEZNS1_24adjacent_difference_implIS3_Lb1ELb0EPfSB_N6thrust23THRUST_200600_302600_NS4plusIfEEEE10hipError_tPvRmT2_T3_mT4_P12ihipStream_tbEUlmE_fEESB_NS0_8identityIvEEEESG_SJ_SK_mSL_SN_bEUlT_E_NS1_11comp_targetILNS1_3genE3ELNS1_11target_archE908ELNS1_3gpuE7ELNS1_3repE0EEENS1_30default_config_static_selectorELNS0_4arch9wavefront6targetE1EEEvT1_,comdat
.Lfunc_end189:
	.size	_ZN7rocprim17ROCPRIM_400000_NS6detail17trampoline_kernelINS0_14default_configENS1_25transform_config_selectorIfLb0EEEZNS1_14transform_implILb0ES3_S5_NS0_18transform_iteratorINS0_17counting_iteratorImlEEZNS1_24adjacent_difference_implIS3_Lb1ELb0EPfSB_N6thrust23THRUST_200600_302600_NS4plusIfEEEE10hipError_tPvRmT2_T3_mT4_P12ihipStream_tbEUlmE_fEESB_NS0_8identityIvEEEESG_SJ_SK_mSL_SN_bEUlT_E_NS1_11comp_targetILNS1_3genE3ELNS1_11target_archE908ELNS1_3gpuE7ELNS1_3repE0EEENS1_30default_config_static_selectorELNS0_4arch9wavefront6targetE1EEEvT1_, .Lfunc_end189-_ZN7rocprim17ROCPRIM_400000_NS6detail17trampoline_kernelINS0_14default_configENS1_25transform_config_selectorIfLb0EEEZNS1_14transform_implILb0ES3_S5_NS0_18transform_iteratorINS0_17counting_iteratorImlEEZNS1_24adjacent_difference_implIS3_Lb1ELb0EPfSB_N6thrust23THRUST_200600_302600_NS4plusIfEEEE10hipError_tPvRmT2_T3_mT4_P12ihipStream_tbEUlmE_fEESB_NS0_8identityIvEEEESG_SJ_SK_mSL_SN_bEUlT_E_NS1_11comp_targetILNS1_3genE3ELNS1_11target_archE908ELNS1_3gpuE7ELNS1_3repE0EEENS1_30default_config_static_selectorELNS0_4arch9wavefront6targetE1EEEvT1_
                                        ; -- End function
	.section	.AMDGPU.csdata,"",@progbits
; Kernel info:
; codeLenInByte = 0
; NumSgprs: 4
; NumVgprs: 0
; NumAgprs: 0
; TotalNumVgprs: 0
; ScratchSize: 0
; MemoryBound: 0
; FloatMode: 240
; IeeeMode: 1
; LDSByteSize: 0 bytes/workgroup (compile time only)
; SGPRBlocks: 0
; VGPRBlocks: 0
; NumSGPRsForWavesPerEU: 4
; NumVGPRsForWavesPerEU: 1
; AccumOffset: 4
; Occupancy: 8
; WaveLimiterHint : 0
; COMPUTE_PGM_RSRC2:SCRATCH_EN: 0
; COMPUTE_PGM_RSRC2:USER_SGPR: 6
; COMPUTE_PGM_RSRC2:TRAP_HANDLER: 0
; COMPUTE_PGM_RSRC2:TGID_X_EN: 1
; COMPUTE_PGM_RSRC2:TGID_Y_EN: 0
; COMPUTE_PGM_RSRC2:TGID_Z_EN: 0
; COMPUTE_PGM_RSRC2:TIDIG_COMP_CNT: 0
; COMPUTE_PGM_RSRC3_GFX90A:ACCUM_OFFSET: 0
; COMPUTE_PGM_RSRC3_GFX90A:TG_SPLIT: 0
	.section	.text._ZN7rocprim17ROCPRIM_400000_NS6detail17trampoline_kernelINS0_14default_configENS1_25transform_config_selectorIfLb0EEEZNS1_14transform_implILb0ES3_S5_NS0_18transform_iteratorINS0_17counting_iteratorImlEEZNS1_24adjacent_difference_implIS3_Lb1ELb0EPfSB_N6thrust23THRUST_200600_302600_NS4plusIfEEEE10hipError_tPvRmT2_T3_mT4_P12ihipStream_tbEUlmE_fEESB_NS0_8identityIvEEEESG_SJ_SK_mSL_SN_bEUlT_E_NS1_11comp_targetILNS1_3genE2ELNS1_11target_archE906ELNS1_3gpuE6ELNS1_3repE0EEENS1_30default_config_static_selectorELNS0_4arch9wavefront6targetE1EEEvT1_,"axG",@progbits,_ZN7rocprim17ROCPRIM_400000_NS6detail17trampoline_kernelINS0_14default_configENS1_25transform_config_selectorIfLb0EEEZNS1_14transform_implILb0ES3_S5_NS0_18transform_iteratorINS0_17counting_iteratorImlEEZNS1_24adjacent_difference_implIS3_Lb1ELb0EPfSB_N6thrust23THRUST_200600_302600_NS4plusIfEEEE10hipError_tPvRmT2_T3_mT4_P12ihipStream_tbEUlmE_fEESB_NS0_8identityIvEEEESG_SJ_SK_mSL_SN_bEUlT_E_NS1_11comp_targetILNS1_3genE2ELNS1_11target_archE906ELNS1_3gpuE6ELNS1_3repE0EEENS1_30default_config_static_selectorELNS0_4arch9wavefront6targetE1EEEvT1_,comdat
	.protected	_ZN7rocprim17ROCPRIM_400000_NS6detail17trampoline_kernelINS0_14default_configENS1_25transform_config_selectorIfLb0EEEZNS1_14transform_implILb0ES3_S5_NS0_18transform_iteratorINS0_17counting_iteratorImlEEZNS1_24adjacent_difference_implIS3_Lb1ELb0EPfSB_N6thrust23THRUST_200600_302600_NS4plusIfEEEE10hipError_tPvRmT2_T3_mT4_P12ihipStream_tbEUlmE_fEESB_NS0_8identityIvEEEESG_SJ_SK_mSL_SN_bEUlT_E_NS1_11comp_targetILNS1_3genE2ELNS1_11target_archE906ELNS1_3gpuE6ELNS1_3repE0EEENS1_30default_config_static_selectorELNS0_4arch9wavefront6targetE1EEEvT1_ ; -- Begin function _ZN7rocprim17ROCPRIM_400000_NS6detail17trampoline_kernelINS0_14default_configENS1_25transform_config_selectorIfLb0EEEZNS1_14transform_implILb0ES3_S5_NS0_18transform_iteratorINS0_17counting_iteratorImlEEZNS1_24adjacent_difference_implIS3_Lb1ELb0EPfSB_N6thrust23THRUST_200600_302600_NS4plusIfEEEE10hipError_tPvRmT2_T3_mT4_P12ihipStream_tbEUlmE_fEESB_NS0_8identityIvEEEESG_SJ_SK_mSL_SN_bEUlT_E_NS1_11comp_targetILNS1_3genE2ELNS1_11target_archE906ELNS1_3gpuE6ELNS1_3repE0EEENS1_30default_config_static_selectorELNS0_4arch9wavefront6targetE1EEEvT1_
	.globl	_ZN7rocprim17ROCPRIM_400000_NS6detail17trampoline_kernelINS0_14default_configENS1_25transform_config_selectorIfLb0EEEZNS1_14transform_implILb0ES3_S5_NS0_18transform_iteratorINS0_17counting_iteratorImlEEZNS1_24adjacent_difference_implIS3_Lb1ELb0EPfSB_N6thrust23THRUST_200600_302600_NS4plusIfEEEE10hipError_tPvRmT2_T3_mT4_P12ihipStream_tbEUlmE_fEESB_NS0_8identityIvEEEESG_SJ_SK_mSL_SN_bEUlT_E_NS1_11comp_targetILNS1_3genE2ELNS1_11target_archE906ELNS1_3gpuE6ELNS1_3repE0EEENS1_30default_config_static_selectorELNS0_4arch9wavefront6targetE1EEEvT1_
	.p2align	8
	.type	_ZN7rocprim17ROCPRIM_400000_NS6detail17trampoline_kernelINS0_14default_configENS1_25transform_config_selectorIfLb0EEEZNS1_14transform_implILb0ES3_S5_NS0_18transform_iteratorINS0_17counting_iteratorImlEEZNS1_24adjacent_difference_implIS3_Lb1ELb0EPfSB_N6thrust23THRUST_200600_302600_NS4plusIfEEEE10hipError_tPvRmT2_T3_mT4_P12ihipStream_tbEUlmE_fEESB_NS0_8identityIvEEEESG_SJ_SK_mSL_SN_bEUlT_E_NS1_11comp_targetILNS1_3genE2ELNS1_11target_archE906ELNS1_3gpuE6ELNS1_3repE0EEENS1_30default_config_static_selectorELNS0_4arch9wavefront6targetE1EEEvT1_,@function
_ZN7rocprim17ROCPRIM_400000_NS6detail17trampoline_kernelINS0_14default_configENS1_25transform_config_selectorIfLb0EEEZNS1_14transform_implILb0ES3_S5_NS0_18transform_iteratorINS0_17counting_iteratorImlEEZNS1_24adjacent_difference_implIS3_Lb1ELb0EPfSB_N6thrust23THRUST_200600_302600_NS4plusIfEEEE10hipError_tPvRmT2_T3_mT4_P12ihipStream_tbEUlmE_fEESB_NS0_8identityIvEEEESG_SJ_SK_mSL_SN_bEUlT_E_NS1_11comp_targetILNS1_3genE2ELNS1_11target_archE906ELNS1_3gpuE6ELNS1_3repE0EEENS1_30default_config_static_selectorELNS0_4arch9wavefront6targetE1EEEvT1_: ; @_ZN7rocprim17ROCPRIM_400000_NS6detail17trampoline_kernelINS0_14default_configENS1_25transform_config_selectorIfLb0EEEZNS1_14transform_implILb0ES3_S5_NS0_18transform_iteratorINS0_17counting_iteratorImlEEZNS1_24adjacent_difference_implIS3_Lb1ELb0EPfSB_N6thrust23THRUST_200600_302600_NS4plusIfEEEE10hipError_tPvRmT2_T3_mT4_P12ihipStream_tbEUlmE_fEESB_NS0_8identityIvEEEESG_SJ_SK_mSL_SN_bEUlT_E_NS1_11comp_targetILNS1_3genE2ELNS1_11target_archE906ELNS1_3gpuE6ELNS1_3repE0EEENS1_30default_config_static_selectorELNS0_4arch9wavefront6targetE1EEEvT1_
; %bb.0:
	.section	.rodata,"a",@progbits
	.p2align	6, 0x0
	.amdhsa_kernel _ZN7rocprim17ROCPRIM_400000_NS6detail17trampoline_kernelINS0_14default_configENS1_25transform_config_selectorIfLb0EEEZNS1_14transform_implILb0ES3_S5_NS0_18transform_iteratorINS0_17counting_iteratorImlEEZNS1_24adjacent_difference_implIS3_Lb1ELb0EPfSB_N6thrust23THRUST_200600_302600_NS4plusIfEEEE10hipError_tPvRmT2_T3_mT4_P12ihipStream_tbEUlmE_fEESB_NS0_8identityIvEEEESG_SJ_SK_mSL_SN_bEUlT_E_NS1_11comp_targetILNS1_3genE2ELNS1_11target_archE906ELNS1_3gpuE6ELNS1_3repE0EEENS1_30default_config_static_selectorELNS0_4arch9wavefront6targetE1EEEvT1_
		.amdhsa_group_segment_fixed_size 0
		.amdhsa_private_segment_fixed_size 0
		.amdhsa_kernarg_size 56
		.amdhsa_user_sgpr_count 6
		.amdhsa_user_sgpr_private_segment_buffer 1
		.amdhsa_user_sgpr_dispatch_ptr 0
		.amdhsa_user_sgpr_queue_ptr 0
		.amdhsa_user_sgpr_kernarg_segment_ptr 1
		.amdhsa_user_sgpr_dispatch_id 0
		.amdhsa_user_sgpr_flat_scratch_init 0
		.amdhsa_user_sgpr_kernarg_preload_length 0
		.amdhsa_user_sgpr_kernarg_preload_offset 0
		.amdhsa_user_sgpr_private_segment_size 0
		.amdhsa_uses_dynamic_stack 0
		.amdhsa_system_sgpr_private_segment_wavefront_offset 0
		.amdhsa_system_sgpr_workgroup_id_x 1
		.amdhsa_system_sgpr_workgroup_id_y 0
		.amdhsa_system_sgpr_workgroup_id_z 0
		.amdhsa_system_sgpr_workgroup_info 0
		.amdhsa_system_vgpr_workitem_id 0
		.amdhsa_next_free_vgpr 1
		.amdhsa_next_free_sgpr 0
		.amdhsa_accum_offset 4
		.amdhsa_reserve_vcc 0
		.amdhsa_reserve_flat_scratch 0
		.amdhsa_float_round_mode_32 0
		.amdhsa_float_round_mode_16_64 0
		.amdhsa_float_denorm_mode_32 3
		.amdhsa_float_denorm_mode_16_64 3
		.amdhsa_dx10_clamp 1
		.amdhsa_ieee_mode 1
		.amdhsa_fp16_overflow 0
		.amdhsa_tg_split 0
		.amdhsa_exception_fp_ieee_invalid_op 0
		.amdhsa_exception_fp_denorm_src 0
		.amdhsa_exception_fp_ieee_div_zero 0
		.amdhsa_exception_fp_ieee_overflow 0
		.amdhsa_exception_fp_ieee_underflow 0
		.amdhsa_exception_fp_ieee_inexact 0
		.amdhsa_exception_int_div_zero 0
	.end_amdhsa_kernel
	.section	.text._ZN7rocprim17ROCPRIM_400000_NS6detail17trampoline_kernelINS0_14default_configENS1_25transform_config_selectorIfLb0EEEZNS1_14transform_implILb0ES3_S5_NS0_18transform_iteratorINS0_17counting_iteratorImlEEZNS1_24adjacent_difference_implIS3_Lb1ELb0EPfSB_N6thrust23THRUST_200600_302600_NS4plusIfEEEE10hipError_tPvRmT2_T3_mT4_P12ihipStream_tbEUlmE_fEESB_NS0_8identityIvEEEESG_SJ_SK_mSL_SN_bEUlT_E_NS1_11comp_targetILNS1_3genE2ELNS1_11target_archE906ELNS1_3gpuE6ELNS1_3repE0EEENS1_30default_config_static_selectorELNS0_4arch9wavefront6targetE1EEEvT1_,"axG",@progbits,_ZN7rocprim17ROCPRIM_400000_NS6detail17trampoline_kernelINS0_14default_configENS1_25transform_config_selectorIfLb0EEEZNS1_14transform_implILb0ES3_S5_NS0_18transform_iteratorINS0_17counting_iteratorImlEEZNS1_24adjacent_difference_implIS3_Lb1ELb0EPfSB_N6thrust23THRUST_200600_302600_NS4plusIfEEEE10hipError_tPvRmT2_T3_mT4_P12ihipStream_tbEUlmE_fEESB_NS0_8identityIvEEEESG_SJ_SK_mSL_SN_bEUlT_E_NS1_11comp_targetILNS1_3genE2ELNS1_11target_archE906ELNS1_3gpuE6ELNS1_3repE0EEENS1_30default_config_static_selectorELNS0_4arch9wavefront6targetE1EEEvT1_,comdat
.Lfunc_end190:
	.size	_ZN7rocprim17ROCPRIM_400000_NS6detail17trampoline_kernelINS0_14default_configENS1_25transform_config_selectorIfLb0EEEZNS1_14transform_implILb0ES3_S5_NS0_18transform_iteratorINS0_17counting_iteratorImlEEZNS1_24adjacent_difference_implIS3_Lb1ELb0EPfSB_N6thrust23THRUST_200600_302600_NS4plusIfEEEE10hipError_tPvRmT2_T3_mT4_P12ihipStream_tbEUlmE_fEESB_NS0_8identityIvEEEESG_SJ_SK_mSL_SN_bEUlT_E_NS1_11comp_targetILNS1_3genE2ELNS1_11target_archE906ELNS1_3gpuE6ELNS1_3repE0EEENS1_30default_config_static_selectorELNS0_4arch9wavefront6targetE1EEEvT1_, .Lfunc_end190-_ZN7rocprim17ROCPRIM_400000_NS6detail17trampoline_kernelINS0_14default_configENS1_25transform_config_selectorIfLb0EEEZNS1_14transform_implILb0ES3_S5_NS0_18transform_iteratorINS0_17counting_iteratorImlEEZNS1_24adjacent_difference_implIS3_Lb1ELb0EPfSB_N6thrust23THRUST_200600_302600_NS4plusIfEEEE10hipError_tPvRmT2_T3_mT4_P12ihipStream_tbEUlmE_fEESB_NS0_8identityIvEEEESG_SJ_SK_mSL_SN_bEUlT_E_NS1_11comp_targetILNS1_3genE2ELNS1_11target_archE906ELNS1_3gpuE6ELNS1_3repE0EEENS1_30default_config_static_selectorELNS0_4arch9wavefront6targetE1EEEvT1_
                                        ; -- End function
	.section	.AMDGPU.csdata,"",@progbits
; Kernel info:
; codeLenInByte = 0
; NumSgprs: 4
; NumVgprs: 0
; NumAgprs: 0
; TotalNumVgprs: 0
; ScratchSize: 0
; MemoryBound: 0
; FloatMode: 240
; IeeeMode: 1
; LDSByteSize: 0 bytes/workgroup (compile time only)
; SGPRBlocks: 0
; VGPRBlocks: 0
; NumSGPRsForWavesPerEU: 4
; NumVGPRsForWavesPerEU: 1
; AccumOffset: 4
; Occupancy: 8
; WaveLimiterHint : 0
; COMPUTE_PGM_RSRC2:SCRATCH_EN: 0
; COMPUTE_PGM_RSRC2:USER_SGPR: 6
; COMPUTE_PGM_RSRC2:TRAP_HANDLER: 0
; COMPUTE_PGM_RSRC2:TGID_X_EN: 1
; COMPUTE_PGM_RSRC2:TGID_Y_EN: 0
; COMPUTE_PGM_RSRC2:TGID_Z_EN: 0
; COMPUTE_PGM_RSRC2:TIDIG_COMP_CNT: 0
; COMPUTE_PGM_RSRC3_GFX90A:ACCUM_OFFSET: 0
; COMPUTE_PGM_RSRC3_GFX90A:TG_SPLIT: 0
	.section	.text._ZN7rocprim17ROCPRIM_400000_NS6detail17trampoline_kernelINS0_14default_configENS1_25transform_config_selectorIfLb0EEEZNS1_14transform_implILb0ES3_S5_NS0_18transform_iteratorINS0_17counting_iteratorImlEEZNS1_24adjacent_difference_implIS3_Lb1ELb0EPfSB_N6thrust23THRUST_200600_302600_NS4plusIfEEEE10hipError_tPvRmT2_T3_mT4_P12ihipStream_tbEUlmE_fEESB_NS0_8identityIvEEEESG_SJ_SK_mSL_SN_bEUlT_E_NS1_11comp_targetILNS1_3genE10ELNS1_11target_archE1201ELNS1_3gpuE5ELNS1_3repE0EEENS1_30default_config_static_selectorELNS0_4arch9wavefront6targetE1EEEvT1_,"axG",@progbits,_ZN7rocprim17ROCPRIM_400000_NS6detail17trampoline_kernelINS0_14default_configENS1_25transform_config_selectorIfLb0EEEZNS1_14transform_implILb0ES3_S5_NS0_18transform_iteratorINS0_17counting_iteratorImlEEZNS1_24adjacent_difference_implIS3_Lb1ELb0EPfSB_N6thrust23THRUST_200600_302600_NS4plusIfEEEE10hipError_tPvRmT2_T3_mT4_P12ihipStream_tbEUlmE_fEESB_NS0_8identityIvEEEESG_SJ_SK_mSL_SN_bEUlT_E_NS1_11comp_targetILNS1_3genE10ELNS1_11target_archE1201ELNS1_3gpuE5ELNS1_3repE0EEENS1_30default_config_static_selectorELNS0_4arch9wavefront6targetE1EEEvT1_,comdat
	.protected	_ZN7rocprim17ROCPRIM_400000_NS6detail17trampoline_kernelINS0_14default_configENS1_25transform_config_selectorIfLb0EEEZNS1_14transform_implILb0ES3_S5_NS0_18transform_iteratorINS0_17counting_iteratorImlEEZNS1_24adjacent_difference_implIS3_Lb1ELb0EPfSB_N6thrust23THRUST_200600_302600_NS4plusIfEEEE10hipError_tPvRmT2_T3_mT4_P12ihipStream_tbEUlmE_fEESB_NS0_8identityIvEEEESG_SJ_SK_mSL_SN_bEUlT_E_NS1_11comp_targetILNS1_3genE10ELNS1_11target_archE1201ELNS1_3gpuE5ELNS1_3repE0EEENS1_30default_config_static_selectorELNS0_4arch9wavefront6targetE1EEEvT1_ ; -- Begin function _ZN7rocprim17ROCPRIM_400000_NS6detail17trampoline_kernelINS0_14default_configENS1_25transform_config_selectorIfLb0EEEZNS1_14transform_implILb0ES3_S5_NS0_18transform_iteratorINS0_17counting_iteratorImlEEZNS1_24adjacent_difference_implIS3_Lb1ELb0EPfSB_N6thrust23THRUST_200600_302600_NS4plusIfEEEE10hipError_tPvRmT2_T3_mT4_P12ihipStream_tbEUlmE_fEESB_NS0_8identityIvEEEESG_SJ_SK_mSL_SN_bEUlT_E_NS1_11comp_targetILNS1_3genE10ELNS1_11target_archE1201ELNS1_3gpuE5ELNS1_3repE0EEENS1_30default_config_static_selectorELNS0_4arch9wavefront6targetE1EEEvT1_
	.globl	_ZN7rocprim17ROCPRIM_400000_NS6detail17trampoline_kernelINS0_14default_configENS1_25transform_config_selectorIfLb0EEEZNS1_14transform_implILb0ES3_S5_NS0_18transform_iteratorINS0_17counting_iteratorImlEEZNS1_24adjacent_difference_implIS3_Lb1ELb0EPfSB_N6thrust23THRUST_200600_302600_NS4plusIfEEEE10hipError_tPvRmT2_T3_mT4_P12ihipStream_tbEUlmE_fEESB_NS0_8identityIvEEEESG_SJ_SK_mSL_SN_bEUlT_E_NS1_11comp_targetILNS1_3genE10ELNS1_11target_archE1201ELNS1_3gpuE5ELNS1_3repE0EEENS1_30default_config_static_selectorELNS0_4arch9wavefront6targetE1EEEvT1_
	.p2align	8
	.type	_ZN7rocprim17ROCPRIM_400000_NS6detail17trampoline_kernelINS0_14default_configENS1_25transform_config_selectorIfLb0EEEZNS1_14transform_implILb0ES3_S5_NS0_18transform_iteratorINS0_17counting_iteratorImlEEZNS1_24adjacent_difference_implIS3_Lb1ELb0EPfSB_N6thrust23THRUST_200600_302600_NS4plusIfEEEE10hipError_tPvRmT2_T3_mT4_P12ihipStream_tbEUlmE_fEESB_NS0_8identityIvEEEESG_SJ_SK_mSL_SN_bEUlT_E_NS1_11comp_targetILNS1_3genE10ELNS1_11target_archE1201ELNS1_3gpuE5ELNS1_3repE0EEENS1_30default_config_static_selectorELNS0_4arch9wavefront6targetE1EEEvT1_,@function
_ZN7rocprim17ROCPRIM_400000_NS6detail17trampoline_kernelINS0_14default_configENS1_25transform_config_selectorIfLb0EEEZNS1_14transform_implILb0ES3_S5_NS0_18transform_iteratorINS0_17counting_iteratorImlEEZNS1_24adjacent_difference_implIS3_Lb1ELb0EPfSB_N6thrust23THRUST_200600_302600_NS4plusIfEEEE10hipError_tPvRmT2_T3_mT4_P12ihipStream_tbEUlmE_fEESB_NS0_8identityIvEEEESG_SJ_SK_mSL_SN_bEUlT_E_NS1_11comp_targetILNS1_3genE10ELNS1_11target_archE1201ELNS1_3gpuE5ELNS1_3repE0EEENS1_30default_config_static_selectorELNS0_4arch9wavefront6targetE1EEEvT1_: ; @_ZN7rocprim17ROCPRIM_400000_NS6detail17trampoline_kernelINS0_14default_configENS1_25transform_config_selectorIfLb0EEEZNS1_14transform_implILb0ES3_S5_NS0_18transform_iteratorINS0_17counting_iteratorImlEEZNS1_24adjacent_difference_implIS3_Lb1ELb0EPfSB_N6thrust23THRUST_200600_302600_NS4plusIfEEEE10hipError_tPvRmT2_T3_mT4_P12ihipStream_tbEUlmE_fEESB_NS0_8identityIvEEEESG_SJ_SK_mSL_SN_bEUlT_E_NS1_11comp_targetILNS1_3genE10ELNS1_11target_archE1201ELNS1_3gpuE5ELNS1_3repE0EEENS1_30default_config_static_selectorELNS0_4arch9wavefront6targetE1EEEvT1_
; %bb.0:
	.section	.rodata,"a",@progbits
	.p2align	6, 0x0
	.amdhsa_kernel _ZN7rocprim17ROCPRIM_400000_NS6detail17trampoline_kernelINS0_14default_configENS1_25transform_config_selectorIfLb0EEEZNS1_14transform_implILb0ES3_S5_NS0_18transform_iteratorINS0_17counting_iteratorImlEEZNS1_24adjacent_difference_implIS3_Lb1ELb0EPfSB_N6thrust23THRUST_200600_302600_NS4plusIfEEEE10hipError_tPvRmT2_T3_mT4_P12ihipStream_tbEUlmE_fEESB_NS0_8identityIvEEEESG_SJ_SK_mSL_SN_bEUlT_E_NS1_11comp_targetILNS1_3genE10ELNS1_11target_archE1201ELNS1_3gpuE5ELNS1_3repE0EEENS1_30default_config_static_selectorELNS0_4arch9wavefront6targetE1EEEvT1_
		.amdhsa_group_segment_fixed_size 0
		.amdhsa_private_segment_fixed_size 0
		.amdhsa_kernarg_size 56
		.amdhsa_user_sgpr_count 6
		.amdhsa_user_sgpr_private_segment_buffer 1
		.amdhsa_user_sgpr_dispatch_ptr 0
		.amdhsa_user_sgpr_queue_ptr 0
		.amdhsa_user_sgpr_kernarg_segment_ptr 1
		.amdhsa_user_sgpr_dispatch_id 0
		.amdhsa_user_sgpr_flat_scratch_init 0
		.amdhsa_user_sgpr_kernarg_preload_length 0
		.amdhsa_user_sgpr_kernarg_preload_offset 0
		.amdhsa_user_sgpr_private_segment_size 0
		.amdhsa_uses_dynamic_stack 0
		.amdhsa_system_sgpr_private_segment_wavefront_offset 0
		.amdhsa_system_sgpr_workgroup_id_x 1
		.amdhsa_system_sgpr_workgroup_id_y 0
		.amdhsa_system_sgpr_workgroup_id_z 0
		.amdhsa_system_sgpr_workgroup_info 0
		.amdhsa_system_vgpr_workitem_id 0
		.amdhsa_next_free_vgpr 1
		.amdhsa_next_free_sgpr 0
		.amdhsa_accum_offset 4
		.amdhsa_reserve_vcc 0
		.amdhsa_reserve_flat_scratch 0
		.amdhsa_float_round_mode_32 0
		.amdhsa_float_round_mode_16_64 0
		.amdhsa_float_denorm_mode_32 3
		.amdhsa_float_denorm_mode_16_64 3
		.amdhsa_dx10_clamp 1
		.amdhsa_ieee_mode 1
		.amdhsa_fp16_overflow 0
		.amdhsa_tg_split 0
		.amdhsa_exception_fp_ieee_invalid_op 0
		.amdhsa_exception_fp_denorm_src 0
		.amdhsa_exception_fp_ieee_div_zero 0
		.amdhsa_exception_fp_ieee_overflow 0
		.amdhsa_exception_fp_ieee_underflow 0
		.amdhsa_exception_fp_ieee_inexact 0
		.amdhsa_exception_int_div_zero 0
	.end_amdhsa_kernel
	.section	.text._ZN7rocprim17ROCPRIM_400000_NS6detail17trampoline_kernelINS0_14default_configENS1_25transform_config_selectorIfLb0EEEZNS1_14transform_implILb0ES3_S5_NS0_18transform_iteratorINS0_17counting_iteratorImlEEZNS1_24adjacent_difference_implIS3_Lb1ELb0EPfSB_N6thrust23THRUST_200600_302600_NS4plusIfEEEE10hipError_tPvRmT2_T3_mT4_P12ihipStream_tbEUlmE_fEESB_NS0_8identityIvEEEESG_SJ_SK_mSL_SN_bEUlT_E_NS1_11comp_targetILNS1_3genE10ELNS1_11target_archE1201ELNS1_3gpuE5ELNS1_3repE0EEENS1_30default_config_static_selectorELNS0_4arch9wavefront6targetE1EEEvT1_,"axG",@progbits,_ZN7rocprim17ROCPRIM_400000_NS6detail17trampoline_kernelINS0_14default_configENS1_25transform_config_selectorIfLb0EEEZNS1_14transform_implILb0ES3_S5_NS0_18transform_iteratorINS0_17counting_iteratorImlEEZNS1_24adjacent_difference_implIS3_Lb1ELb0EPfSB_N6thrust23THRUST_200600_302600_NS4plusIfEEEE10hipError_tPvRmT2_T3_mT4_P12ihipStream_tbEUlmE_fEESB_NS0_8identityIvEEEESG_SJ_SK_mSL_SN_bEUlT_E_NS1_11comp_targetILNS1_3genE10ELNS1_11target_archE1201ELNS1_3gpuE5ELNS1_3repE0EEENS1_30default_config_static_selectorELNS0_4arch9wavefront6targetE1EEEvT1_,comdat
.Lfunc_end191:
	.size	_ZN7rocprim17ROCPRIM_400000_NS6detail17trampoline_kernelINS0_14default_configENS1_25transform_config_selectorIfLb0EEEZNS1_14transform_implILb0ES3_S5_NS0_18transform_iteratorINS0_17counting_iteratorImlEEZNS1_24adjacent_difference_implIS3_Lb1ELb0EPfSB_N6thrust23THRUST_200600_302600_NS4plusIfEEEE10hipError_tPvRmT2_T3_mT4_P12ihipStream_tbEUlmE_fEESB_NS0_8identityIvEEEESG_SJ_SK_mSL_SN_bEUlT_E_NS1_11comp_targetILNS1_3genE10ELNS1_11target_archE1201ELNS1_3gpuE5ELNS1_3repE0EEENS1_30default_config_static_selectorELNS0_4arch9wavefront6targetE1EEEvT1_, .Lfunc_end191-_ZN7rocprim17ROCPRIM_400000_NS6detail17trampoline_kernelINS0_14default_configENS1_25transform_config_selectorIfLb0EEEZNS1_14transform_implILb0ES3_S5_NS0_18transform_iteratorINS0_17counting_iteratorImlEEZNS1_24adjacent_difference_implIS3_Lb1ELb0EPfSB_N6thrust23THRUST_200600_302600_NS4plusIfEEEE10hipError_tPvRmT2_T3_mT4_P12ihipStream_tbEUlmE_fEESB_NS0_8identityIvEEEESG_SJ_SK_mSL_SN_bEUlT_E_NS1_11comp_targetILNS1_3genE10ELNS1_11target_archE1201ELNS1_3gpuE5ELNS1_3repE0EEENS1_30default_config_static_selectorELNS0_4arch9wavefront6targetE1EEEvT1_
                                        ; -- End function
	.section	.AMDGPU.csdata,"",@progbits
; Kernel info:
; codeLenInByte = 0
; NumSgprs: 4
; NumVgprs: 0
; NumAgprs: 0
; TotalNumVgprs: 0
; ScratchSize: 0
; MemoryBound: 0
; FloatMode: 240
; IeeeMode: 1
; LDSByteSize: 0 bytes/workgroup (compile time only)
; SGPRBlocks: 0
; VGPRBlocks: 0
; NumSGPRsForWavesPerEU: 4
; NumVGPRsForWavesPerEU: 1
; AccumOffset: 4
; Occupancy: 8
; WaveLimiterHint : 0
; COMPUTE_PGM_RSRC2:SCRATCH_EN: 0
; COMPUTE_PGM_RSRC2:USER_SGPR: 6
; COMPUTE_PGM_RSRC2:TRAP_HANDLER: 0
; COMPUTE_PGM_RSRC2:TGID_X_EN: 1
; COMPUTE_PGM_RSRC2:TGID_Y_EN: 0
; COMPUTE_PGM_RSRC2:TGID_Z_EN: 0
; COMPUTE_PGM_RSRC2:TIDIG_COMP_CNT: 0
; COMPUTE_PGM_RSRC3_GFX90A:ACCUM_OFFSET: 0
; COMPUTE_PGM_RSRC3_GFX90A:TG_SPLIT: 0
	.section	.text._ZN7rocprim17ROCPRIM_400000_NS6detail17trampoline_kernelINS0_14default_configENS1_25transform_config_selectorIfLb0EEEZNS1_14transform_implILb0ES3_S5_NS0_18transform_iteratorINS0_17counting_iteratorImlEEZNS1_24adjacent_difference_implIS3_Lb1ELb0EPfSB_N6thrust23THRUST_200600_302600_NS4plusIfEEEE10hipError_tPvRmT2_T3_mT4_P12ihipStream_tbEUlmE_fEESB_NS0_8identityIvEEEESG_SJ_SK_mSL_SN_bEUlT_E_NS1_11comp_targetILNS1_3genE10ELNS1_11target_archE1200ELNS1_3gpuE4ELNS1_3repE0EEENS1_30default_config_static_selectorELNS0_4arch9wavefront6targetE1EEEvT1_,"axG",@progbits,_ZN7rocprim17ROCPRIM_400000_NS6detail17trampoline_kernelINS0_14default_configENS1_25transform_config_selectorIfLb0EEEZNS1_14transform_implILb0ES3_S5_NS0_18transform_iteratorINS0_17counting_iteratorImlEEZNS1_24adjacent_difference_implIS3_Lb1ELb0EPfSB_N6thrust23THRUST_200600_302600_NS4plusIfEEEE10hipError_tPvRmT2_T3_mT4_P12ihipStream_tbEUlmE_fEESB_NS0_8identityIvEEEESG_SJ_SK_mSL_SN_bEUlT_E_NS1_11comp_targetILNS1_3genE10ELNS1_11target_archE1200ELNS1_3gpuE4ELNS1_3repE0EEENS1_30default_config_static_selectorELNS0_4arch9wavefront6targetE1EEEvT1_,comdat
	.protected	_ZN7rocprim17ROCPRIM_400000_NS6detail17trampoline_kernelINS0_14default_configENS1_25transform_config_selectorIfLb0EEEZNS1_14transform_implILb0ES3_S5_NS0_18transform_iteratorINS0_17counting_iteratorImlEEZNS1_24adjacent_difference_implIS3_Lb1ELb0EPfSB_N6thrust23THRUST_200600_302600_NS4plusIfEEEE10hipError_tPvRmT2_T3_mT4_P12ihipStream_tbEUlmE_fEESB_NS0_8identityIvEEEESG_SJ_SK_mSL_SN_bEUlT_E_NS1_11comp_targetILNS1_3genE10ELNS1_11target_archE1200ELNS1_3gpuE4ELNS1_3repE0EEENS1_30default_config_static_selectorELNS0_4arch9wavefront6targetE1EEEvT1_ ; -- Begin function _ZN7rocprim17ROCPRIM_400000_NS6detail17trampoline_kernelINS0_14default_configENS1_25transform_config_selectorIfLb0EEEZNS1_14transform_implILb0ES3_S5_NS0_18transform_iteratorINS0_17counting_iteratorImlEEZNS1_24adjacent_difference_implIS3_Lb1ELb0EPfSB_N6thrust23THRUST_200600_302600_NS4plusIfEEEE10hipError_tPvRmT2_T3_mT4_P12ihipStream_tbEUlmE_fEESB_NS0_8identityIvEEEESG_SJ_SK_mSL_SN_bEUlT_E_NS1_11comp_targetILNS1_3genE10ELNS1_11target_archE1200ELNS1_3gpuE4ELNS1_3repE0EEENS1_30default_config_static_selectorELNS0_4arch9wavefront6targetE1EEEvT1_
	.globl	_ZN7rocprim17ROCPRIM_400000_NS6detail17trampoline_kernelINS0_14default_configENS1_25transform_config_selectorIfLb0EEEZNS1_14transform_implILb0ES3_S5_NS0_18transform_iteratorINS0_17counting_iteratorImlEEZNS1_24adjacent_difference_implIS3_Lb1ELb0EPfSB_N6thrust23THRUST_200600_302600_NS4plusIfEEEE10hipError_tPvRmT2_T3_mT4_P12ihipStream_tbEUlmE_fEESB_NS0_8identityIvEEEESG_SJ_SK_mSL_SN_bEUlT_E_NS1_11comp_targetILNS1_3genE10ELNS1_11target_archE1200ELNS1_3gpuE4ELNS1_3repE0EEENS1_30default_config_static_selectorELNS0_4arch9wavefront6targetE1EEEvT1_
	.p2align	8
	.type	_ZN7rocprim17ROCPRIM_400000_NS6detail17trampoline_kernelINS0_14default_configENS1_25transform_config_selectorIfLb0EEEZNS1_14transform_implILb0ES3_S5_NS0_18transform_iteratorINS0_17counting_iteratorImlEEZNS1_24adjacent_difference_implIS3_Lb1ELb0EPfSB_N6thrust23THRUST_200600_302600_NS4plusIfEEEE10hipError_tPvRmT2_T3_mT4_P12ihipStream_tbEUlmE_fEESB_NS0_8identityIvEEEESG_SJ_SK_mSL_SN_bEUlT_E_NS1_11comp_targetILNS1_3genE10ELNS1_11target_archE1200ELNS1_3gpuE4ELNS1_3repE0EEENS1_30default_config_static_selectorELNS0_4arch9wavefront6targetE1EEEvT1_,@function
_ZN7rocprim17ROCPRIM_400000_NS6detail17trampoline_kernelINS0_14default_configENS1_25transform_config_selectorIfLb0EEEZNS1_14transform_implILb0ES3_S5_NS0_18transform_iteratorINS0_17counting_iteratorImlEEZNS1_24adjacent_difference_implIS3_Lb1ELb0EPfSB_N6thrust23THRUST_200600_302600_NS4plusIfEEEE10hipError_tPvRmT2_T3_mT4_P12ihipStream_tbEUlmE_fEESB_NS0_8identityIvEEEESG_SJ_SK_mSL_SN_bEUlT_E_NS1_11comp_targetILNS1_3genE10ELNS1_11target_archE1200ELNS1_3gpuE4ELNS1_3repE0EEENS1_30default_config_static_selectorELNS0_4arch9wavefront6targetE1EEEvT1_: ; @_ZN7rocprim17ROCPRIM_400000_NS6detail17trampoline_kernelINS0_14default_configENS1_25transform_config_selectorIfLb0EEEZNS1_14transform_implILb0ES3_S5_NS0_18transform_iteratorINS0_17counting_iteratorImlEEZNS1_24adjacent_difference_implIS3_Lb1ELb0EPfSB_N6thrust23THRUST_200600_302600_NS4plusIfEEEE10hipError_tPvRmT2_T3_mT4_P12ihipStream_tbEUlmE_fEESB_NS0_8identityIvEEEESG_SJ_SK_mSL_SN_bEUlT_E_NS1_11comp_targetILNS1_3genE10ELNS1_11target_archE1200ELNS1_3gpuE4ELNS1_3repE0EEENS1_30default_config_static_selectorELNS0_4arch9wavefront6targetE1EEEvT1_
; %bb.0:
	.section	.rodata,"a",@progbits
	.p2align	6, 0x0
	.amdhsa_kernel _ZN7rocprim17ROCPRIM_400000_NS6detail17trampoline_kernelINS0_14default_configENS1_25transform_config_selectorIfLb0EEEZNS1_14transform_implILb0ES3_S5_NS0_18transform_iteratorINS0_17counting_iteratorImlEEZNS1_24adjacent_difference_implIS3_Lb1ELb0EPfSB_N6thrust23THRUST_200600_302600_NS4plusIfEEEE10hipError_tPvRmT2_T3_mT4_P12ihipStream_tbEUlmE_fEESB_NS0_8identityIvEEEESG_SJ_SK_mSL_SN_bEUlT_E_NS1_11comp_targetILNS1_3genE10ELNS1_11target_archE1200ELNS1_3gpuE4ELNS1_3repE0EEENS1_30default_config_static_selectorELNS0_4arch9wavefront6targetE1EEEvT1_
		.amdhsa_group_segment_fixed_size 0
		.amdhsa_private_segment_fixed_size 0
		.amdhsa_kernarg_size 56
		.amdhsa_user_sgpr_count 6
		.amdhsa_user_sgpr_private_segment_buffer 1
		.amdhsa_user_sgpr_dispatch_ptr 0
		.amdhsa_user_sgpr_queue_ptr 0
		.amdhsa_user_sgpr_kernarg_segment_ptr 1
		.amdhsa_user_sgpr_dispatch_id 0
		.amdhsa_user_sgpr_flat_scratch_init 0
		.amdhsa_user_sgpr_kernarg_preload_length 0
		.amdhsa_user_sgpr_kernarg_preload_offset 0
		.amdhsa_user_sgpr_private_segment_size 0
		.amdhsa_uses_dynamic_stack 0
		.amdhsa_system_sgpr_private_segment_wavefront_offset 0
		.amdhsa_system_sgpr_workgroup_id_x 1
		.amdhsa_system_sgpr_workgroup_id_y 0
		.amdhsa_system_sgpr_workgroup_id_z 0
		.amdhsa_system_sgpr_workgroup_info 0
		.amdhsa_system_vgpr_workitem_id 0
		.amdhsa_next_free_vgpr 1
		.amdhsa_next_free_sgpr 0
		.amdhsa_accum_offset 4
		.amdhsa_reserve_vcc 0
		.amdhsa_reserve_flat_scratch 0
		.amdhsa_float_round_mode_32 0
		.amdhsa_float_round_mode_16_64 0
		.amdhsa_float_denorm_mode_32 3
		.amdhsa_float_denorm_mode_16_64 3
		.amdhsa_dx10_clamp 1
		.amdhsa_ieee_mode 1
		.amdhsa_fp16_overflow 0
		.amdhsa_tg_split 0
		.amdhsa_exception_fp_ieee_invalid_op 0
		.amdhsa_exception_fp_denorm_src 0
		.amdhsa_exception_fp_ieee_div_zero 0
		.amdhsa_exception_fp_ieee_overflow 0
		.amdhsa_exception_fp_ieee_underflow 0
		.amdhsa_exception_fp_ieee_inexact 0
		.amdhsa_exception_int_div_zero 0
	.end_amdhsa_kernel
	.section	.text._ZN7rocprim17ROCPRIM_400000_NS6detail17trampoline_kernelINS0_14default_configENS1_25transform_config_selectorIfLb0EEEZNS1_14transform_implILb0ES3_S5_NS0_18transform_iteratorINS0_17counting_iteratorImlEEZNS1_24adjacent_difference_implIS3_Lb1ELb0EPfSB_N6thrust23THRUST_200600_302600_NS4plusIfEEEE10hipError_tPvRmT2_T3_mT4_P12ihipStream_tbEUlmE_fEESB_NS0_8identityIvEEEESG_SJ_SK_mSL_SN_bEUlT_E_NS1_11comp_targetILNS1_3genE10ELNS1_11target_archE1200ELNS1_3gpuE4ELNS1_3repE0EEENS1_30default_config_static_selectorELNS0_4arch9wavefront6targetE1EEEvT1_,"axG",@progbits,_ZN7rocprim17ROCPRIM_400000_NS6detail17trampoline_kernelINS0_14default_configENS1_25transform_config_selectorIfLb0EEEZNS1_14transform_implILb0ES3_S5_NS0_18transform_iteratorINS0_17counting_iteratorImlEEZNS1_24adjacent_difference_implIS3_Lb1ELb0EPfSB_N6thrust23THRUST_200600_302600_NS4plusIfEEEE10hipError_tPvRmT2_T3_mT4_P12ihipStream_tbEUlmE_fEESB_NS0_8identityIvEEEESG_SJ_SK_mSL_SN_bEUlT_E_NS1_11comp_targetILNS1_3genE10ELNS1_11target_archE1200ELNS1_3gpuE4ELNS1_3repE0EEENS1_30default_config_static_selectorELNS0_4arch9wavefront6targetE1EEEvT1_,comdat
.Lfunc_end192:
	.size	_ZN7rocprim17ROCPRIM_400000_NS6detail17trampoline_kernelINS0_14default_configENS1_25transform_config_selectorIfLb0EEEZNS1_14transform_implILb0ES3_S5_NS0_18transform_iteratorINS0_17counting_iteratorImlEEZNS1_24adjacent_difference_implIS3_Lb1ELb0EPfSB_N6thrust23THRUST_200600_302600_NS4plusIfEEEE10hipError_tPvRmT2_T3_mT4_P12ihipStream_tbEUlmE_fEESB_NS0_8identityIvEEEESG_SJ_SK_mSL_SN_bEUlT_E_NS1_11comp_targetILNS1_3genE10ELNS1_11target_archE1200ELNS1_3gpuE4ELNS1_3repE0EEENS1_30default_config_static_selectorELNS0_4arch9wavefront6targetE1EEEvT1_, .Lfunc_end192-_ZN7rocprim17ROCPRIM_400000_NS6detail17trampoline_kernelINS0_14default_configENS1_25transform_config_selectorIfLb0EEEZNS1_14transform_implILb0ES3_S5_NS0_18transform_iteratorINS0_17counting_iteratorImlEEZNS1_24adjacent_difference_implIS3_Lb1ELb0EPfSB_N6thrust23THRUST_200600_302600_NS4plusIfEEEE10hipError_tPvRmT2_T3_mT4_P12ihipStream_tbEUlmE_fEESB_NS0_8identityIvEEEESG_SJ_SK_mSL_SN_bEUlT_E_NS1_11comp_targetILNS1_3genE10ELNS1_11target_archE1200ELNS1_3gpuE4ELNS1_3repE0EEENS1_30default_config_static_selectorELNS0_4arch9wavefront6targetE1EEEvT1_
                                        ; -- End function
	.section	.AMDGPU.csdata,"",@progbits
; Kernel info:
; codeLenInByte = 0
; NumSgprs: 4
; NumVgprs: 0
; NumAgprs: 0
; TotalNumVgprs: 0
; ScratchSize: 0
; MemoryBound: 0
; FloatMode: 240
; IeeeMode: 1
; LDSByteSize: 0 bytes/workgroup (compile time only)
; SGPRBlocks: 0
; VGPRBlocks: 0
; NumSGPRsForWavesPerEU: 4
; NumVGPRsForWavesPerEU: 1
; AccumOffset: 4
; Occupancy: 8
; WaveLimiterHint : 0
; COMPUTE_PGM_RSRC2:SCRATCH_EN: 0
; COMPUTE_PGM_RSRC2:USER_SGPR: 6
; COMPUTE_PGM_RSRC2:TRAP_HANDLER: 0
; COMPUTE_PGM_RSRC2:TGID_X_EN: 1
; COMPUTE_PGM_RSRC2:TGID_Y_EN: 0
; COMPUTE_PGM_RSRC2:TGID_Z_EN: 0
; COMPUTE_PGM_RSRC2:TIDIG_COMP_CNT: 0
; COMPUTE_PGM_RSRC3_GFX90A:ACCUM_OFFSET: 0
; COMPUTE_PGM_RSRC3_GFX90A:TG_SPLIT: 0
	.section	.text._ZN7rocprim17ROCPRIM_400000_NS6detail17trampoline_kernelINS0_14default_configENS1_25transform_config_selectorIfLb0EEEZNS1_14transform_implILb0ES3_S5_NS0_18transform_iteratorINS0_17counting_iteratorImlEEZNS1_24adjacent_difference_implIS3_Lb1ELb0EPfSB_N6thrust23THRUST_200600_302600_NS4plusIfEEEE10hipError_tPvRmT2_T3_mT4_P12ihipStream_tbEUlmE_fEESB_NS0_8identityIvEEEESG_SJ_SK_mSL_SN_bEUlT_E_NS1_11comp_targetILNS1_3genE9ELNS1_11target_archE1100ELNS1_3gpuE3ELNS1_3repE0EEENS1_30default_config_static_selectorELNS0_4arch9wavefront6targetE1EEEvT1_,"axG",@progbits,_ZN7rocprim17ROCPRIM_400000_NS6detail17trampoline_kernelINS0_14default_configENS1_25transform_config_selectorIfLb0EEEZNS1_14transform_implILb0ES3_S5_NS0_18transform_iteratorINS0_17counting_iteratorImlEEZNS1_24adjacent_difference_implIS3_Lb1ELb0EPfSB_N6thrust23THRUST_200600_302600_NS4plusIfEEEE10hipError_tPvRmT2_T3_mT4_P12ihipStream_tbEUlmE_fEESB_NS0_8identityIvEEEESG_SJ_SK_mSL_SN_bEUlT_E_NS1_11comp_targetILNS1_3genE9ELNS1_11target_archE1100ELNS1_3gpuE3ELNS1_3repE0EEENS1_30default_config_static_selectorELNS0_4arch9wavefront6targetE1EEEvT1_,comdat
	.protected	_ZN7rocprim17ROCPRIM_400000_NS6detail17trampoline_kernelINS0_14default_configENS1_25transform_config_selectorIfLb0EEEZNS1_14transform_implILb0ES3_S5_NS0_18transform_iteratorINS0_17counting_iteratorImlEEZNS1_24adjacent_difference_implIS3_Lb1ELb0EPfSB_N6thrust23THRUST_200600_302600_NS4plusIfEEEE10hipError_tPvRmT2_T3_mT4_P12ihipStream_tbEUlmE_fEESB_NS0_8identityIvEEEESG_SJ_SK_mSL_SN_bEUlT_E_NS1_11comp_targetILNS1_3genE9ELNS1_11target_archE1100ELNS1_3gpuE3ELNS1_3repE0EEENS1_30default_config_static_selectorELNS0_4arch9wavefront6targetE1EEEvT1_ ; -- Begin function _ZN7rocprim17ROCPRIM_400000_NS6detail17trampoline_kernelINS0_14default_configENS1_25transform_config_selectorIfLb0EEEZNS1_14transform_implILb0ES3_S5_NS0_18transform_iteratorINS0_17counting_iteratorImlEEZNS1_24adjacent_difference_implIS3_Lb1ELb0EPfSB_N6thrust23THRUST_200600_302600_NS4plusIfEEEE10hipError_tPvRmT2_T3_mT4_P12ihipStream_tbEUlmE_fEESB_NS0_8identityIvEEEESG_SJ_SK_mSL_SN_bEUlT_E_NS1_11comp_targetILNS1_3genE9ELNS1_11target_archE1100ELNS1_3gpuE3ELNS1_3repE0EEENS1_30default_config_static_selectorELNS0_4arch9wavefront6targetE1EEEvT1_
	.globl	_ZN7rocprim17ROCPRIM_400000_NS6detail17trampoline_kernelINS0_14default_configENS1_25transform_config_selectorIfLb0EEEZNS1_14transform_implILb0ES3_S5_NS0_18transform_iteratorINS0_17counting_iteratorImlEEZNS1_24adjacent_difference_implIS3_Lb1ELb0EPfSB_N6thrust23THRUST_200600_302600_NS4plusIfEEEE10hipError_tPvRmT2_T3_mT4_P12ihipStream_tbEUlmE_fEESB_NS0_8identityIvEEEESG_SJ_SK_mSL_SN_bEUlT_E_NS1_11comp_targetILNS1_3genE9ELNS1_11target_archE1100ELNS1_3gpuE3ELNS1_3repE0EEENS1_30default_config_static_selectorELNS0_4arch9wavefront6targetE1EEEvT1_
	.p2align	8
	.type	_ZN7rocprim17ROCPRIM_400000_NS6detail17trampoline_kernelINS0_14default_configENS1_25transform_config_selectorIfLb0EEEZNS1_14transform_implILb0ES3_S5_NS0_18transform_iteratorINS0_17counting_iteratorImlEEZNS1_24adjacent_difference_implIS3_Lb1ELb0EPfSB_N6thrust23THRUST_200600_302600_NS4plusIfEEEE10hipError_tPvRmT2_T3_mT4_P12ihipStream_tbEUlmE_fEESB_NS0_8identityIvEEEESG_SJ_SK_mSL_SN_bEUlT_E_NS1_11comp_targetILNS1_3genE9ELNS1_11target_archE1100ELNS1_3gpuE3ELNS1_3repE0EEENS1_30default_config_static_selectorELNS0_4arch9wavefront6targetE1EEEvT1_,@function
_ZN7rocprim17ROCPRIM_400000_NS6detail17trampoline_kernelINS0_14default_configENS1_25transform_config_selectorIfLb0EEEZNS1_14transform_implILb0ES3_S5_NS0_18transform_iteratorINS0_17counting_iteratorImlEEZNS1_24adjacent_difference_implIS3_Lb1ELb0EPfSB_N6thrust23THRUST_200600_302600_NS4plusIfEEEE10hipError_tPvRmT2_T3_mT4_P12ihipStream_tbEUlmE_fEESB_NS0_8identityIvEEEESG_SJ_SK_mSL_SN_bEUlT_E_NS1_11comp_targetILNS1_3genE9ELNS1_11target_archE1100ELNS1_3gpuE3ELNS1_3repE0EEENS1_30default_config_static_selectorELNS0_4arch9wavefront6targetE1EEEvT1_: ; @_ZN7rocprim17ROCPRIM_400000_NS6detail17trampoline_kernelINS0_14default_configENS1_25transform_config_selectorIfLb0EEEZNS1_14transform_implILb0ES3_S5_NS0_18transform_iteratorINS0_17counting_iteratorImlEEZNS1_24adjacent_difference_implIS3_Lb1ELb0EPfSB_N6thrust23THRUST_200600_302600_NS4plusIfEEEE10hipError_tPvRmT2_T3_mT4_P12ihipStream_tbEUlmE_fEESB_NS0_8identityIvEEEESG_SJ_SK_mSL_SN_bEUlT_E_NS1_11comp_targetILNS1_3genE9ELNS1_11target_archE1100ELNS1_3gpuE3ELNS1_3repE0EEENS1_30default_config_static_selectorELNS0_4arch9wavefront6targetE1EEEvT1_
; %bb.0:
	.section	.rodata,"a",@progbits
	.p2align	6, 0x0
	.amdhsa_kernel _ZN7rocprim17ROCPRIM_400000_NS6detail17trampoline_kernelINS0_14default_configENS1_25transform_config_selectorIfLb0EEEZNS1_14transform_implILb0ES3_S5_NS0_18transform_iteratorINS0_17counting_iteratorImlEEZNS1_24adjacent_difference_implIS3_Lb1ELb0EPfSB_N6thrust23THRUST_200600_302600_NS4plusIfEEEE10hipError_tPvRmT2_T3_mT4_P12ihipStream_tbEUlmE_fEESB_NS0_8identityIvEEEESG_SJ_SK_mSL_SN_bEUlT_E_NS1_11comp_targetILNS1_3genE9ELNS1_11target_archE1100ELNS1_3gpuE3ELNS1_3repE0EEENS1_30default_config_static_selectorELNS0_4arch9wavefront6targetE1EEEvT1_
		.amdhsa_group_segment_fixed_size 0
		.amdhsa_private_segment_fixed_size 0
		.amdhsa_kernarg_size 56
		.amdhsa_user_sgpr_count 6
		.amdhsa_user_sgpr_private_segment_buffer 1
		.amdhsa_user_sgpr_dispatch_ptr 0
		.amdhsa_user_sgpr_queue_ptr 0
		.amdhsa_user_sgpr_kernarg_segment_ptr 1
		.amdhsa_user_sgpr_dispatch_id 0
		.amdhsa_user_sgpr_flat_scratch_init 0
		.amdhsa_user_sgpr_kernarg_preload_length 0
		.amdhsa_user_sgpr_kernarg_preload_offset 0
		.amdhsa_user_sgpr_private_segment_size 0
		.amdhsa_uses_dynamic_stack 0
		.amdhsa_system_sgpr_private_segment_wavefront_offset 0
		.amdhsa_system_sgpr_workgroup_id_x 1
		.amdhsa_system_sgpr_workgroup_id_y 0
		.amdhsa_system_sgpr_workgroup_id_z 0
		.amdhsa_system_sgpr_workgroup_info 0
		.amdhsa_system_vgpr_workitem_id 0
		.amdhsa_next_free_vgpr 1
		.amdhsa_next_free_sgpr 0
		.amdhsa_accum_offset 4
		.amdhsa_reserve_vcc 0
		.amdhsa_reserve_flat_scratch 0
		.amdhsa_float_round_mode_32 0
		.amdhsa_float_round_mode_16_64 0
		.amdhsa_float_denorm_mode_32 3
		.amdhsa_float_denorm_mode_16_64 3
		.amdhsa_dx10_clamp 1
		.amdhsa_ieee_mode 1
		.amdhsa_fp16_overflow 0
		.amdhsa_tg_split 0
		.amdhsa_exception_fp_ieee_invalid_op 0
		.amdhsa_exception_fp_denorm_src 0
		.amdhsa_exception_fp_ieee_div_zero 0
		.amdhsa_exception_fp_ieee_overflow 0
		.amdhsa_exception_fp_ieee_underflow 0
		.amdhsa_exception_fp_ieee_inexact 0
		.amdhsa_exception_int_div_zero 0
	.end_amdhsa_kernel
	.section	.text._ZN7rocprim17ROCPRIM_400000_NS6detail17trampoline_kernelINS0_14default_configENS1_25transform_config_selectorIfLb0EEEZNS1_14transform_implILb0ES3_S5_NS0_18transform_iteratorINS0_17counting_iteratorImlEEZNS1_24adjacent_difference_implIS3_Lb1ELb0EPfSB_N6thrust23THRUST_200600_302600_NS4plusIfEEEE10hipError_tPvRmT2_T3_mT4_P12ihipStream_tbEUlmE_fEESB_NS0_8identityIvEEEESG_SJ_SK_mSL_SN_bEUlT_E_NS1_11comp_targetILNS1_3genE9ELNS1_11target_archE1100ELNS1_3gpuE3ELNS1_3repE0EEENS1_30default_config_static_selectorELNS0_4arch9wavefront6targetE1EEEvT1_,"axG",@progbits,_ZN7rocprim17ROCPRIM_400000_NS6detail17trampoline_kernelINS0_14default_configENS1_25transform_config_selectorIfLb0EEEZNS1_14transform_implILb0ES3_S5_NS0_18transform_iteratorINS0_17counting_iteratorImlEEZNS1_24adjacent_difference_implIS3_Lb1ELb0EPfSB_N6thrust23THRUST_200600_302600_NS4plusIfEEEE10hipError_tPvRmT2_T3_mT4_P12ihipStream_tbEUlmE_fEESB_NS0_8identityIvEEEESG_SJ_SK_mSL_SN_bEUlT_E_NS1_11comp_targetILNS1_3genE9ELNS1_11target_archE1100ELNS1_3gpuE3ELNS1_3repE0EEENS1_30default_config_static_selectorELNS0_4arch9wavefront6targetE1EEEvT1_,comdat
.Lfunc_end193:
	.size	_ZN7rocprim17ROCPRIM_400000_NS6detail17trampoline_kernelINS0_14default_configENS1_25transform_config_selectorIfLb0EEEZNS1_14transform_implILb0ES3_S5_NS0_18transform_iteratorINS0_17counting_iteratorImlEEZNS1_24adjacent_difference_implIS3_Lb1ELb0EPfSB_N6thrust23THRUST_200600_302600_NS4plusIfEEEE10hipError_tPvRmT2_T3_mT4_P12ihipStream_tbEUlmE_fEESB_NS0_8identityIvEEEESG_SJ_SK_mSL_SN_bEUlT_E_NS1_11comp_targetILNS1_3genE9ELNS1_11target_archE1100ELNS1_3gpuE3ELNS1_3repE0EEENS1_30default_config_static_selectorELNS0_4arch9wavefront6targetE1EEEvT1_, .Lfunc_end193-_ZN7rocprim17ROCPRIM_400000_NS6detail17trampoline_kernelINS0_14default_configENS1_25transform_config_selectorIfLb0EEEZNS1_14transform_implILb0ES3_S5_NS0_18transform_iteratorINS0_17counting_iteratorImlEEZNS1_24adjacent_difference_implIS3_Lb1ELb0EPfSB_N6thrust23THRUST_200600_302600_NS4plusIfEEEE10hipError_tPvRmT2_T3_mT4_P12ihipStream_tbEUlmE_fEESB_NS0_8identityIvEEEESG_SJ_SK_mSL_SN_bEUlT_E_NS1_11comp_targetILNS1_3genE9ELNS1_11target_archE1100ELNS1_3gpuE3ELNS1_3repE0EEENS1_30default_config_static_selectorELNS0_4arch9wavefront6targetE1EEEvT1_
                                        ; -- End function
	.section	.AMDGPU.csdata,"",@progbits
; Kernel info:
; codeLenInByte = 0
; NumSgprs: 4
; NumVgprs: 0
; NumAgprs: 0
; TotalNumVgprs: 0
; ScratchSize: 0
; MemoryBound: 0
; FloatMode: 240
; IeeeMode: 1
; LDSByteSize: 0 bytes/workgroup (compile time only)
; SGPRBlocks: 0
; VGPRBlocks: 0
; NumSGPRsForWavesPerEU: 4
; NumVGPRsForWavesPerEU: 1
; AccumOffset: 4
; Occupancy: 8
; WaveLimiterHint : 0
; COMPUTE_PGM_RSRC2:SCRATCH_EN: 0
; COMPUTE_PGM_RSRC2:USER_SGPR: 6
; COMPUTE_PGM_RSRC2:TRAP_HANDLER: 0
; COMPUTE_PGM_RSRC2:TGID_X_EN: 1
; COMPUTE_PGM_RSRC2:TGID_Y_EN: 0
; COMPUTE_PGM_RSRC2:TGID_Z_EN: 0
; COMPUTE_PGM_RSRC2:TIDIG_COMP_CNT: 0
; COMPUTE_PGM_RSRC3_GFX90A:ACCUM_OFFSET: 0
; COMPUTE_PGM_RSRC3_GFX90A:TG_SPLIT: 0
	.section	.text._ZN7rocprim17ROCPRIM_400000_NS6detail17trampoline_kernelINS0_14default_configENS1_25transform_config_selectorIfLb0EEEZNS1_14transform_implILb0ES3_S5_NS0_18transform_iteratorINS0_17counting_iteratorImlEEZNS1_24adjacent_difference_implIS3_Lb1ELb0EPfSB_N6thrust23THRUST_200600_302600_NS4plusIfEEEE10hipError_tPvRmT2_T3_mT4_P12ihipStream_tbEUlmE_fEESB_NS0_8identityIvEEEESG_SJ_SK_mSL_SN_bEUlT_E_NS1_11comp_targetILNS1_3genE8ELNS1_11target_archE1030ELNS1_3gpuE2ELNS1_3repE0EEENS1_30default_config_static_selectorELNS0_4arch9wavefront6targetE1EEEvT1_,"axG",@progbits,_ZN7rocprim17ROCPRIM_400000_NS6detail17trampoline_kernelINS0_14default_configENS1_25transform_config_selectorIfLb0EEEZNS1_14transform_implILb0ES3_S5_NS0_18transform_iteratorINS0_17counting_iteratorImlEEZNS1_24adjacent_difference_implIS3_Lb1ELb0EPfSB_N6thrust23THRUST_200600_302600_NS4plusIfEEEE10hipError_tPvRmT2_T3_mT4_P12ihipStream_tbEUlmE_fEESB_NS0_8identityIvEEEESG_SJ_SK_mSL_SN_bEUlT_E_NS1_11comp_targetILNS1_3genE8ELNS1_11target_archE1030ELNS1_3gpuE2ELNS1_3repE0EEENS1_30default_config_static_selectorELNS0_4arch9wavefront6targetE1EEEvT1_,comdat
	.protected	_ZN7rocprim17ROCPRIM_400000_NS6detail17trampoline_kernelINS0_14default_configENS1_25transform_config_selectorIfLb0EEEZNS1_14transform_implILb0ES3_S5_NS0_18transform_iteratorINS0_17counting_iteratorImlEEZNS1_24adjacent_difference_implIS3_Lb1ELb0EPfSB_N6thrust23THRUST_200600_302600_NS4plusIfEEEE10hipError_tPvRmT2_T3_mT4_P12ihipStream_tbEUlmE_fEESB_NS0_8identityIvEEEESG_SJ_SK_mSL_SN_bEUlT_E_NS1_11comp_targetILNS1_3genE8ELNS1_11target_archE1030ELNS1_3gpuE2ELNS1_3repE0EEENS1_30default_config_static_selectorELNS0_4arch9wavefront6targetE1EEEvT1_ ; -- Begin function _ZN7rocprim17ROCPRIM_400000_NS6detail17trampoline_kernelINS0_14default_configENS1_25transform_config_selectorIfLb0EEEZNS1_14transform_implILb0ES3_S5_NS0_18transform_iteratorINS0_17counting_iteratorImlEEZNS1_24adjacent_difference_implIS3_Lb1ELb0EPfSB_N6thrust23THRUST_200600_302600_NS4plusIfEEEE10hipError_tPvRmT2_T3_mT4_P12ihipStream_tbEUlmE_fEESB_NS0_8identityIvEEEESG_SJ_SK_mSL_SN_bEUlT_E_NS1_11comp_targetILNS1_3genE8ELNS1_11target_archE1030ELNS1_3gpuE2ELNS1_3repE0EEENS1_30default_config_static_selectorELNS0_4arch9wavefront6targetE1EEEvT1_
	.globl	_ZN7rocprim17ROCPRIM_400000_NS6detail17trampoline_kernelINS0_14default_configENS1_25transform_config_selectorIfLb0EEEZNS1_14transform_implILb0ES3_S5_NS0_18transform_iteratorINS0_17counting_iteratorImlEEZNS1_24adjacent_difference_implIS3_Lb1ELb0EPfSB_N6thrust23THRUST_200600_302600_NS4plusIfEEEE10hipError_tPvRmT2_T3_mT4_P12ihipStream_tbEUlmE_fEESB_NS0_8identityIvEEEESG_SJ_SK_mSL_SN_bEUlT_E_NS1_11comp_targetILNS1_3genE8ELNS1_11target_archE1030ELNS1_3gpuE2ELNS1_3repE0EEENS1_30default_config_static_selectorELNS0_4arch9wavefront6targetE1EEEvT1_
	.p2align	8
	.type	_ZN7rocprim17ROCPRIM_400000_NS6detail17trampoline_kernelINS0_14default_configENS1_25transform_config_selectorIfLb0EEEZNS1_14transform_implILb0ES3_S5_NS0_18transform_iteratorINS0_17counting_iteratorImlEEZNS1_24adjacent_difference_implIS3_Lb1ELb0EPfSB_N6thrust23THRUST_200600_302600_NS4plusIfEEEE10hipError_tPvRmT2_T3_mT4_P12ihipStream_tbEUlmE_fEESB_NS0_8identityIvEEEESG_SJ_SK_mSL_SN_bEUlT_E_NS1_11comp_targetILNS1_3genE8ELNS1_11target_archE1030ELNS1_3gpuE2ELNS1_3repE0EEENS1_30default_config_static_selectorELNS0_4arch9wavefront6targetE1EEEvT1_,@function
_ZN7rocprim17ROCPRIM_400000_NS6detail17trampoline_kernelINS0_14default_configENS1_25transform_config_selectorIfLb0EEEZNS1_14transform_implILb0ES3_S5_NS0_18transform_iteratorINS0_17counting_iteratorImlEEZNS1_24adjacent_difference_implIS3_Lb1ELb0EPfSB_N6thrust23THRUST_200600_302600_NS4plusIfEEEE10hipError_tPvRmT2_T3_mT4_P12ihipStream_tbEUlmE_fEESB_NS0_8identityIvEEEESG_SJ_SK_mSL_SN_bEUlT_E_NS1_11comp_targetILNS1_3genE8ELNS1_11target_archE1030ELNS1_3gpuE2ELNS1_3repE0EEENS1_30default_config_static_selectorELNS0_4arch9wavefront6targetE1EEEvT1_: ; @_ZN7rocprim17ROCPRIM_400000_NS6detail17trampoline_kernelINS0_14default_configENS1_25transform_config_selectorIfLb0EEEZNS1_14transform_implILb0ES3_S5_NS0_18transform_iteratorINS0_17counting_iteratorImlEEZNS1_24adjacent_difference_implIS3_Lb1ELb0EPfSB_N6thrust23THRUST_200600_302600_NS4plusIfEEEE10hipError_tPvRmT2_T3_mT4_P12ihipStream_tbEUlmE_fEESB_NS0_8identityIvEEEESG_SJ_SK_mSL_SN_bEUlT_E_NS1_11comp_targetILNS1_3genE8ELNS1_11target_archE1030ELNS1_3gpuE2ELNS1_3repE0EEENS1_30default_config_static_selectorELNS0_4arch9wavefront6targetE1EEEvT1_
; %bb.0:
	.section	.rodata,"a",@progbits
	.p2align	6, 0x0
	.amdhsa_kernel _ZN7rocprim17ROCPRIM_400000_NS6detail17trampoline_kernelINS0_14default_configENS1_25transform_config_selectorIfLb0EEEZNS1_14transform_implILb0ES3_S5_NS0_18transform_iteratorINS0_17counting_iteratorImlEEZNS1_24adjacent_difference_implIS3_Lb1ELb0EPfSB_N6thrust23THRUST_200600_302600_NS4plusIfEEEE10hipError_tPvRmT2_T3_mT4_P12ihipStream_tbEUlmE_fEESB_NS0_8identityIvEEEESG_SJ_SK_mSL_SN_bEUlT_E_NS1_11comp_targetILNS1_3genE8ELNS1_11target_archE1030ELNS1_3gpuE2ELNS1_3repE0EEENS1_30default_config_static_selectorELNS0_4arch9wavefront6targetE1EEEvT1_
		.amdhsa_group_segment_fixed_size 0
		.amdhsa_private_segment_fixed_size 0
		.amdhsa_kernarg_size 56
		.amdhsa_user_sgpr_count 6
		.amdhsa_user_sgpr_private_segment_buffer 1
		.amdhsa_user_sgpr_dispatch_ptr 0
		.amdhsa_user_sgpr_queue_ptr 0
		.amdhsa_user_sgpr_kernarg_segment_ptr 1
		.amdhsa_user_sgpr_dispatch_id 0
		.amdhsa_user_sgpr_flat_scratch_init 0
		.amdhsa_user_sgpr_kernarg_preload_length 0
		.amdhsa_user_sgpr_kernarg_preload_offset 0
		.amdhsa_user_sgpr_private_segment_size 0
		.amdhsa_uses_dynamic_stack 0
		.amdhsa_system_sgpr_private_segment_wavefront_offset 0
		.amdhsa_system_sgpr_workgroup_id_x 1
		.amdhsa_system_sgpr_workgroup_id_y 0
		.amdhsa_system_sgpr_workgroup_id_z 0
		.amdhsa_system_sgpr_workgroup_info 0
		.amdhsa_system_vgpr_workitem_id 0
		.amdhsa_next_free_vgpr 1
		.amdhsa_next_free_sgpr 0
		.amdhsa_accum_offset 4
		.amdhsa_reserve_vcc 0
		.amdhsa_reserve_flat_scratch 0
		.amdhsa_float_round_mode_32 0
		.amdhsa_float_round_mode_16_64 0
		.amdhsa_float_denorm_mode_32 3
		.amdhsa_float_denorm_mode_16_64 3
		.amdhsa_dx10_clamp 1
		.amdhsa_ieee_mode 1
		.amdhsa_fp16_overflow 0
		.amdhsa_tg_split 0
		.amdhsa_exception_fp_ieee_invalid_op 0
		.amdhsa_exception_fp_denorm_src 0
		.amdhsa_exception_fp_ieee_div_zero 0
		.amdhsa_exception_fp_ieee_overflow 0
		.amdhsa_exception_fp_ieee_underflow 0
		.amdhsa_exception_fp_ieee_inexact 0
		.amdhsa_exception_int_div_zero 0
	.end_amdhsa_kernel
	.section	.text._ZN7rocprim17ROCPRIM_400000_NS6detail17trampoline_kernelINS0_14default_configENS1_25transform_config_selectorIfLb0EEEZNS1_14transform_implILb0ES3_S5_NS0_18transform_iteratorINS0_17counting_iteratorImlEEZNS1_24adjacent_difference_implIS3_Lb1ELb0EPfSB_N6thrust23THRUST_200600_302600_NS4plusIfEEEE10hipError_tPvRmT2_T3_mT4_P12ihipStream_tbEUlmE_fEESB_NS0_8identityIvEEEESG_SJ_SK_mSL_SN_bEUlT_E_NS1_11comp_targetILNS1_3genE8ELNS1_11target_archE1030ELNS1_3gpuE2ELNS1_3repE0EEENS1_30default_config_static_selectorELNS0_4arch9wavefront6targetE1EEEvT1_,"axG",@progbits,_ZN7rocprim17ROCPRIM_400000_NS6detail17trampoline_kernelINS0_14default_configENS1_25transform_config_selectorIfLb0EEEZNS1_14transform_implILb0ES3_S5_NS0_18transform_iteratorINS0_17counting_iteratorImlEEZNS1_24adjacent_difference_implIS3_Lb1ELb0EPfSB_N6thrust23THRUST_200600_302600_NS4plusIfEEEE10hipError_tPvRmT2_T3_mT4_P12ihipStream_tbEUlmE_fEESB_NS0_8identityIvEEEESG_SJ_SK_mSL_SN_bEUlT_E_NS1_11comp_targetILNS1_3genE8ELNS1_11target_archE1030ELNS1_3gpuE2ELNS1_3repE0EEENS1_30default_config_static_selectorELNS0_4arch9wavefront6targetE1EEEvT1_,comdat
.Lfunc_end194:
	.size	_ZN7rocprim17ROCPRIM_400000_NS6detail17trampoline_kernelINS0_14default_configENS1_25transform_config_selectorIfLb0EEEZNS1_14transform_implILb0ES3_S5_NS0_18transform_iteratorINS0_17counting_iteratorImlEEZNS1_24adjacent_difference_implIS3_Lb1ELb0EPfSB_N6thrust23THRUST_200600_302600_NS4plusIfEEEE10hipError_tPvRmT2_T3_mT4_P12ihipStream_tbEUlmE_fEESB_NS0_8identityIvEEEESG_SJ_SK_mSL_SN_bEUlT_E_NS1_11comp_targetILNS1_3genE8ELNS1_11target_archE1030ELNS1_3gpuE2ELNS1_3repE0EEENS1_30default_config_static_selectorELNS0_4arch9wavefront6targetE1EEEvT1_, .Lfunc_end194-_ZN7rocprim17ROCPRIM_400000_NS6detail17trampoline_kernelINS0_14default_configENS1_25transform_config_selectorIfLb0EEEZNS1_14transform_implILb0ES3_S5_NS0_18transform_iteratorINS0_17counting_iteratorImlEEZNS1_24adjacent_difference_implIS3_Lb1ELb0EPfSB_N6thrust23THRUST_200600_302600_NS4plusIfEEEE10hipError_tPvRmT2_T3_mT4_P12ihipStream_tbEUlmE_fEESB_NS0_8identityIvEEEESG_SJ_SK_mSL_SN_bEUlT_E_NS1_11comp_targetILNS1_3genE8ELNS1_11target_archE1030ELNS1_3gpuE2ELNS1_3repE0EEENS1_30default_config_static_selectorELNS0_4arch9wavefront6targetE1EEEvT1_
                                        ; -- End function
	.section	.AMDGPU.csdata,"",@progbits
; Kernel info:
; codeLenInByte = 0
; NumSgprs: 4
; NumVgprs: 0
; NumAgprs: 0
; TotalNumVgprs: 0
; ScratchSize: 0
; MemoryBound: 0
; FloatMode: 240
; IeeeMode: 1
; LDSByteSize: 0 bytes/workgroup (compile time only)
; SGPRBlocks: 0
; VGPRBlocks: 0
; NumSGPRsForWavesPerEU: 4
; NumVGPRsForWavesPerEU: 1
; AccumOffset: 4
; Occupancy: 8
; WaveLimiterHint : 0
; COMPUTE_PGM_RSRC2:SCRATCH_EN: 0
; COMPUTE_PGM_RSRC2:USER_SGPR: 6
; COMPUTE_PGM_RSRC2:TRAP_HANDLER: 0
; COMPUTE_PGM_RSRC2:TGID_X_EN: 1
; COMPUTE_PGM_RSRC2:TGID_Y_EN: 0
; COMPUTE_PGM_RSRC2:TGID_Z_EN: 0
; COMPUTE_PGM_RSRC2:TIDIG_COMP_CNT: 0
; COMPUTE_PGM_RSRC3_GFX90A:ACCUM_OFFSET: 0
; COMPUTE_PGM_RSRC3_GFX90A:TG_SPLIT: 0
	.section	.text._ZN7rocprim17ROCPRIM_400000_NS6detail17trampoline_kernelINS0_14default_configENS1_35adjacent_difference_config_selectorILb1EfEEZNS1_24adjacent_difference_implIS3_Lb1ELb0EPfS7_N6thrust23THRUST_200600_302600_NS4plusIfEEEE10hipError_tPvRmT2_T3_mT4_P12ihipStream_tbEUlT_E_NS1_11comp_targetILNS1_3genE0ELNS1_11target_archE4294967295ELNS1_3gpuE0ELNS1_3repE0EEENS1_30default_config_static_selectorELNS0_4arch9wavefront6targetE1EEEvT1_,"axG",@progbits,_ZN7rocprim17ROCPRIM_400000_NS6detail17trampoline_kernelINS0_14default_configENS1_35adjacent_difference_config_selectorILb1EfEEZNS1_24adjacent_difference_implIS3_Lb1ELb0EPfS7_N6thrust23THRUST_200600_302600_NS4plusIfEEEE10hipError_tPvRmT2_T3_mT4_P12ihipStream_tbEUlT_E_NS1_11comp_targetILNS1_3genE0ELNS1_11target_archE4294967295ELNS1_3gpuE0ELNS1_3repE0EEENS1_30default_config_static_selectorELNS0_4arch9wavefront6targetE1EEEvT1_,comdat
	.protected	_ZN7rocprim17ROCPRIM_400000_NS6detail17trampoline_kernelINS0_14default_configENS1_35adjacent_difference_config_selectorILb1EfEEZNS1_24adjacent_difference_implIS3_Lb1ELb0EPfS7_N6thrust23THRUST_200600_302600_NS4plusIfEEEE10hipError_tPvRmT2_T3_mT4_P12ihipStream_tbEUlT_E_NS1_11comp_targetILNS1_3genE0ELNS1_11target_archE4294967295ELNS1_3gpuE0ELNS1_3repE0EEENS1_30default_config_static_selectorELNS0_4arch9wavefront6targetE1EEEvT1_ ; -- Begin function _ZN7rocprim17ROCPRIM_400000_NS6detail17trampoline_kernelINS0_14default_configENS1_35adjacent_difference_config_selectorILb1EfEEZNS1_24adjacent_difference_implIS3_Lb1ELb0EPfS7_N6thrust23THRUST_200600_302600_NS4plusIfEEEE10hipError_tPvRmT2_T3_mT4_P12ihipStream_tbEUlT_E_NS1_11comp_targetILNS1_3genE0ELNS1_11target_archE4294967295ELNS1_3gpuE0ELNS1_3repE0EEENS1_30default_config_static_selectorELNS0_4arch9wavefront6targetE1EEEvT1_
	.globl	_ZN7rocprim17ROCPRIM_400000_NS6detail17trampoline_kernelINS0_14default_configENS1_35adjacent_difference_config_selectorILb1EfEEZNS1_24adjacent_difference_implIS3_Lb1ELb0EPfS7_N6thrust23THRUST_200600_302600_NS4plusIfEEEE10hipError_tPvRmT2_T3_mT4_P12ihipStream_tbEUlT_E_NS1_11comp_targetILNS1_3genE0ELNS1_11target_archE4294967295ELNS1_3gpuE0ELNS1_3repE0EEENS1_30default_config_static_selectorELNS0_4arch9wavefront6targetE1EEEvT1_
	.p2align	8
	.type	_ZN7rocprim17ROCPRIM_400000_NS6detail17trampoline_kernelINS0_14default_configENS1_35adjacent_difference_config_selectorILb1EfEEZNS1_24adjacent_difference_implIS3_Lb1ELb0EPfS7_N6thrust23THRUST_200600_302600_NS4plusIfEEEE10hipError_tPvRmT2_T3_mT4_P12ihipStream_tbEUlT_E_NS1_11comp_targetILNS1_3genE0ELNS1_11target_archE4294967295ELNS1_3gpuE0ELNS1_3repE0EEENS1_30default_config_static_selectorELNS0_4arch9wavefront6targetE1EEEvT1_,@function
_ZN7rocprim17ROCPRIM_400000_NS6detail17trampoline_kernelINS0_14default_configENS1_35adjacent_difference_config_selectorILb1EfEEZNS1_24adjacent_difference_implIS3_Lb1ELb0EPfS7_N6thrust23THRUST_200600_302600_NS4plusIfEEEE10hipError_tPvRmT2_T3_mT4_P12ihipStream_tbEUlT_E_NS1_11comp_targetILNS1_3genE0ELNS1_11target_archE4294967295ELNS1_3gpuE0ELNS1_3repE0EEENS1_30default_config_static_selectorELNS0_4arch9wavefront6targetE1EEEvT1_: ; @_ZN7rocprim17ROCPRIM_400000_NS6detail17trampoline_kernelINS0_14default_configENS1_35adjacent_difference_config_selectorILb1EfEEZNS1_24adjacent_difference_implIS3_Lb1ELb0EPfS7_N6thrust23THRUST_200600_302600_NS4plusIfEEEE10hipError_tPvRmT2_T3_mT4_P12ihipStream_tbEUlT_E_NS1_11comp_targetILNS1_3genE0ELNS1_11target_archE4294967295ELNS1_3gpuE0ELNS1_3repE0EEENS1_30default_config_static_selectorELNS0_4arch9wavefront6targetE1EEEvT1_
; %bb.0:
	.section	.rodata,"a",@progbits
	.p2align	6, 0x0
	.amdhsa_kernel _ZN7rocprim17ROCPRIM_400000_NS6detail17trampoline_kernelINS0_14default_configENS1_35adjacent_difference_config_selectorILb1EfEEZNS1_24adjacent_difference_implIS3_Lb1ELb0EPfS7_N6thrust23THRUST_200600_302600_NS4plusIfEEEE10hipError_tPvRmT2_T3_mT4_P12ihipStream_tbEUlT_E_NS1_11comp_targetILNS1_3genE0ELNS1_11target_archE4294967295ELNS1_3gpuE0ELNS1_3repE0EEENS1_30default_config_static_selectorELNS0_4arch9wavefront6targetE1EEEvT1_
		.amdhsa_group_segment_fixed_size 0
		.amdhsa_private_segment_fixed_size 0
		.amdhsa_kernarg_size 56
		.amdhsa_user_sgpr_count 6
		.amdhsa_user_sgpr_private_segment_buffer 1
		.amdhsa_user_sgpr_dispatch_ptr 0
		.amdhsa_user_sgpr_queue_ptr 0
		.amdhsa_user_sgpr_kernarg_segment_ptr 1
		.amdhsa_user_sgpr_dispatch_id 0
		.amdhsa_user_sgpr_flat_scratch_init 0
		.amdhsa_user_sgpr_kernarg_preload_length 0
		.amdhsa_user_sgpr_kernarg_preload_offset 0
		.amdhsa_user_sgpr_private_segment_size 0
		.amdhsa_uses_dynamic_stack 0
		.amdhsa_system_sgpr_private_segment_wavefront_offset 0
		.amdhsa_system_sgpr_workgroup_id_x 1
		.amdhsa_system_sgpr_workgroup_id_y 0
		.amdhsa_system_sgpr_workgroup_id_z 0
		.amdhsa_system_sgpr_workgroup_info 0
		.amdhsa_system_vgpr_workitem_id 0
		.amdhsa_next_free_vgpr 1
		.amdhsa_next_free_sgpr 0
		.amdhsa_accum_offset 4
		.amdhsa_reserve_vcc 0
		.amdhsa_reserve_flat_scratch 0
		.amdhsa_float_round_mode_32 0
		.amdhsa_float_round_mode_16_64 0
		.amdhsa_float_denorm_mode_32 3
		.amdhsa_float_denorm_mode_16_64 3
		.amdhsa_dx10_clamp 1
		.amdhsa_ieee_mode 1
		.amdhsa_fp16_overflow 0
		.amdhsa_tg_split 0
		.amdhsa_exception_fp_ieee_invalid_op 0
		.amdhsa_exception_fp_denorm_src 0
		.amdhsa_exception_fp_ieee_div_zero 0
		.amdhsa_exception_fp_ieee_overflow 0
		.amdhsa_exception_fp_ieee_underflow 0
		.amdhsa_exception_fp_ieee_inexact 0
		.amdhsa_exception_int_div_zero 0
	.end_amdhsa_kernel
	.section	.text._ZN7rocprim17ROCPRIM_400000_NS6detail17trampoline_kernelINS0_14default_configENS1_35adjacent_difference_config_selectorILb1EfEEZNS1_24adjacent_difference_implIS3_Lb1ELb0EPfS7_N6thrust23THRUST_200600_302600_NS4plusIfEEEE10hipError_tPvRmT2_T3_mT4_P12ihipStream_tbEUlT_E_NS1_11comp_targetILNS1_3genE0ELNS1_11target_archE4294967295ELNS1_3gpuE0ELNS1_3repE0EEENS1_30default_config_static_selectorELNS0_4arch9wavefront6targetE1EEEvT1_,"axG",@progbits,_ZN7rocprim17ROCPRIM_400000_NS6detail17trampoline_kernelINS0_14default_configENS1_35adjacent_difference_config_selectorILb1EfEEZNS1_24adjacent_difference_implIS3_Lb1ELb0EPfS7_N6thrust23THRUST_200600_302600_NS4plusIfEEEE10hipError_tPvRmT2_T3_mT4_P12ihipStream_tbEUlT_E_NS1_11comp_targetILNS1_3genE0ELNS1_11target_archE4294967295ELNS1_3gpuE0ELNS1_3repE0EEENS1_30default_config_static_selectorELNS0_4arch9wavefront6targetE1EEEvT1_,comdat
.Lfunc_end195:
	.size	_ZN7rocprim17ROCPRIM_400000_NS6detail17trampoline_kernelINS0_14default_configENS1_35adjacent_difference_config_selectorILb1EfEEZNS1_24adjacent_difference_implIS3_Lb1ELb0EPfS7_N6thrust23THRUST_200600_302600_NS4plusIfEEEE10hipError_tPvRmT2_T3_mT4_P12ihipStream_tbEUlT_E_NS1_11comp_targetILNS1_3genE0ELNS1_11target_archE4294967295ELNS1_3gpuE0ELNS1_3repE0EEENS1_30default_config_static_selectorELNS0_4arch9wavefront6targetE1EEEvT1_, .Lfunc_end195-_ZN7rocprim17ROCPRIM_400000_NS6detail17trampoline_kernelINS0_14default_configENS1_35adjacent_difference_config_selectorILb1EfEEZNS1_24adjacent_difference_implIS3_Lb1ELb0EPfS7_N6thrust23THRUST_200600_302600_NS4plusIfEEEE10hipError_tPvRmT2_T3_mT4_P12ihipStream_tbEUlT_E_NS1_11comp_targetILNS1_3genE0ELNS1_11target_archE4294967295ELNS1_3gpuE0ELNS1_3repE0EEENS1_30default_config_static_selectorELNS0_4arch9wavefront6targetE1EEEvT1_
                                        ; -- End function
	.section	.AMDGPU.csdata,"",@progbits
; Kernel info:
; codeLenInByte = 0
; NumSgprs: 4
; NumVgprs: 0
; NumAgprs: 0
; TotalNumVgprs: 0
; ScratchSize: 0
; MemoryBound: 0
; FloatMode: 240
; IeeeMode: 1
; LDSByteSize: 0 bytes/workgroup (compile time only)
; SGPRBlocks: 0
; VGPRBlocks: 0
; NumSGPRsForWavesPerEU: 4
; NumVGPRsForWavesPerEU: 1
; AccumOffset: 4
; Occupancy: 8
; WaveLimiterHint : 0
; COMPUTE_PGM_RSRC2:SCRATCH_EN: 0
; COMPUTE_PGM_RSRC2:USER_SGPR: 6
; COMPUTE_PGM_RSRC2:TRAP_HANDLER: 0
; COMPUTE_PGM_RSRC2:TGID_X_EN: 1
; COMPUTE_PGM_RSRC2:TGID_Y_EN: 0
; COMPUTE_PGM_RSRC2:TGID_Z_EN: 0
; COMPUTE_PGM_RSRC2:TIDIG_COMP_CNT: 0
; COMPUTE_PGM_RSRC3_GFX90A:ACCUM_OFFSET: 0
; COMPUTE_PGM_RSRC3_GFX90A:TG_SPLIT: 0
	.section	.text._ZN7rocprim17ROCPRIM_400000_NS6detail17trampoline_kernelINS0_14default_configENS1_35adjacent_difference_config_selectorILb1EfEEZNS1_24adjacent_difference_implIS3_Lb1ELb0EPfS7_N6thrust23THRUST_200600_302600_NS4plusIfEEEE10hipError_tPvRmT2_T3_mT4_P12ihipStream_tbEUlT_E_NS1_11comp_targetILNS1_3genE10ELNS1_11target_archE1201ELNS1_3gpuE5ELNS1_3repE0EEENS1_30default_config_static_selectorELNS0_4arch9wavefront6targetE1EEEvT1_,"axG",@progbits,_ZN7rocprim17ROCPRIM_400000_NS6detail17trampoline_kernelINS0_14default_configENS1_35adjacent_difference_config_selectorILb1EfEEZNS1_24adjacent_difference_implIS3_Lb1ELb0EPfS7_N6thrust23THRUST_200600_302600_NS4plusIfEEEE10hipError_tPvRmT2_T3_mT4_P12ihipStream_tbEUlT_E_NS1_11comp_targetILNS1_3genE10ELNS1_11target_archE1201ELNS1_3gpuE5ELNS1_3repE0EEENS1_30default_config_static_selectorELNS0_4arch9wavefront6targetE1EEEvT1_,comdat
	.protected	_ZN7rocprim17ROCPRIM_400000_NS6detail17trampoline_kernelINS0_14default_configENS1_35adjacent_difference_config_selectorILb1EfEEZNS1_24adjacent_difference_implIS3_Lb1ELb0EPfS7_N6thrust23THRUST_200600_302600_NS4plusIfEEEE10hipError_tPvRmT2_T3_mT4_P12ihipStream_tbEUlT_E_NS1_11comp_targetILNS1_3genE10ELNS1_11target_archE1201ELNS1_3gpuE5ELNS1_3repE0EEENS1_30default_config_static_selectorELNS0_4arch9wavefront6targetE1EEEvT1_ ; -- Begin function _ZN7rocprim17ROCPRIM_400000_NS6detail17trampoline_kernelINS0_14default_configENS1_35adjacent_difference_config_selectorILb1EfEEZNS1_24adjacent_difference_implIS3_Lb1ELb0EPfS7_N6thrust23THRUST_200600_302600_NS4plusIfEEEE10hipError_tPvRmT2_T3_mT4_P12ihipStream_tbEUlT_E_NS1_11comp_targetILNS1_3genE10ELNS1_11target_archE1201ELNS1_3gpuE5ELNS1_3repE0EEENS1_30default_config_static_selectorELNS0_4arch9wavefront6targetE1EEEvT1_
	.globl	_ZN7rocprim17ROCPRIM_400000_NS6detail17trampoline_kernelINS0_14default_configENS1_35adjacent_difference_config_selectorILb1EfEEZNS1_24adjacent_difference_implIS3_Lb1ELb0EPfS7_N6thrust23THRUST_200600_302600_NS4plusIfEEEE10hipError_tPvRmT2_T3_mT4_P12ihipStream_tbEUlT_E_NS1_11comp_targetILNS1_3genE10ELNS1_11target_archE1201ELNS1_3gpuE5ELNS1_3repE0EEENS1_30default_config_static_selectorELNS0_4arch9wavefront6targetE1EEEvT1_
	.p2align	8
	.type	_ZN7rocprim17ROCPRIM_400000_NS6detail17trampoline_kernelINS0_14default_configENS1_35adjacent_difference_config_selectorILb1EfEEZNS1_24adjacent_difference_implIS3_Lb1ELb0EPfS7_N6thrust23THRUST_200600_302600_NS4plusIfEEEE10hipError_tPvRmT2_T3_mT4_P12ihipStream_tbEUlT_E_NS1_11comp_targetILNS1_3genE10ELNS1_11target_archE1201ELNS1_3gpuE5ELNS1_3repE0EEENS1_30default_config_static_selectorELNS0_4arch9wavefront6targetE1EEEvT1_,@function
_ZN7rocprim17ROCPRIM_400000_NS6detail17trampoline_kernelINS0_14default_configENS1_35adjacent_difference_config_selectorILb1EfEEZNS1_24adjacent_difference_implIS3_Lb1ELb0EPfS7_N6thrust23THRUST_200600_302600_NS4plusIfEEEE10hipError_tPvRmT2_T3_mT4_P12ihipStream_tbEUlT_E_NS1_11comp_targetILNS1_3genE10ELNS1_11target_archE1201ELNS1_3gpuE5ELNS1_3repE0EEENS1_30default_config_static_selectorELNS0_4arch9wavefront6targetE1EEEvT1_: ; @_ZN7rocprim17ROCPRIM_400000_NS6detail17trampoline_kernelINS0_14default_configENS1_35adjacent_difference_config_selectorILb1EfEEZNS1_24adjacent_difference_implIS3_Lb1ELb0EPfS7_N6thrust23THRUST_200600_302600_NS4plusIfEEEE10hipError_tPvRmT2_T3_mT4_P12ihipStream_tbEUlT_E_NS1_11comp_targetILNS1_3genE10ELNS1_11target_archE1201ELNS1_3gpuE5ELNS1_3repE0EEENS1_30default_config_static_selectorELNS0_4arch9wavefront6targetE1EEEvT1_
; %bb.0:
	.section	.rodata,"a",@progbits
	.p2align	6, 0x0
	.amdhsa_kernel _ZN7rocprim17ROCPRIM_400000_NS6detail17trampoline_kernelINS0_14default_configENS1_35adjacent_difference_config_selectorILb1EfEEZNS1_24adjacent_difference_implIS3_Lb1ELb0EPfS7_N6thrust23THRUST_200600_302600_NS4plusIfEEEE10hipError_tPvRmT2_T3_mT4_P12ihipStream_tbEUlT_E_NS1_11comp_targetILNS1_3genE10ELNS1_11target_archE1201ELNS1_3gpuE5ELNS1_3repE0EEENS1_30default_config_static_selectorELNS0_4arch9wavefront6targetE1EEEvT1_
		.amdhsa_group_segment_fixed_size 0
		.amdhsa_private_segment_fixed_size 0
		.amdhsa_kernarg_size 56
		.amdhsa_user_sgpr_count 6
		.amdhsa_user_sgpr_private_segment_buffer 1
		.amdhsa_user_sgpr_dispatch_ptr 0
		.amdhsa_user_sgpr_queue_ptr 0
		.amdhsa_user_sgpr_kernarg_segment_ptr 1
		.amdhsa_user_sgpr_dispatch_id 0
		.amdhsa_user_sgpr_flat_scratch_init 0
		.amdhsa_user_sgpr_kernarg_preload_length 0
		.amdhsa_user_sgpr_kernarg_preload_offset 0
		.amdhsa_user_sgpr_private_segment_size 0
		.amdhsa_uses_dynamic_stack 0
		.amdhsa_system_sgpr_private_segment_wavefront_offset 0
		.amdhsa_system_sgpr_workgroup_id_x 1
		.amdhsa_system_sgpr_workgroup_id_y 0
		.amdhsa_system_sgpr_workgroup_id_z 0
		.amdhsa_system_sgpr_workgroup_info 0
		.amdhsa_system_vgpr_workitem_id 0
		.amdhsa_next_free_vgpr 1
		.amdhsa_next_free_sgpr 0
		.amdhsa_accum_offset 4
		.amdhsa_reserve_vcc 0
		.amdhsa_reserve_flat_scratch 0
		.amdhsa_float_round_mode_32 0
		.amdhsa_float_round_mode_16_64 0
		.amdhsa_float_denorm_mode_32 3
		.amdhsa_float_denorm_mode_16_64 3
		.amdhsa_dx10_clamp 1
		.amdhsa_ieee_mode 1
		.amdhsa_fp16_overflow 0
		.amdhsa_tg_split 0
		.amdhsa_exception_fp_ieee_invalid_op 0
		.amdhsa_exception_fp_denorm_src 0
		.amdhsa_exception_fp_ieee_div_zero 0
		.amdhsa_exception_fp_ieee_overflow 0
		.amdhsa_exception_fp_ieee_underflow 0
		.amdhsa_exception_fp_ieee_inexact 0
		.amdhsa_exception_int_div_zero 0
	.end_amdhsa_kernel
	.section	.text._ZN7rocprim17ROCPRIM_400000_NS6detail17trampoline_kernelINS0_14default_configENS1_35adjacent_difference_config_selectorILb1EfEEZNS1_24adjacent_difference_implIS3_Lb1ELb0EPfS7_N6thrust23THRUST_200600_302600_NS4plusIfEEEE10hipError_tPvRmT2_T3_mT4_P12ihipStream_tbEUlT_E_NS1_11comp_targetILNS1_3genE10ELNS1_11target_archE1201ELNS1_3gpuE5ELNS1_3repE0EEENS1_30default_config_static_selectorELNS0_4arch9wavefront6targetE1EEEvT1_,"axG",@progbits,_ZN7rocprim17ROCPRIM_400000_NS6detail17trampoline_kernelINS0_14default_configENS1_35adjacent_difference_config_selectorILb1EfEEZNS1_24adjacent_difference_implIS3_Lb1ELb0EPfS7_N6thrust23THRUST_200600_302600_NS4plusIfEEEE10hipError_tPvRmT2_T3_mT4_P12ihipStream_tbEUlT_E_NS1_11comp_targetILNS1_3genE10ELNS1_11target_archE1201ELNS1_3gpuE5ELNS1_3repE0EEENS1_30default_config_static_selectorELNS0_4arch9wavefront6targetE1EEEvT1_,comdat
.Lfunc_end196:
	.size	_ZN7rocprim17ROCPRIM_400000_NS6detail17trampoline_kernelINS0_14default_configENS1_35adjacent_difference_config_selectorILb1EfEEZNS1_24adjacent_difference_implIS3_Lb1ELb0EPfS7_N6thrust23THRUST_200600_302600_NS4plusIfEEEE10hipError_tPvRmT2_T3_mT4_P12ihipStream_tbEUlT_E_NS1_11comp_targetILNS1_3genE10ELNS1_11target_archE1201ELNS1_3gpuE5ELNS1_3repE0EEENS1_30default_config_static_selectorELNS0_4arch9wavefront6targetE1EEEvT1_, .Lfunc_end196-_ZN7rocprim17ROCPRIM_400000_NS6detail17trampoline_kernelINS0_14default_configENS1_35adjacent_difference_config_selectorILb1EfEEZNS1_24adjacent_difference_implIS3_Lb1ELb0EPfS7_N6thrust23THRUST_200600_302600_NS4plusIfEEEE10hipError_tPvRmT2_T3_mT4_P12ihipStream_tbEUlT_E_NS1_11comp_targetILNS1_3genE10ELNS1_11target_archE1201ELNS1_3gpuE5ELNS1_3repE0EEENS1_30default_config_static_selectorELNS0_4arch9wavefront6targetE1EEEvT1_
                                        ; -- End function
	.section	.AMDGPU.csdata,"",@progbits
; Kernel info:
; codeLenInByte = 0
; NumSgprs: 4
; NumVgprs: 0
; NumAgprs: 0
; TotalNumVgprs: 0
; ScratchSize: 0
; MemoryBound: 0
; FloatMode: 240
; IeeeMode: 1
; LDSByteSize: 0 bytes/workgroup (compile time only)
; SGPRBlocks: 0
; VGPRBlocks: 0
; NumSGPRsForWavesPerEU: 4
; NumVGPRsForWavesPerEU: 1
; AccumOffset: 4
; Occupancy: 8
; WaveLimiterHint : 0
; COMPUTE_PGM_RSRC2:SCRATCH_EN: 0
; COMPUTE_PGM_RSRC2:USER_SGPR: 6
; COMPUTE_PGM_RSRC2:TRAP_HANDLER: 0
; COMPUTE_PGM_RSRC2:TGID_X_EN: 1
; COMPUTE_PGM_RSRC2:TGID_Y_EN: 0
; COMPUTE_PGM_RSRC2:TGID_Z_EN: 0
; COMPUTE_PGM_RSRC2:TIDIG_COMP_CNT: 0
; COMPUTE_PGM_RSRC3_GFX90A:ACCUM_OFFSET: 0
; COMPUTE_PGM_RSRC3_GFX90A:TG_SPLIT: 0
	.section	.text._ZN7rocprim17ROCPRIM_400000_NS6detail17trampoline_kernelINS0_14default_configENS1_35adjacent_difference_config_selectorILb1EfEEZNS1_24adjacent_difference_implIS3_Lb1ELb0EPfS7_N6thrust23THRUST_200600_302600_NS4plusIfEEEE10hipError_tPvRmT2_T3_mT4_P12ihipStream_tbEUlT_E_NS1_11comp_targetILNS1_3genE5ELNS1_11target_archE942ELNS1_3gpuE9ELNS1_3repE0EEENS1_30default_config_static_selectorELNS0_4arch9wavefront6targetE1EEEvT1_,"axG",@progbits,_ZN7rocprim17ROCPRIM_400000_NS6detail17trampoline_kernelINS0_14default_configENS1_35adjacent_difference_config_selectorILb1EfEEZNS1_24adjacent_difference_implIS3_Lb1ELb0EPfS7_N6thrust23THRUST_200600_302600_NS4plusIfEEEE10hipError_tPvRmT2_T3_mT4_P12ihipStream_tbEUlT_E_NS1_11comp_targetILNS1_3genE5ELNS1_11target_archE942ELNS1_3gpuE9ELNS1_3repE0EEENS1_30default_config_static_selectorELNS0_4arch9wavefront6targetE1EEEvT1_,comdat
	.protected	_ZN7rocprim17ROCPRIM_400000_NS6detail17trampoline_kernelINS0_14default_configENS1_35adjacent_difference_config_selectorILb1EfEEZNS1_24adjacent_difference_implIS3_Lb1ELb0EPfS7_N6thrust23THRUST_200600_302600_NS4plusIfEEEE10hipError_tPvRmT2_T3_mT4_P12ihipStream_tbEUlT_E_NS1_11comp_targetILNS1_3genE5ELNS1_11target_archE942ELNS1_3gpuE9ELNS1_3repE0EEENS1_30default_config_static_selectorELNS0_4arch9wavefront6targetE1EEEvT1_ ; -- Begin function _ZN7rocprim17ROCPRIM_400000_NS6detail17trampoline_kernelINS0_14default_configENS1_35adjacent_difference_config_selectorILb1EfEEZNS1_24adjacent_difference_implIS3_Lb1ELb0EPfS7_N6thrust23THRUST_200600_302600_NS4plusIfEEEE10hipError_tPvRmT2_T3_mT4_P12ihipStream_tbEUlT_E_NS1_11comp_targetILNS1_3genE5ELNS1_11target_archE942ELNS1_3gpuE9ELNS1_3repE0EEENS1_30default_config_static_selectorELNS0_4arch9wavefront6targetE1EEEvT1_
	.globl	_ZN7rocprim17ROCPRIM_400000_NS6detail17trampoline_kernelINS0_14default_configENS1_35adjacent_difference_config_selectorILb1EfEEZNS1_24adjacent_difference_implIS3_Lb1ELb0EPfS7_N6thrust23THRUST_200600_302600_NS4plusIfEEEE10hipError_tPvRmT2_T3_mT4_P12ihipStream_tbEUlT_E_NS1_11comp_targetILNS1_3genE5ELNS1_11target_archE942ELNS1_3gpuE9ELNS1_3repE0EEENS1_30default_config_static_selectorELNS0_4arch9wavefront6targetE1EEEvT1_
	.p2align	8
	.type	_ZN7rocprim17ROCPRIM_400000_NS6detail17trampoline_kernelINS0_14default_configENS1_35adjacent_difference_config_selectorILb1EfEEZNS1_24adjacent_difference_implIS3_Lb1ELb0EPfS7_N6thrust23THRUST_200600_302600_NS4plusIfEEEE10hipError_tPvRmT2_T3_mT4_P12ihipStream_tbEUlT_E_NS1_11comp_targetILNS1_3genE5ELNS1_11target_archE942ELNS1_3gpuE9ELNS1_3repE0EEENS1_30default_config_static_selectorELNS0_4arch9wavefront6targetE1EEEvT1_,@function
_ZN7rocprim17ROCPRIM_400000_NS6detail17trampoline_kernelINS0_14default_configENS1_35adjacent_difference_config_selectorILb1EfEEZNS1_24adjacent_difference_implIS3_Lb1ELb0EPfS7_N6thrust23THRUST_200600_302600_NS4plusIfEEEE10hipError_tPvRmT2_T3_mT4_P12ihipStream_tbEUlT_E_NS1_11comp_targetILNS1_3genE5ELNS1_11target_archE942ELNS1_3gpuE9ELNS1_3repE0EEENS1_30default_config_static_selectorELNS0_4arch9wavefront6targetE1EEEvT1_: ; @_ZN7rocprim17ROCPRIM_400000_NS6detail17trampoline_kernelINS0_14default_configENS1_35adjacent_difference_config_selectorILb1EfEEZNS1_24adjacent_difference_implIS3_Lb1ELb0EPfS7_N6thrust23THRUST_200600_302600_NS4plusIfEEEE10hipError_tPvRmT2_T3_mT4_P12ihipStream_tbEUlT_E_NS1_11comp_targetILNS1_3genE5ELNS1_11target_archE942ELNS1_3gpuE9ELNS1_3repE0EEENS1_30default_config_static_selectorELNS0_4arch9wavefront6targetE1EEEvT1_
; %bb.0:
	.section	.rodata,"a",@progbits
	.p2align	6, 0x0
	.amdhsa_kernel _ZN7rocprim17ROCPRIM_400000_NS6detail17trampoline_kernelINS0_14default_configENS1_35adjacent_difference_config_selectorILb1EfEEZNS1_24adjacent_difference_implIS3_Lb1ELb0EPfS7_N6thrust23THRUST_200600_302600_NS4plusIfEEEE10hipError_tPvRmT2_T3_mT4_P12ihipStream_tbEUlT_E_NS1_11comp_targetILNS1_3genE5ELNS1_11target_archE942ELNS1_3gpuE9ELNS1_3repE0EEENS1_30default_config_static_selectorELNS0_4arch9wavefront6targetE1EEEvT1_
		.amdhsa_group_segment_fixed_size 0
		.amdhsa_private_segment_fixed_size 0
		.amdhsa_kernarg_size 56
		.amdhsa_user_sgpr_count 6
		.amdhsa_user_sgpr_private_segment_buffer 1
		.amdhsa_user_sgpr_dispatch_ptr 0
		.amdhsa_user_sgpr_queue_ptr 0
		.amdhsa_user_sgpr_kernarg_segment_ptr 1
		.amdhsa_user_sgpr_dispatch_id 0
		.amdhsa_user_sgpr_flat_scratch_init 0
		.amdhsa_user_sgpr_kernarg_preload_length 0
		.amdhsa_user_sgpr_kernarg_preload_offset 0
		.amdhsa_user_sgpr_private_segment_size 0
		.amdhsa_uses_dynamic_stack 0
		.amdhsa_system_sgpr_private_segment_wavefront_offset 0
		.amdhsa_system_sgpr_workgroup_id_x 1
		.amdhsa_system_sgpr_workgroup_id_y 0
		.amdhsa_system_sgpr_workgroup_id_z 0
		.amdhsa_system_sgpr_workgroup_info 0
		.amdhsa_system_vgpr_workitem_id 0
		.amdhsa_next_free_vgpr 1
		.amdhsa_next_free_sgpr 0
		.amdhsa_accum_offset 4
		.amdhsa_reserve_vcc 0
		.amdhsa_reserve_flat_scratch 0
		.amdhsa_float_round_mode_32 0
		.amdhsa_float_round_mode_16_64 0
		.amdhsa_float_denorm_mode_32 3
		.amdhsa_float_denorm_mode_16_64 3
		.amdhsa_dx10_clamp 1
		.amdhsa_ieee_mode 1
		.amdhsa_fp16_overflow 0
		.amdhsa_tg_split 0
		.amdhsa_exception_fp_ieee_invalid_op 0
		.amdhsa_exception_fp_denorm_src 0
		.amdhsa_exception_fp_ieee_div_zero 0
		.amdhsa_exception_fp_ieee_overflow 0
		.amdhsa_exception_fp_ieee_underflow 0
		.amdhsa_exception_fp_ieee_inexact 0
		.amdhsa_exception_int_div_zero 0
	.end_amdhsa_kernel
	.section	.text._ZN7rocprim17ROCPRIM_400000_NS6detail17trampoline_kernelINS0_14default_configENS1_35adjacent_difference_config_selectorILb1EfEEZNS1_24adjacent_difference_implIS3_Lb1ELb0EPfS7_N6thrust23THRUST_200600_302600_NS4plusIfEEEE10hipError_tPvRmT2_T3_mT4_P12ihipStream_tbEUlT_E_NS1_11comp_targetILNS1_3genE5ELNS1_11target_archE942ELNS1_3gpuE9ELNS1_3repE0EEENS1_30default_config_static_selectorELNS0_4arch9wavefront6targetE1EEEvT1_,"axG",@progbits,_ZN7rocprim17ROCPRIM_400000_NS6detail17trampoline_kernelINS0_14default_configENS1_35adjacent_difference_config_selectorILb1EfEEZNS1_24adjacent_difference_implIS3_Lb1ELb0EPfS7_N6thrust23THRUST_200600_302600_NS4plusIfEEEE10hipError_tPvRmT2_T3_mT4_P12ihipStream_tbEUlT_E_NS1_11comp_targetILNS1_3genE5ELNS1_11target_archE942ELNS1_3gpuE9ELNS1_3repE0EEENS1_30default_config_static_selectorELNS0_4arch9wavefront6targetE1EEEvT1_,comdat
.Lfunc_end197:
	.size	_ZN7rocprim17ROCPRIM_400000_NS6detail17trampoline_kernelINS0_14default_configENS1_35adjacent_difference_config_selectorILb1EfEEZNS1_24adjacent_difference_implIS3_Lb1ELb0EPfS7_N6thrust23THRUST_200600_302600_NS4plusIfEEEE10hipError_tPvRmT2_T3_mT4_P12ihipStream_tbEUlT_E_NS1_11comp_targetILNS1_3genE5ELNS1_11target_archE942ELNS1_3gpuE9ELNS1_3repE0EEENS1_30default_config_static_selectorELNS0_4arch9wavefront6targetE1EEEvT1_, .Lfunc_end197-_ZN7rocprim17ROCPRIM_400000_NS6detail17trampoline_kernelINS0_14default_configENS1_35adjacent_difference_config_selectorILb1EfEEZNS1_24adjacent_difference_implIS3_Lb1ELb0EPfS7_N6thrust23THRUST_200600_302600_NS4plusIfEEEE10hipError_tPvRmT2_T3_mT4_P12ihipStream_tbEUlT_E_NS1_11comp_targetILNS1_3genE5ELNS1_11target_archE942ELNS1_3gpuE9ELNS1_3repE0EEENS1_30default_config_static_selectorELNS0_4arch9wavefront6targetE1EEEvT1_
                                        ; -- End function
	.section	.AMDGPU.csdata,"",@progbits
; Kernel info:
; codeLenInByte = 0
; NumSgprs: 4
; NumVgprs: 0
; NumAgprs: 0
; TotalNumVgprs: 0
; ScratchSize: 0
; MemoryBound: 0
; FloatMode: 240
; IeeeMode: 1
; LDSByteSize: 0 bytes/workgroup (compile time only)
; SGPRBlocks: 0
; VGPRBlocks: 0
; NumSGPRsForWavesPerEU: 4
; NumVGPRsForWavesPerEU: 1
; AccumOffset: 4
; Occupancy: 8
; WaveLimiterHint : 0
; COMPUTE_PGM_RSRC2:SCRATCH_EN: 0
; COMPUTE_PGM_RSRC2:USER_SGPR: 6
; COMPUTE_PGM_RSRC2:TRAP_HANDLER: 0
; COMPUTE_PGM_RSRC2:TGID_X_EN: 1
; COMPUTE_PGM_RSRC2:TGID_Y_EN: 0
; COMPUTE_PGM_RSRC2:TGID_Z_EN: 0
; COMPUTE_PGM_RSRC2:TIDIG_COMP_CNT: 0
; COMPUTE_PGM_RSRC3_GFX90A:ACCUM_OFFSET: 0
; COMPUTE_PGM_RSRC3_GFX90A:TG_SPLIT: 0
	.section	.text._ZN7rocprim17ROCPRIM_400000_NS6detail17trampoline_kernelINS0_14default_configENS1_35adjacent_difference_config_selectorILb1EfEEZNS1_24adjacent_difference_implIS3_Lb1ELb0EPfS7_N6thrust23THRUST_200600_302600_NS4plusIfEEEE10hipError_tPvRmT2_T3_mT4_P12ihipStream_tbEUlT_E_NS1_11comp_targetILNS1_3genE4ELNS1_11target_archE910ELNS1_3gpuE8ELNS1_3repE0EEENS1_30default_config_static_selectorELNS0_4arch9wavefront6targetE1EEEvT1_,"axG",@progbits,_ZN7rocprim17ROCPRIM_400000_NS6detail17trampoline_kernelINS0_14default_configENS1_35adjacent_difference_config_selectorILb1EfEEZNS1_24adjacent_difference_implIS3_Lb1ELb0EPfS7_N6thrust23THRUST_200600_302600_NS4plusIfEEEE10hipError_tPvRmT2_T3_mT4_P12ihipStream_tbEUlT_E_NS1_11comp_targetILNS1_3genE4ELNS1_11target_archE910ELNS1_3gpuE8ELNS1_3repE0EEENS1_30default_config_static_selectorELNS0_4arch9wavefront6targetE1EEEvT1_,comdat
	.protected	_ZN7rocprim17ROCPRIM_400000_NS6detail17trampoline_kernelINS0_14default_configENS1_35adjacent_difference_config_selectorILb1EfEEZNS1_24adjacent_difference_implIS3_Lb1ELb0EPfS7_N6thrust23THRUST_200600_302600_NS4plusIfEEEE10hipError_tPvRmT2_T3_mT4_P12ihipStream_tbEUlT_E_NS1_11comp_targetILNS1_3genE4ELNS1_11target_archE910ELNS1_3gpuE8ELNS1_3repE0EEENS1_30default_config_static_selectorELNS0_4arch9wavefront6targetE1EEEvT1_ ; -- Begin function _ZN7rocprim17ROCPRIM_400000_NS6detail17trampoline_kernelINS0_14default_configENS1_35adjacent_difference_config_selectorILb1EfEEZNS1_24adjacent_difference_implIS3_Lb1ELb0EPfS7_N6thrust23THRUST_200600_302600_NS4plusIfEEEE10hipError_tPvRmT2_T3_mT4_P12ihipStream_tbEUlT_E_NS1_11comp_targetILNS1_3genE4ELNS1_11target_archE910ELNS1_3gpuE8ELNS1_3repE0EEENS1_30default_config_static_selectorELNS0_4arch9wavefront6targetE1EEEvT1_
	.globl	_ZN7rocprim17ROCPRIM_400000_NS6detail17trampoline_kernelINS0_14default_configENS1_35adjacent_difference_config_selectorILb1EfEEZNS1_24adjacent_difference_implIS3_Lb1ELb0EPfS7_N6thrust23THRUST_200600_302600_NS4plusIfEEEE10hipError_tPvRmT2_T3_mT4_P12ihipStream_tbEUlT_E_NS1_11comp_targetILNS1_3genE4ELNS1_11target_archE910ELNS1_3gpuE8ELNS1_3repE0EEENS1_30default_config_static_selectorELNS0_4arch9wavefront6targetE1EEEvT1_
	.p2align	8
	.type	_ZN7rocprim17ROCPRIM_400000_NS6detail17trampoline_kernelINS0_14default_configENS1_35adjacent_difference_config_selectorILb1EfEEZNS1_24adjacent_difference_implIS3_Lb1ELb0EPfS7_N6thrust23THRUST_200600_302600_NS4plusIfEEEE10hipError_tPvRmT2_T3_mT4_P12ihipStream_tbEUlT_E_NS1_11comp_targetILNS1_3genE4ELNS1_11target_archE910ELNS1_3gpuE8ELNS1_3repE0EEENS1_30default_config_static_selectorELNS0_4arch9wavefront6targetE1EEEvT1_,@function
_ZN7rocprim17ROCPRIM_400000_NS6detail17trampoline_kernelINS0_14default_configENS1_35adjacent_difference_config_selectorILb1EfEEZNS1_24adjacent_difference_implIS3_Lb1ELb0EPfS7_N6thrust23THRUST_200600_302600_NS4plusIfEEEE10hipError_tPvRmT2_T3_mT4_P12ihipStream_tbEUlT_E_NS1_11comp_targetILNS1_3genE4ELNS1_11target_archE910ELNS1_3gpuE8ELNS1_3repE0EEENS1_30default_config_static_selectorELNS0_4arch9wavefront6targetE1EEEvT1_: ; @_ZN7rocprim17ROCPRIM_400000_NS6detail17trampoline_kernelINS0_14default_configENS1_35adjacent_difference_config_selectorILb1EfEEZNS1_24adjacent_difference_implIS3_Lb1ELb0EPfS7_N6thrust23THRUST_200600_302600_NS4plusIfEEEE10hipError_tPvRmT2_T3_mT4_P12ihipStream_tbEUlT_E_NS1_11comp_targetILNS1_3genE4ELNS1_11target_archE910ELNS1_3gpuE8ELNS1_3repE0EEENS1_30default_config_static_selectorELNS0_4arch9wavefront6targetE1EEEvT1_
; %bb.0:
	s_load_dwordx8 s[8:15], s[4:5], 0x0
	s_mov_b32 s0, 0x59999780
	s_load_dwordx4 s[16:19], s[4:5], 0x28
	s_movk_i32 s2, 0xa00
	s_mul_i32 s20, s6, 0xa00
	s_waitcnt lgkmcnt(0)
	s_lshl_b64 s[22:23], s[10:11], 2
	s_add_u32 s26, s8, s22
	s_addc_u32 s27, s9, s23
	s_add_u32 s0, 0xe0, s0
	s_addc_u32 s3, 0, 0
	v_add_co_u32_e64 v1, s[0:1], s0, 2.0
	s_cmp_lg_u64 s[0:1], 0
	s_addc_u32 s0, s3, 0x199999
	v_readfirstlane_b32 s3, v1
	s_mul_hi_u32 s4, s3, 0xfffff600
	s_mul_i32 s1, s0, 0xfffff600
	s_sub_i32 s4, s4, s3
	s_add_i32 s4, s4, s1
	s_mul_i32 s8, s3, 0xfffff600
	s_mul_hi_u32 s1, s3, s4
	s_mul_i32 s5, s3, s4
	s_mul_hi_u32 s3, s3, s8
	s_add_u32 s3, s3, s5
	s_addc_u32 s1, 0, s1
	s_mul_hi_u32 s9, s0, s8
	s_mul_i32 s8, s0, s8
	s_add_u32 s3, s3, s8
	s_mul_hi_u32 s5, s0, s4
	s_addc_u32 s1, s1, s9
	s_addc_u32 s3, s5, 0
	s_mul_i32 s4, s0, s4
	s_add_u32 s1, s1, s4
	s_addc_u32 s3, 0, s3
	v_add_co_u32_e32 v1, vcc, s1, v1
	s_cmp_lg_u64 vcc, 0
	s_addc_u32 s0, s0, s3
	v_readfirstlane_b32 s4, v1
	s_mul_i32 s3, s14, s0
	s_mul_hi_u32 s5, s14, s4
	s_mul_hi_u32 s1, s14, s0
	s_add_u32 s3, s5, s3
	s_addc_u32 s1, 0, s1
	s_mul_hi_u32 s8, s15, s4
	s_mul_i32 s4, s15, s4
	s_add_u32 s3, s3, s4
	s_mul_hi_u32 s5, s15, s0
	s_addc_u32 s1, s1, s8
	s_addc_u32 s3, s5, 0
	s_mul_i32 s0, s15, s0
	s_add_u32 s0, s1, s0
	s_addc_u32 s1, 0, s3
	s_add_u32 s3, s0, 1
	s_addc_u32 s4, s1, 0
	s_add_u32 s5, s0, 2
	s_mul_i32 s9, s1, 0xa00
	s_mul_hi_u32 s10, s0, 0xa00
	s_addc_u32 s8, s1, 0
	s_add_i32 s10, s10, s9
	s_mul_i32 s9, s0, 0xa00
	v_mov_b32_e32 v1, s9
	v_sub_co_u32_e32 v1, vcc, s14, v1
	s_cmp_lg_u64 vcc, 0
	s_subb_u32 s9, s15, s10
	v_subrev_co_u32_e32 v2, vcc, s2, v1
	s_cmp_lg_u64 vcc, 0
	s_subb_u32 s2, s9, 0
	v_readfirstlane_b32 s10, v2
	s_cmpk_gt_u32 s10, 0x9ff
	s_cselect_b32 s10, -1, 0
	s_cmp_eq_u32 s2, 0
	s_cselect_b32 s2, s10, -1
	s_cmp_lg_u32 s2, 0
	s_cselect_b32 s2, s5, s3
	s_cselect_b32 s3, s8, s4
	v_readfirstlane_b32 s4, v1
	s_cmpk_gt_u32 s4, 0x9ff
	s_cselect_b32 s4, -1, 0
	s_cmp_eq_u32 s9, 0
	s_cselect_b32 s4, s4, -1
	s_cmp_lg_u32 s4, 0
	s_cselect_b32 s3, s3, s1
	s_cselect_b32 s2, s2, s0
	s_mul_i32 s0, s3, 0xa00
	s_mul_hi_u32 s1, s2, 0xa00
	s_add_i32 s1, s1, s0
	s_mul_i32 s0, s2, 0xa00
	s_sub_u32 s0, s14, s0
	s_subb_u32 s1, s15, s1
	s_cmp_lg_u64 s[0:1], 0
	s_cselect_b64 s[0:1], -1, 0
	v_cndmask_b32_e64 v1, 0, 1, s[0:1]
	v_readfirstlane_b32 s0, v1
	s_add_u32 s2, s2, s0
	s_addc_u32 s3, s3, 0
	s_add_u32 s4, s18, s6
	s_addc_u32 s5, s19, 0
	s_add_u32 s8, s2, -1
	s_addc_u32 s9, s3, -1
	v_pk_mov_b32 v[2:3], s[8:9], s[8:9] op_sel:[0,1]
	v_cmp_ge_u64_e64 s[0:1], s[4:5], v[2:3]
	s_mov_b32 s7, 0
	s_mov_b64 s[10:11], -1
	s_and_b64 vcc, exec, s[0:1]
	s_mul_i32 s15, s8, 0xfffff600
	s_cbranch_vccz .LBB198_12
; %bb.1:
	s_mov_b32 s21, s7
	s_add_i32 s28, s15, s14
	s_lshl_b64 s[10:11], s[20:21], 2
	s_add_u32 s10, s26, s10
	s_addc_u32 s11, s27, s11
	v_cmp_gt_u32_e32 vcc, s28, v0
                                        ; implicit-def: $vgpr2_vgpr3_vgpr4_vgpr5_vgpr6
	s_and_saveexec_b64 s[24:25], vcc
	s_cbranch_execz .LBB198_3
; %bb.2:
	v_lshlrev_b32_e32 v1, 2, v0
	global_load_dword v2, v1, s[10:11]
.LBB198_3:
	s_or_b64 exec, exec, s[24:25]
	v_or_b32_e32 v1, 0x200, v0
	v_cmp_gt_u32_e32 vcc, s28, v1
	s_and_saveexec_b64 s[24:25], vcc
	s_cbranch_execz .LBB198_5
; %bb.4:
	v_lshlrev_b32_e32 v1, 2, v0
	global_load_dword v3, v1, s[10:11] offset:2048
.LBB198_5:
	s_or_b64 exec, exec, s[24:25]
	v_or_b32_e32 v1, 0x400, v0
	v_cmp_gt_u32_e32 vcc, s28, v1
	s_and_saveexec_b64 s[24:25], vcc
	s_cbranch_execz .LBB198_7
; %bb.6:
	v_lshlrev_b32_e32 v1, 2, v1
	global_load_dword v4, v1, s[10:11]
.LBB198_7:
	s_or_b64 exec, exec, s[24:25]
	v_or_b32_e32 v1, 0x600, v0
	v_cmp_gt_u32_e32 vcc, s28, v1
	s_and_saveexec_b64 s[24:25], vcc
	s_cbranch_execz .LBB198_9
; %bb.8:
	v_lshlrev_b32_e32 v1, 2, v1
	global_load_dword v5, v1, s[10:11]
.LBB198_9:
	;; [unrolled: 9-line block ×3, first 2 shown]
	s_or_b64 exec, exec, s[24:25]
	v_lshlrev_b32_e32 v1, 2, v0
	s_mov_b64 s[10:11], 0
	s_waitcnt vmcnt(0)
	ds_write2st64_b32 v1, v2, v3 offset1:8
	ds_write2st64_b32 v1, v4, v5 offset0:16 offset1:24
	ds_write_b32 v1, v6 offset:8192
	s_waitcnt lgkmcnt(0)
	s_barrier
.LBB198_12:
	s_and_b64 vcc, exec, s[10:11]
	v_lshlrev_b32_e32 v1, 2, v0
	s_cbranch_vccz .LBB198_14
; %bb.13:
	s_mov_b32 s21, 0
	s_lshl_b64 s[10:11], s[20:21], 2
	s_add_u32 s10, s26, s10
	s_addc_u32 s11, s27, s11
	v_mov_b32_e32 v2, s11
	v_add_co_u32_e32 v4, vcc, s10, v1
	v_addc_co_u32_e32 v5, vcc, 0, v2, vcc
	v_add_co_u32_e32 v2, vcc, 0x1000, v4
	v_addc_co_u32_e32 v3, vcc, 0, v5, vcc
	global_load_dword v6, v1, s[10:11]
	global_load_dword v7, v1, s[10:11] offset:2048
	global_load_dword v8, v[2:3], off
	global_load_dword v9, v[2:3], off offset:2048
	v_add_co_u32_e32 v2, vcc, 0x2000, v4
	v_addc_co_u32_e32 v3, vcc, 0, v5, vcc
	global_load_dword v2, v[2:3], off
	s_waitcnt vmcnt(3)
	ds_write2st64_b32 v1, v6, v7 offset1:8
	s_waitcnt vmcnt(1)
	ds_write2st64_b32 v1, v8, v9 offset0:16 offset1:24
	s_waitcnt vmcnt(0)
	ds_write_b32 v1, v2 offset:8192
	s_waitcnt lgkmcnt(0)
	s_barrier
.LBB198_14:
	v_mul_u32_u24_e32 v2, 5, v0
	v_lshlrev_b32_e32 v2, 2, v2
	ds_read2_b32 v[4:5], v2 offset1:1
	ds_read2_b32 v[6:7], v2 offset0:2 offset1:3
	ds_read_b32 v11, v2 offset:16
	s_cmp_eq_u64 s[4:5], 0
	s_waitcnt lgkmcnt(0)
	s_barrier
	s_cbranch_scc1 .LBB198_19
; %bb.15:
	s_lshl_b64 s[10:11], s[18:19], 2
	s_add_u32 s10, s16, s10
	s_addc_u32 s11, s17, s11
	s_lshl_b64 s[6:7], s[6:7], 2
	s_add_u32 s6, s10, s6
	s_addc_u32 s7, s11, s7
	s_add_u32 s6, s6, -4
	s_addc_u32 s7, s7, -1
	s_load_dword s10, s[6:7], 0x0
	s_cmp_eq_u64 s[4:5], s[8:9]
	s_cbranch_scc1 .LBB198_20
; %bb.16:
	v_cmp_ne_u32_e32 vcc, 0, v0
	s_waitcnt lgkmcnt(0)
	v_mov_b32_e32 v12, s10
	ds_write_b32 v1, v11
	s_waitcnt lgkmcnt(0)
	s_barrier
	s_and_saveexec_b64 s[6:7], vcc
	s_cbranch_execz .LBB198_18
; %bb.17:
	v_add_u32_e32 v2, -4, v1
	ds_read_b32 v12, v2
.LBB198_18:
	s_or_b64 exec, exec, s[6:7]
	v_mov_b32_e32 v10, v6
	v_mov_b32_e32 v8, v4
	;; [unrolled: 1-line block ×3, first 2 shown]
	v_pk_add_f32 v[2:3], v[6:7], v[10:11] op_sel:[1,0]
	v_pk_add_f32 v[8:9], v[4:5], v[8:9] op_sel:[1,0]
	s_waitcnt lgkmcnt(0)
	v_add_f32_e32 v12, v4, v12
	s_branch .LBB198_24
.LBB198_19:
                                        ; implicit-def: $vgpr3
                                        ; implicit-def: $vgpr9
                                        ; implicit-def: $vgpr12
	s_branch .LBB198_25
.LBB198_20:
                                        ; implicit-def: $vgpr3
                                        ; implicit-def: $vgpr9
                                        ; implicit-def: $vgpr12
	s_cbranch_execz .LBB198_24
; %bb.21:
	v_mul_u32_u24_e32 v10, 5, v0
	v_cmp_ne_u32_e32 vcc, 0, v0
	s_waitcnt lgkmcnt(0)
	v_mov_b32_e32 v12, s10
	ds_write_b32 v1, v11
	s_waitcnt lgkmcnt(0)
	s_barrier
	s_and_saveexec_b64 s[6:7], vcc
	s_cbranch_execz .LBB198_23
; %bb.22:
	v_add_u32_e32 v2, -4, v1
	ds_read_b32 v12, v2
.LBB198_23:
	s_or_b64 exec, exec, s[6:7]
	s_mulk_i32 s4, 0xf600
	s_add_i32 s4, s4, s14
	v_add_u32_e32 v2, 4, v10
	v_add_f32_e32 v3, v7, v11
	v_cmp_gt_u32_e32 vcc, s4, v2
	v_cndmask_b32_e32 v3, v11, v3, vcc
	v_add_u32_e32 v13, 3, v10
	v_mov_b32_e32 v2, v7
	v_pk_add_f32 v[8:9], v[6:7], v[2:3]
	v_cmp_gt_u32_e32 vcc, s4, v13
	v_cndmask_b32_e32 v2, v7, v8, vcc
	v_add_u32_e32 v13, 2, v10
	v_mov_b32_e32 v8, v5
	v_pk_add_f32 v[8:9], v[8:9], v[6:7]
	v_cmp_gt_u32_e32 vcc, s4, v13
	v_cndmask_b32_e32 v9, v6, v8, vcc
	v_add_u32_e32 v8, 1, v10
	v_mov_b32_e32 v13, v4
	s_waitcnt lgkmcnt(0)
	v_pk_add_f32 v[14:15], v[12:13], v[4:5]
	v_cmp_gt_u32_e32 vcc, s4, v8
	v_cndmask_b32_e32 v8, v5, v15, vcc
	v_add_f32_e32 v12, v4, v12
	v_cmp_gt_u32_e32 vcc, s4, v10
	v_cndmask_b32_e32 v12, v4, v12, vcc
.LBB198_24:
	s_cbranch_execnz .LBB198_33
.LBB198_25:
	s_cmp_eq_u64 s[2:3], 1
	v_cmp_ne_u32_e32 vcc, 0, v0
	s_cbranch_scc1 .LBB198_29
; %bb.26:
	v_mov_b32_e32 v10, v7
	v_mov_b32_e32 v8, v5
	;; [unrolled: 1-line block ×3, first 2 shown]
	v_pk_add_f32 v[2:3], v[6:7], v[10:11]
	v_pk_add_f32 v[8:9], v[4:5], v[8:9]
	v_mov_b32_e32 v12, v4
	ds_write_b32 v1, v11
	s_waitcnt lgkmcnt(0)
	s_barrier
	s_and_saveexec_b64 s[2:3], vcc
	s_cbranch_execz .LBB198_28
; %bb.27:
	v_add_u32_e32 v10, -4, v1
	ds_read_b32 v10, v10
	s_waitcnt lgkmcnt(0)
	v_add_f32_e32 v12, v4, v10
.LBB198_28:
	s_or_b64 exec, exec, s[2:3]
	s_cbranch_execz .LBB198_30
	s_branch .LBB198_33
.LBB198_29:
                                        ; implicit-def: $vgpr3
                                        ; implicit-def: $vgpr9
                                        ; implicit-def: $vgpr12
.LBB198_30:
	v_mad_u32_u24 v2, v0, 5, 4
	v_cmp_gt_u32_e32 vcc, s14, v2
	v_mad_u32_u24 v2, v0, 5, 3
	v_cmp_gt_u32_e64 s[2:3], s14, v2
	v_mov_b32_e32 v2, v7
	v_pk_add_f32 v[2:3], v[6:7], v[2:3]
	v_mad_u32_u24 v3, v0, 5, 2
	v_mul_u32_u24_e32 v14, 5, v0
	v_cmp_gt_u32_e64 s[4:5], s14, v3
	v_mad_u32_u24 v3, v0, 5, 1
	v_mov_b32_e32 v8, v5
	v_cmp_gt_u32_e64 s[6:7], s14, v3
	v_mov_b32_e32 v3, v4
	v_cmp_ne_u32_e64 s[8:9], 0, v0
	s_waitcnt lgkmcnt(0)
	v_cmp_gt_u32_e64 s[10:11], s14, v14
	v_add_f32_e32 v10, v7, v11
	v_pk_add_f32 v[8:9], v[8:9], v[6:7]
	v_pk_add_f32 v[12:13], v[2:3], v[4:5]
	s_and_b64 s[10:11], s[8:9], s[10:11]
	ds_write_b32 v1, v11
	s_waitcnt lgkmcnt(0)
	s_barrier
	s_and_saveexec_b64 s[8:9], s[10:11]
	s_cbranch_execz .LBB198_32
; %bb.31:
	v_add_u32_e32 v3, -4, v1
	ds_read_b32 v3, v3
	s_waitcnt lgkmcnt(0)
	v_add_f32_e32 v4, v4, v3
.LBB198_32:
	s_or_b64 exec, exec, s[8:9]
	v_cndmask_b32_e32 v3, v11, v10, vcc
	v_cndmask_b32_e64 v2, v7, v2, s[2:3]
	v_cndmask_b32_e64 v9, v6, v8, s[4:5]
	;; [unrolled: 1-line block ×3, first 2 shown]
	v_mov_b32_e32 v12, v4
.LBB198_33:
	s_add_u32 s4, s12, s22
	s_addc_u32 s5, s13, s23
	s_and_b64 vcc, exec, s[0:1]
	v_mul_u32_u24_e32 v13, 20, v0
	v_lshlrev_b32_e32 v14, 4, v0
	s_waitcnt lgkmcnt(0)
	s_barrier
	s_cbranch_vccz .LBB198_43
; %bb.34:
	s_mov_b32 s21, 0
	s_add_i32 s15, s15, s14
	s_lshl_b64 s[0:1], s[20:21], 2
	v_sub_u32_e32 v4, v13, v14
	s_add_u32 s0, s4, s0
	ds_write2_b32 v13, v12, v8 offset1:1
	ds_write2_b32 v13, v9, v2 offset0:2 offset1:3
	ds_write_b32 v13, v3 offset:16
	s_waitcnt lgkmcnt(0)
	s_barrier
	ds_read2st64_b32 v[10:11], v4 offset0:8 offset1:16
	ds_read2st64_b32 v[4:5], v4 offset0:24 offset1:32
	s_addc_u32 s1, s5, s1
	v_mov_b32_e32 v7, s1
	v_add_co_u32_e32 v6, vcc, s0, v1
	v_addc_co_u32_e32 v7, vcc, 0, v7, vcc
	v_cmp_gt_u32_e32 vcc, s15, v0
	s_and_saveexec_b64 s[0:1], vcc
	s_cbranch_execz .LBB198_36
; %bb.35:
	v_sub_u32_e32 v15, 0, v14
	v_add_u32_e32 v15, v13, v15
	ds_read_b32 v15, v15
	s_waitcnt lgkmcnt(0)
	global_store_dword v[6:7], v15, off
.LBB198_36:
	s_or_b64 exec, exec, s[0:1]
	v_or_b32_e32 v15, 0x200, v0
	v_cmp_gt_u32_e32 vcc, s15, v15
	s_and_saveexec_b64 s[0:1], vcc
	s_cbranch_execz .LBB198_38
; %bb.37:
	s_waitcnt lgkmcnt(1)
	global_store_dword v[6:7], v10, off offset:2048
.LBB198_38:
	s_or_b64 exec, exec, s[0:1]
	s_waitcnt lgkmcnt(1)
	v_or_b32_e32 v10, 0x400, v0
	v_cmp_gt_u32_e32 vcc, s15, v10
	s_and_saveexec_b64 s[0:1], vcc
	s_cbranch_execz .LBB198_40
; %bb.39:
	v_add_co_u32_e32 v16, vcc, 0x1000, v6
	v_addc_co_u32_e32 v17, vcc, 0, v7, vcc
	global_store_dword v[16:17], v11, off
.LBB198_40:
	s_or_b64 exec, exec, s[0:1]
	v_or_b32_e32 v10, 0x600, v0
	v_cmp_gt_u32_e32 vcc, s15, v10
	s_and_saveexec_b64 s[0:1], vcc
	s_cbranch_execz .LBB198_42
; %bb.41:
	v_add_co_u32_e32 v10, vcc, 0x1000, v6
	v_addc_co_u32_e32 v11, vcc, 0, v7, vcc
	s_waitcnt lgkmcnt(0)
	global_store_dword v[10:11], v4, off offset:2048
.LBB198_42:
	s_or_b64 exec, exec, s[0:1]
	v_or_b32_e32 v0, 0x800, v0
	v_cmp_gt_u32_e64 s[0:1], s15, v0
	s_branch .LBB198_45
.LBB198_43:
	s_mov_b64 s[0:1], 0
                                        ; implicit-def: $vgpr5
                                        ; implicit-def: $vgpr6_vgpr7
	s_cbranch_execz .LBB198_45
; %bb.44:
	s_mov_b32 s21, 0
	s_lshl_b64 s[2:3], s[20:21], 2
	s_add_u32 s2, s4, s2
	s_addc_u32 s3, s5, s3
	v_sub_u32_e32 v0, v13, v14
	ds_write2_b32 v13, v12, v8 offset1:1
	ds_write2_b32 v13, v9, v2 offset0:2 offset1:3
	ds_write_b32 v13, v3 offset:16
	s_waitcnt lgkmcnt(0)
	s_barrier
	ds_read2st64_b32 v[2:3], v0 offset1:8
	ds_read2st64_b32 v[8:9], v0 offset0:16 offset1:24
	ds_read_b32 v5, v0 offset:8192
	v_mov_b32_e32 v0, s3
	v_add_co_u32_e32 v6, vcc, s2, v1
	v_addc_co_u32_e32 v7, vcc, 0, v0, vcc
	v_add_co_u32_e32 v0, vcc, 0x1000, v6
	s_waitcnt lgkmcnt(2)
	global_store_dword v1, v2, s[2:3]
	global_store_dword v1, v3, s[2:3] offset:2048
	v_addc_co_u32_e32 v1, vcc, 0, v7, vcc
	s_or_b64 s[0:1], s[0:1], exec
	s_waitcnt lgkmcnt(1)
	global_store_dword v[0:1], v8, off
	global_store_dword v[0:1], v9, off offset:2048
.LBB198_45:
	s_and_saveexec_b64 s[2:3], s[0:1]
	s_cbranch_execnz .LBB198_47
; %bb.46:
	s_endpgm
.LBB198_47:
	v_add_co_u32_e32 v0, vcc, 0x2000, v6
	v_addc_co_u32_e32 v1, vcc, 0, v7, vcc
	s_waitcnt lgkmcnt(0)
	global_store_dword v[0:1], v5, off
	s_endpgm
	.section	.rodata,"a",@progbits
	.p2align	6, 0x0
	.amdhsa_kernel _ZN7rocprim17ROCPRIM_400000_NS6detail17trampoline_kernelINS0_14default_configENS1_35adjacent_difference_config_selectorILb1EfEEZNS1_24adjacent_difference_implIS3_Lb1ELb0EPfS7_N6thrust23THRUST_200600_302600_NS4plusIfEEEE10hipError_tPvRmT2_T3_mT4_P12ihipStream_tbEUlT_E_NS1_11comp_targetILNS1_3genE4ELNS1_11target_archE910ELNS1_3gpuE8ELNS1_3repE0EEENS1_30default_config_static_selectorELNS0_4arch9wavefront6targetE1EEEvT1_
		.amdhsa_group_segment_fixed_size 10240
		.amdhsa_private_segment_fixed_size 0
		.amdhsa_kernarg_size 56
		.amdhsa_user_sgpr_count 6
		.amdhsa_user_sgpr_private_segment_buffer 1
		.amdhsa_user_sgpr_dispatch_ptr 0
		.amdhsa_user_sgpr_queue_ptr 0
		.amdhsa_user_sgpr_kernarg_segment_ptr 1
		.amdhsa_user_sgpr_dispatch_id 0
		.amdhsa_user_sgpr_flat_scratch_init 0
		.amdhsa_user_sgpr_kernarg_preload_length 0
		.amdhsa_user_sgpr_kernarg_preload_offset 0
		.amdhsa_user_sgpr_private_segment_size 0
		.amdhsa_uses_dynamic_stack 0
		.amdhsa_system_sgpr_private_segment_wavefront_offset 0
		.amdhsa_system_sgpr_workgroup_id_x 1
		.amdhsa_system_sgpr_workgroup_id_y 0
		.amdhsa_system_sgpr_workgroup_id_z 0
		.amdhsa_system_sgpr_workgroup_info 0
		.amdhsa_system_vgpr_workitem_id 0
		.amdhsa_next_free_vgpr 18
		.amdhsa_next_free_sgpr 29
		.amdhsa_accum_offset 20
		.amdhsa_reserve_vcc 1
		.amdhsa_reserve_flat_scratch 0
		.amdhsa_float_round_mode_32 0
		.amdhsa_float_round_mode_16_64 0
		.amdhsa_float_denorm_mode_32 3
		.amdhsa_float_denorm_mode_16_64 3
		.amdhsa_dx10_clamp 1
		.amdhsa_ieee_mode 1
		.amdhsa_fp16_overflow 0
		.amdhsa_tg_split 0
		.amdhsa_exception_fp_ieee_invalid_op 0
		.amdhsa_exception_fp_denorm_src 0
		.amdhsa_exception_fp_ieee_div_zero 0
		.amdhsa_exception_fp_ieee_overflow 0
		.amdhsa_exception_fp_ieee_underflow 0
		.amdhsa_exception_fp_ieee_inexact 0
		.amdhsa_exception_int_div_zero 0
	.end_amdhsa_kernel
	.section	.text._ZN7rocprim17ROCPRIM_400000_NS6detail17trampoline_kernelINS0_14default_configENS1_35adjacent_difference_config_selectorILb1EfEEZNS1_24adjacent_difference_implIS3_Lb1ELb0EPfS7_N6thrust23THRUST_200600_302600_NS4plusIfEEEE10hipError_tPvRmT2_T3_mT4_P12ihipStream_tbEUlT_E_NS1_11comp_targetILNS1_3genE4ELNS1_11target_archE910ELNS1_3gpuE8ELNS1_3repE0EEENS1_30default_config_static_selectorELNS0_4arch9wavefront6targetE1EEEvT1_,"axG",@progbits,_ZN7rocprim17ROCPRIM_400000_NS6detail17trampoline_kernelINS0_14default_configENS1_35adjacent_difference_config_selectorILb1EfEEZNS1_24adjacent_difference_implIS3_Lb1ELb0EPfS7_N6thrust23THRUST_200600_302600_NS4plusIfEEEE10hipError_tPvRmT2_T3_mT4_P12ihipStream_tbEUlT_E_NS1_11comp_targetILNS1_3genE4ELNS1_11target_archE910ELNS1_3gpuE8ELNS1_3repE0EEENS1_30default_config_static_selectorELNS0_4arch9wavefront6targetE1EEEvT1_,comdat
.Lfunc_end198:
	.size	_ZN7rocprim17ROCPRIM_400000_NS6detail17trampoline_kernelINS0_14default_configENS1_35adjacent_difference_config_selectorILb1EfEEZNS1_24adjacent_difference_implIS3_Lb1ELb0EPfS7_N6thrust23THRUST_200600_302600_NS4plusIfEEEE10hipError_tPvRmT2_T3_mT4_P12ihipStream_tbEUlT_E_NS1_11comp_targetILNS1_3genE4ELNS1_11target_archE910ELNS1_3gpuE8ELNS1_3repE0EEENS1_30default_config_static_selectorELNS0_4arch9wavefront6targetE1EEEvT1_, .Lfunc_end198-_ZN7rocprim17ROCPRIM_400000_NS6detail17trampoline_kernelINS0_14default_configENS1_35adjacent_difference_config_selectorILb1EfEEZNS1_24adjacent_difference_implIS3_Lb1ELb0EPfS7_N6thrust23THRUST_200600_302600_NS4plusIfEEEE10hipError_tPvRmT2_T3_mT4_P12ihipStream_tbEUlT_E_NS1_11comp_targetILNS1_3genE4ELNS1_11target_archE910ELNS1_3gpuE8ELNS1_3repE0EEENS1_30default_config_static_selectorELNS0_4arch9wavefront6targetE1EEEvT1_
                                        ; -- End function
	.section	.AMDGPU.csdata,"",@progbits
; Kernel info:
; codeLenInByte = 2068
; NumSgprs: 33
; NumVgprs: 18
; NumAgprs: 0
; TotalNumVgprs: 18
; ScratchSize: 0
; MemoryBound: 0
; FloatMode: 240
; IeeeMode: 1
; LDSByteSize: 10240 bytes/workgroup (compile time only)
; SGPRBlocks: 4
; VGPRBlocks: 2
; NumSGPRsForWavesPerEU: 33
; NumVGPRsForWavesPerEU: 18
; AccumOffset: 20
; Occupancy: 8
; WaveLimiterHint : 1
; COMPUTE_PGM_RSRC2:SCRATCH_EN: 0
; COMPUTE_PGM_RSRC2:USER_SGPR: 6
; COMPUTE_PGM_RSRC2:TRAP_HANDLER: 0
; COMPUTE_PGM_RSRC2:TGID_X_EN: 1
; COMPUTE_PGM_RSRC2:TGID_Y_EN: 0
; COMPUTE_PGM_RSRC2:TGID_Z_EN: 0
; COMPUTE_PGM_RSRC2:TIDIG_COMP_CNT: 0
; COMPUTE_PGM_RSRC3_GFX90A:ACCUM_OFFSET: 4
; COMPUTE_PGM_RSRC3_GFX90A:TG_SPLIT: 0
	.section	.text._ZN7rocprim17ROCPRIM_400000_NS6detail17trampoline_kernelINS0_14default_configENS1_35adjacent_difference_config_selectorILb1EfEEZNS1_24adjacent_difference_implIS3_Lb1ELb0EPfS7_N6thrust23THRUST_200600_302600_NS4plusIfEEEE10hipError_tPvRmT2_T3_mT4_P12ihipStream_tbEUlT_E_NS1_11comp_targetILNS1_3genE3ELNS1_11target_archE908ELNS1_3gpuE7ELNS1_3repE0EEENS1_30default_config_static_selectorELNS0_4arch9wavefront6targetE1EEEvT1_,"axG",@progbits,_ZN7rocprim17ROCPRIM_400000_NS6detail17trampoline_kernelINS0_14default_configENS1_35adjacent_difference_config_selectorILb1EfEEZNS1_24adjacent_difference_implIS3_Lb1ELb0EPfS7_N6thrust23THRUST_200600_302600_NS4plusIfEEEE10hipError_tPvRmT2_T3_mT4_P12ihipStream_tbEUlT_E_NS1_11comp_targetILNS1_3genE3ELNS1_11target_archE908ELNS1_3gpuE7ELNS1_3repE0EEENS1_30default_config_static_selectorELNS0_4arch9wavefront6targetE1EEEvT1_,comdat
	.protected	_ZN7rocprim17ROCPRIM_400000_NS6detail17trampoline_kernelINS0_14default_configENS1_35adjacent_difference_config_selectorILb1EfEEZNS1_24adjacent_difference_implIS3_Lb1ELb0EPfS7_N6thrust23THRUST_200600_302600_NS4plusIfEEEE10hipError_tPvRmT2_T3_mT4_P12ihipStream_tbEUlT_E_NS1_11comp_targetILNS1_3genE3ELNS1_11target_archE908ELNS1_3gpuE7ELNS1_3repE0EEENS1_30default_config_static_selectorELNS0_4arch9wavefront6targetE1EEEvT1_ ; -- Begin function _ZN7rocprim17ROCPRIM_400000_NS6detail17trampoline_kernelINS0_14default_configENS1_35adjacent_difference_config_selectorILb1EfEEZNS1_24adjacent_difference_implIS3_Lb1ELb0EPfS7_N6thrust23THRUST_200600_302600_NS4plusIfEEEE10hipError_tPvRmT2_T3_mT4_P12ihipStream_tbEUlT_E_NS1_11comp_targetILNS1_3genE3ELNS1_11target_archE908ELNS1_3gpuE7ELNS1_3repE0EEENS1_30default_config_static_selectorELNS0_4arch9wavefront6targetE1EEEvT1_
	.globl	_ZN7rocprim17ROCPRIM_400000_NS6detail17trampoline_kernelINS0_14default_configENS1_35adjacent_difference_config_selectorILb1EfEEZNS1_24adjacent_difference_implIS3_Lb1ELb0EPfS7_N6thrust23THRUST_200600_302600_NS4plusIfEEEE10hipError_tPvRmT2_T3_mT4_P12ihipStream_tbEUlT_E_NS1_11comp_targetILNS1_3genE3ELNS1_11target_archE908ELNS1_3gpuE7ELNS1_3repE0EEENS1_30default_config_static_selectorELNS0_4arch9wavefront6targetE1EEEvT1_
	.p2align	8
	.type	_ZN7rocprim17ROCPRIM_400000_NS6detail17trampoline_kernelINS0_14default_configENS1_35adjacent_difference_config_selectorILb1EfEEZNS1_24adjacent_difference_implIS3_Lb1ELb0EPfS7_N6thrust23THRUST_200600_302600_NS4plusIfEEEE10hipError_tPvRmT2_T3_mT4_P12ihipStream_tbEUlT_E_NS1_11comp_targetILNS1_3genE3ELNS1_11target_archE908ELNS1_3gpuE7ELNS1_3repE0EEENS1_30default_config_static_selectorELNS0_4arch9wavefront6targetE1EEEvT1_,@function
_ZN7rocprim17ROCPRIM_400000_NS6detail17trampoline_kernelINS0_14default_configENS1_35adjacent_difference_config_selectorILb1EfEEZNS1_24adjacent_difference_implIS3_Lb1ELb0EPfS7_N6thrust23THRUST_200600_302600_NS4plusIfEEEE10hipError_tPvRmT2_T3_mT4_P12ihipStream_tbEUlT_E_NS1_11comp_targetILNS1_3genE3ELNS1_11target_archE908ELNS1_3gpuE7ELNS1_3repE0EEENS1_30default_config_static_selectorELNS0_4arch9wavefront6targetE1EEEvT1_: ; @_ZN7rocprim17ROCPRIM_400000_NS6detail17trampoline_kernelINS0_14default_configENS1_35adjacent_difference_config_selectorILb1EfEEZNS1_24adjacent_difference_implIS3_Lb1ELb0EPfS7_N6thrust23THRUST_200600_302600_NS4plusIfEEEE10hipError_tPvRmT2_T3_mT4_P12ihipStream_tbEUlT_E_NS1_11comp_targetILNS1_3genE3ELNS1_11target_archE908ELNS1_3gpuE7ELNS1_3repE0EEENS1_30default_config_static_selectorELNS0_4arch9wavefront6targetE1EEEvT1_
; %bb.0:
	.section	.rodata,"a",@progbits
	.p2align	6, 0x0
	.amdhsa_kernel _ZN7rocprim17ROCPRIM_400000_NS6detail17trampoline_kernelINS0_14default_configENS1_35adjacent_difference_config_selectorILb1EfEEZNS1_24adjacent_difference_implIS3_Lb1ELb0EPfS7_N6thrust23THRUST_200600_302600_NS4plusIfEEEE10hipError_tPvRmT2_T3_mT4_P12ihipStream_tbEUlT_E_NS1_11comp_targetILNS1_3genE3ELNS1_11target_archE908ELNS1_3gpuE7ELNS1_3repE0EEENS1_30default_config_static_selectorELNS0_4arch9wavefront6targetE1EEEvT1_
		.amdhsa_group_segment_fixed_size 0
		.amdhsa_private_segment_fixed_size 0
		.amdhsa_kernarg_size 56
		.amdhsa_user_sgpr_count 6
		.amdhsa_user_sgpr_private_segment_buffer 1
		.amdhsa_user_sgpr_dispatch_ptr 0
		.amdhsa_user_sgpr_queue_ptr 0
		.amdhsa_user_sgpr_kernarg_segment_ptr 1
		.amdhsa_user_sgpr_dispatch_id 0
		.amdhsa_user_sgpr_flat_scratch_init 0
		.amdhsa_user_sgpr_kernarg_preload_length 0
		.amdhsa_user_sgpr_kernarg_preload_offset 0
		.amdhsa_user_sgpr_private_segment_size 0
		.amdhsa_uses_dynamic_stack 0
		.amdhsa_system_sgpr_private_segment_wavefront_offset 0
		.amdhsa_system_sgpr_workgroup_id_x 1
		.amdhsa_system_sgpr_workgroup_id_y 0
		.amdhsa_system_sgpr_workgroup_id_z 0
		.amdhsa_system_sgpr_workgroup_info 0
		.amdhsa_system_vgpr_workitem_id 0
		.amdhsa_next_free_vgpr 1
		.amdhsa_next_free_sgpr 0
		.amdhsa_accum_offset 4
		.amdhsa_reserve_vcc 0
		.amdhsa_reserve_flat_scratch 0
		.amdhsa_float_round_mode_32 0
		.amdhsa_float_round_mode_16_64 0
		.amdhsa_float_denorm_mode_32 3
		.amdhsa_float_denorm_mode_16_64 3
		.amdhsa_dx10_clamp 1
		.amdhsa_ieee_mode 1
		.amdhsa_fp16_overflow 0
		.amdhsa_tg_split 0
		.amdhsa_exception_fp_ieee_invalid_op 0
		.amdhsa_exception_fp_denorm_src 0
		.amdhsa_exception_fp_ieee_div_zero 0
		.amdhsa_exception_fp_ieee_overflow 0
		.amdhsa_exception_fp_ieee_underflow 0
		.amdhsa_exception_fp_ieee_inexact 0
		.amdhsa_exception_int_div_zero 0
	.end_amdhsa_kernel
	.section	.text._ZN7rocprim17ROCPRIM_400000_NS6detail17trampoline_kernelINS0_14default_configENS1_35adjacent_difference_config_selectorILb1EfEEZNS1_24adjacent_difference_implIS3_Lb1ELb0EPfS7_N6thrust23THRUST_200600_302600_NS4plusIfEEEE10hipError_tPvRmT2_T3_mT4_P12ihipStream_tbEUlT_E_NS1_11comp_targetILNS1_3genE3ELNS1_11target_archE908ELNS1_3gpuE7ELNS1_3repE0EEENS1_30default_config_static_selectorELNS0_4arch9wavefront6targetE1EEEvT1_,"axG",@progbits,_ZN7rocprim17ROCPRIM_400000_NS6detail17trampoline_kernelINS0_14default_configENS1_35adjacent_difference_config_selectorILb1EfEEZNS1_24adjacent_difference_implIS3_Lb1ELb0EPfS7_N6thrust23THRUST_200600_302600_NS4plusIfEEEE10hipError_tPvRmT2_T3_mT4_P12ihipStream_tbEUlT_E_NS1_11comp_targetILNS1_3genE3ELNS1_11target_archE908ELNS1_3gpuE7ELNS1_3repE0EEENS1_30default_config_static_selectorELNS0_4arch9wavefront6targetE1EEEvT1_,comdat
.Lfunc_end199:
	.size	_ZN7rocprim17ROCPRIM_400000_NS6detail17trampoline_kernelINS0_14default_configENS1_35adjacent_difference_config_selectorILb1EfEEZNS1_24adjacent_difference_implIS3_Lb1ELb0EPfS7_N6thrust23THRUST_200600_302600_NS4plusIfEEEE10hipError_tPvRmT2_T3_mT4_P12ihipStream_tbEUlT_E_NS1_11comp_targetILNS1_3genE3ELNS1_11target_archE908ELNS1_3gpuE7ELNS1_3repE0EEENS1_30default_config_static_selectorELNS0_4arch9wavefront6targetE1EEEvT1_, .Lfunc_end199-_ZN7rocprim17ROCPRIM_400000_NS6detail17trampoline_kernelINS0_14default_configENS1_35adjacent_difference_config_selectorILb1EfEEZNS1_24adjacent_difference_implIS3_Lb1ELb0EPfS7_N6thrust23THRUST_200600_302600_NS4plusIfEEEE10hipError_tPvRmT2_T3_mT4_P12ihipStream_tbEUlT_E_NS1_11comp_targetILNS1_3genE3ELNS1_11target_archE908ELNS1_3gpuE7ELNS1_3repE0EEENS1_30default_config_static_selectorELNS0_4arch9wavefront6targetE1EEEvT1_
                                        ; -- End function
	.section	.AMDGPU.csdata,"",@progbits
; Kernel info:
; codeLenInByte = 0
; NumSgprs: 4
; NumVgprs: 0
; NumAgprs: 0
; TotalNumVgprs: 0
; ScratchSize: 0
; MemoryBound: 0
; FloatMode: 240
; IeeeMode: 1
; LDSByteSize: 0 bytes/workgroup (compile time only)
; SGPRBlocks: 0
; VGPRBlocks: 0
; NumSGPRsForWavesPerEU: 4
; NumVGPRsForWavesPerEU: 1
; AccumOffset: 4
; Occupancy: 8
; WaveLimiterHint : 0
; COMPUTE_PGM_RSRC2:SCRATCH_EN: 0
; COMPUTE_PGM_RSRC2:USER_SGPR: 6
; COMPUTE_PGM_RSRC2:TRAP_HANDLER: 0
; COMPUTE_PGM_RSRC2:TGID_X_EN: 1
; COMPUTE_PGM_RSRC2:TGID_Y_EN: 0
; COMPUTE_PGM_RSRC2:TGID_Z_EN: 0
; COMPUTE_PGM_RSRC2:TIDIG_COMP_CNT: 0
; COMPUTE_PGM_RSRC3_GFX90A:ACCUM_OFFSET: 0
; COMPUTE_PGM_RSRC3_GFX90A:TG_SPLIT: 0
	.section	.text._ZN7rocprim17ROCPRIM_400000_NS6detail17trampoline_kernelINS0_14default_configENS1_35adjacent_difference_config_selectorILb1EfEEZNS1_24adjacent_difference_implIS3_Lb1ELb0EPfS7_N6thrust23THRUST_200600_302600_NS4plusIfEEEE10hipError_tPvRmT2_T3_mT4_P12ihipStream_tbEUlT_E_NS1_11comp_targetILNS1_3genE2ELNS1_11target_archE906ELNS1_3gpuE6ELNS1_3repE0EEENS1_30default_config_static_selectorELNS0_4arch9wavefront6targetE1EEEvT1_,"axG",@progbits,_ZN7rocprim17ROCPRIM_400000_NS6detail17trampoline_kernelINS0_14default_configENS1_35adjacent_difference_config_selectorILb1EfEEZNS1_24adjacent_difference_implIS3_Lb1ELb0EPfS7_N6thrust23THRUST_200600_302600_NS4plusIfEEEE10hipError_tPvRmT2_T3_mT4_P12ihipStream_tbEUlT_E_NS1_11comp_targetILNS1_3genE2ELNS1_11target_archE906ELNS1_3gpuE6ELNS1_3repE0EEENS1_30default_config_static_selectorELNS0_4arch9wavefront6targetE1EEEvT1_,comdat
	.protected	_ZN7rocprim17ROCPRIM_400000_NS6detail17trampoline_kernelINS0_14default_configENS1_35adjacent_difference_config_selectorILb1EfEEZNS1_24adjacent_difference_implIS3_Lb1ELb0EPfS7_N6thrust23THRUST_200600_302600_NS4plusIfEEEE10hipError_tPvRmT2_T3_mT4_P12ihipStream_tbEUlT_E_NS1_11comp_targetILNS1_3genE2ELNS1_11target_archE906ELNS1_3gpuE6ELNS1_3repE0EEENS1_30default_config_static_selectorELNS0_4arch9wavefront6targetE1EEEvT1_ ; -- Begin function _ZN7rocprim17ROCPRIM_400000_NS6detail17trampoline_kernelINS0_14default_configENS1_35adjacent_difference_config_selectorILb1EfEEZNS1_24adjacent_difference_implIS3_Lb1ELb0EPfS7_N6thrust23THRUST_200600_302600_NS4plusIfEEEE10hipError_tPvRmT2_T3_mT4_P12ihipStream_tbEUlT_E_NS1_11comp_targetILNS1_3genE2ELNS1_11target_archE906ELNS1_3gpuE6ELNS1_3repE0EEENS1_30default_config_static_selectorELNS0_4arch9wavefront6targetE1EEEvT1_
	.globl	_ZN7rocprim17ROCPRIM_400000_NS6detail17trampoline_kernelINS0_14default_configENS1_35adjacent_difference_config_selectorILb1EfEEZNS1_24adjacent_difference_implIS3_Lb1ELb0EPfS7_N6thrust23THRUST_200600_302600_NS4plusIfEEEE10hipError_tPvRmT2_T3_mT4_P12ihipStream_tbEUlT_E_NS1_11comp_targetILNS1_3genE2ELNS1_11target_archE906ELNS1_3gpuE6ELNS1_3repE0EEENS1_30default_config_static_selectorELNS0_4arch9wavefront6targetE1EEEvT1_
	.p2align	8
	.type	_ZN7rocprim17ROCPRIM_400000_NS6detail17trampoline_kernelINS0_14default_configENS1_35adjacent_difference_config_selectorILb1EfEEZNS1_24adjacent_difference_implIS3_Lb1ELb0EPfS7_N6thrust23THRUST_200600_302600_NS4plusIfEEEE10hipError_tPvRmT2_T3_mT4_P12ihipStream_tbEUlT_E_NS1_11comp_targetILNS1_3genE2ELNS1_11target_archE906ELNS1_3gpuE6ELNS1_3repE0EEENS1_30default_config_static_selectorELNS0_4arch9wavefront6targetE1EEEvT1_,@function
_ZN7rocprim17ROCPRIM_400000_NS6detail17trampoline_kernelINS0_14default_configENS1_35adjacent_difference_config_selectorILb1EfEEZNS1_24adjacent_difference_implIS3_Lb1ELb0EPfS7_N6thrust23THRUST_200600_302600_NS4plusIfEEEE10hipError_tPvRmT2_T3_mT4_P12ihipStream_tbEUlT_E_NS1_11comp_targetILNS1_3genE2ELNS1_11target_archE906ELNS1_3gpuE6ELNS1_3repE0EEENS1_30default_config_static_selectorELNS0_4arch9wavefront6targetE1EEEvT1_: ; @_ZN7rocprim17ROCPRIM_400000_NS6detail17trampoline_kernelINS0_14default_configENS1_35adjacent_difference_config_selectorILb1EfEEZNS1_24adjacent_difference_implIS3_Lb1ELb0EPfS7_N6thrust23THRUST_200600_302600_NS4plusIfEEEE10hipError_tPvRmT2_T3_mT4_P12ihipStream_tbEUlT_E_NS1_11comp_targetILNS1_3genE2ELNS1_11target_archE906ELNS1_3gpuE6ELNS1_3repE0EEENS1_30default_config_static_selectorELNS0_4arch9wavefront6targetE1EEEvT1_
; %bb.0:
	.section	.rodata,"a",@progbits
	.p2align	6, 0x0
	.amdhsa_kernel _ZN7rocprim17ROCPRIM_400000_NS6detail17trampoline_kernelINS0_14default_configENS1_35adjacent_difference_config_selectorILb1EfEEZNS1_24adjacent_difference_implIS3_Lb1ELb0EPfS7_N6thrust23THRUST_200600_302600_NS4plusIfEEEE10hipError_tPvRmT2_T3_mT4_P12ihipStream_tbEUlT_E_NS1_11comp_targetILNS1_3genE2ELNS1_11target_archE906ELNS1_3gpuE6ELNS1_3repE0EEENS1_30default_config_static_selectorELNS0_4arch9wavefront6targetE1EEEvT1_
		.amdhsa_group_segment_fixed_size 0
		.amdhsa_private_segment_fixed_size 0
		.amdhsa_kernarg_size 56
		.amdhsa_user_sgpr_count 6
		.amdhsa_user_sgpr_private_segment_buffer 1
		.amdhsa_user_sgpr_dispatch_ptr 0
		.amdhsa_user_sgpr_queue_ptr 0
		.amdhsa_user_sgpr_kernarg_segment_ptr 1
		.amdhsa_user_sgpr_dispatch_id 0
		.amdhsa_user_sgpr_flat_scratch_init 0
		.amdhsa_user_sgpr_kernarg_preload_length 0
		.amdhsa_user_sgpr_kernarg_preload_offset 0
		.amdhsa_user_sgpr_private_segment_size 0
		.amdhsa_uses_dynamic_stack 0
		.amdhsa_system_sgpr_private_segment_wavefront_offset 0
		.amdhsa_system_sgpr_workgroup_id_x 1
		.amdhsa_system_sgpr_workgroup_id_y 0
		.amdhsa_system_sgpr_workgroup_id_z 0
		.amdhsa_system_sgpr_workgroup_info 0
		.amdhsa_system_vgpr_workitem_id 0
		.amdhsa_next_free_vgpr 1
		.amdhsa_next_free_sgpr 0
		.amdhsa_accum_offset 4
		.amdhsa_reserve_vcc 0
		.amdhsa_reserve_flat_scratch 0
		.amdhsa_float_round_mode_32 0
		.amdhsa_float_round_mode_16_64 0
		.amdhsa_float_denorm_mode_32 3
		.amdhsa_float_denorm_mode_16_64 3
		.amdhsa_dx10_clamp 1
		.amdhsa_ieee_mode 1
		.amdhsa_fp16_overflow 0
		.amdhsa_tg_split 0
		.amdhsa_exception_fp_ieee_invalid_op 0
		.amdhsa_exception_fp_denorm_src 0
		.amdhsa_exception_fp_ieee_div_zero 0
		.amdhsa_exception_fp_ieee_overflow 0
		.amdhsa_exception_fp_ieee_underflow 0
		.amdhsa_exception_fp_ieee_inexact 0
		.amdhsa_exception_int_div_zero 0
	.end_amdhsa_kernel
	.section	.text._ZN7rocprim17ROCPRIM_400000_NS6detail17trampoline_kernelINS0_14default_configENS1_35adjacent_difference_config_selectorILb1EfEEZNS1_24adjacent_difference_implIS3_Lb1ELb0EPfS7_N6thrust23THRUST_200600_302600_NS4plusIfEEEE10hipError_tPvRmT2_T3_mT4_P12ihipStream_tbEUlT_E_NS1_11comp_targetILNS1_3genE2ELNS1_11target_archE906ELNS1_3gpuE6ELNS1_3repE0EEENS1_30default_config_static_selectorELNS0_4arch9wavefront6targetE1EEEvT1_,"axG",@progbits,_ZN7rocprim17ROCPRIM_400000_NS6detail17trampoline_kernelINS0_14default_configENS1_35adjacent_difference_config_selectorILb1EfEEZNS1_24adjacent_difference_implIS3_Lb1ELb0EPfS7_N6thrust23THRUST_200600_302600_NS4plusIfEEEE10hipError_tPvRmT2_T3_mT4_P12ihipStream_tbEUlT_E_NS1_11comp_targetILNS1_3genE2ELNS1_11target_archE906ELNS1_3gpuE6ELNS1_3repE0EEENS1_30default_config_static_selectorELNS0_4arch9wavefront6targetE1EEEvT1_,comdat
.Lfunc_end200:
	.size	_ZN7rocprim17ROCPRIM_400000_NS6detail17trampoline_kernelINS0_14default_configENS1_35adjacent_difference_config_selectorILb1EfEEZNS1_24adjacent_difference_implIS3_Lb1ELb0EPfS7_N6thrust23THRUST_200600_302600_NS4plusIfEEEE10hipError_tPvRmT2_T3_mT4_P12ihipStream_tbEUlT_E_NS1_11comp_targetILNS1_3genE2ELNS1_11target_archE906ELNS1_3gpuE6ELNS1_3repE0EEENS1_30default_config_static_selectorELNS0_4arch9wavefront6targetE1EEEvT1_, .Lfunc_end200-_ZN7rocprim17ROCPRIM_400000_NS6detail17trampoline_kernelINS0_14default_configENS1_35adjacent_difference_config_selectorILb1EfEEZNS1_24adjacent_difference_implIS3_Lb1ELb0EPfS7_N6thrust23THRUST_200600_302600_NS4plusIfEEEE10hipError_tPvRmT2_T3_mT4_P12ihipStream_tbEUlT_E_NS1_11comp_targetILNS1_3genE2ELNS1_11target_archE906ELNS1_3gpuE6ELNS1_3repE0EEENS1_30default_config_static_selectorELNS0_4arch9wavefront6targetE1EEEvT1_
                                        ; -- End function
	.section	.AMDGPU.csdata,"",@progbits
; Kernel info:
; codeLenInByte = 0
; NumSgprs: 4
; NumVgprs: 0
; NumAgprs: 0
; TotalNumVgprs: 0
; ScratchSize: 0
; MemoryBound: 0
; FloatMode: 240
; IeeeMode: 1
; LDSByteSize: 0 bytes/workgroup (compile time only)
; SGPRBlocks: 0
; VGPRBlocks: 0
; NumSGPRsForWavesPerEU: 4
; NumVGPRsForWavesPerEU: 1
; AccumOffset: 4
; Occupancy: 8
; WaveLimiterHint : 0
; COMPUTE_PGM_RSRC2:SCRATCH_EN: 0
; COMPUTE_PGM_RSRC2:USER_SGPR: 6
; COMPUTE_PGM_RSRC2:TRAP_HANDLER: 0
; COMPUTE_PGM_RSRC2:TGID_X_EN: 1
; COMPUTE_PGM_RSRC2:TGID_Y_EN: 0
; COMPUTE_PGM_RSRC2:TGID_Z_EN: 0
; COMPUTE_PGM_RSRC2:TIDIG_COMP_CNT: 0
; COMPUTE_PGM_RSRC3_GFX90A:ACCUM_OFFSET: 0
; COMPUTE_PGM_RSRC3_GFX90A:TG_SPLIT: 0
	.section	.text._ZN7rocprim17ROCPRIM_400000_NS6detail17trampoline_kernelINS0_14default_configENS1_35adjacent_difference_config_selectorILb1EfEEZNS1_24adjacent_difference_implIS3_Lb1ELb0EPfS7_N6thrust23THRUST_200600_302600_NS4plusIfEEEE10hipError_tPvRmT2_T3_mT4_P12ihipStream_tbEUlT_E_NS1_11comp_targetILNS1_3genE9ELNS1_11target_archE1100ELNS1_3gpuE3ELNS1_3repE0EEENS1_30default_config_static_selectorELNS0_4arch9wavefront6targetE1EEEvT1_,"axG",@progbits,_ZN7rocprim17ROCPRIM_400000_NS6detail17trampoline_kernelINS0_14default_configENS1_35adjacent_difference_config_selectorILb1EfEEZNS1_24adjacent_difference_implIS3_Lb1ELb0EPfS7_N6thrust23THRUST_200600_302600_NS4plusIfEEEE10hipError_tPvRmT2_T3_mT4_P12ihipStream_tbEUlT_E_NS1_11comp_targetILNS1_3genE9ELNS1_11target_archE1100ELNS1_3gpuE3ELNS1_3repE0EEENS1_30default_config_static_selectorELNS0_4arch9wavefront6targetE1EEEvT1_,comdat
	.protected	_ZN7rocprim17ROCPRIM_400000_NS6detail17trampoline_kernelINS0_14default_configENS1_35adjacent_difference_config_selectorILb1EfEEZNS1_24adjacent_difference_implIS3_Lb1ELb0EPfS7_N6thrust23THRUST_200600_302600_NS4plusIfEEEE10hipError_tPvRmT2_T3_mT4_P12ihipStream_tbEUlT_E_NS1_11comp_targetILNS1_3genE9ELNS1_11target_archE1100ELNS1_3gpuE3ELNS1_3repE0EEENS1_30default_config_static_selectorELNS0_4arch9wavefront6targetE1EEEvT1_ ; -- Begin function _ZN7rocprim17ROCPRIM_400000_NS6detail17trampoline_kernelINS0_14default_configENS1_35adjacent_difference_config_selectorILb1EfEEZNS1_24adjacent_difference_implIS3_Lb1ELb0EPfS7_N6thrust23THRUST_200600_302600_NS4plusIfEEEE10hipError_tPvRmT2_T3_mT4_P12ihipStream_tbEUlT_E_NS1_11comp_targetILNS1_3genE9ELNS1_11target_archE1100ELNS1_3gpuE3ELNS1_3repE0EEENS1_30default_config_static_selectorELNS0_4arch9wavefront6targetE1EEEvT1_
	.globl	_ZN7rocprim17ROCPRIM_400000_NS6detail17trampoline_kernelINS0_14default_configENS1_35adjacent_difference_config_selectorILb1EfEEZNS1_24adjacent_difference_implIS3_Lb1ELb0EPfS7_N6thrust23THRUST_200600_302600_NS4plusIfEEEE10hipError_tPvRmT2_T3_mT4_P12ihipStream_tbEUlT_E_NS1_11comp_targetILNS1_3genE9ELNS1_11target_archE1100ELNS1_3gpuE3ELNS1_3repE0EEENS1_30default_config_static_selectorELNS0_4arch9wavefront6targetE1EEEvT1_
	.p2align	8
	.type	_ZN7rocprim17ROCPRIM_400000_NS6detail17trampoline_kernelINS0_14default_configENS1_35adjacent_difference_config_selectorILb1EfEEZNS1_24adjacent_difference_implIS3_Lb1ELb0EPfS7_N6thrust23THRUST_200600_302600_NS4plusIfEEEE10hipError_tPvRmT2_T3_mT4_P12ihipStream_tbEUlT_E_NS1_11comp_targetILNS1_3genE9ELNS1_11target_archE1100ELNS1_3gpuE3ELNS1_3repE0EEENS1_30default_config_static_selectorELNS0_4arch9wavefront6targetE1EEEvT1_,@function
_ZN7rocprim17ROCPRIM_400000_NS6detail17trampoline_kernelINS0_14default_configENS1_35adjacent_difference_config_selectorILb1EfEEZNS1_24adjacent_difference_implIS3_Lb1ELb0EPfS7_N6thrust23THRUST_200600_302600_NS4plusIfEEEE10hipError_tPvRmT2_T3_mT4_P12ihipStream_tbEUlT_E_NS1_11comp_targetILNS1_3genE9ELNS1_11target_archE1100ELNS1_3gpuE3ELNS1_3repE0EEENS1_30default_config_static_selectorELNS0_4arch9wavefront6targetE1EEEvT1_: ; @_ZN7rocprim17ROCPRIM_400000_NS6detail17trampoline_kernelINS0_14default_configENS1_35adjacent_difference_config_selectorILb1EfEEZNS1_24adjacent_difference_implIS3_Lb1ELb0EPfS7_N6thrust23THRUST_200600_302600_NS4plusIfEEEE10hipError_tPvRmT2_T3_mT4_P12ihipStream_tbEUlT_E_NS1_11comp_targetILNS1_3genE9ELNS1_11target_archE1100ELNS1_3gpuE3ELNS1_3repE0EEENS1_30default_config_static_selectorELNS0_4arch9wavefront6targetE1EEEvT1_
; %bb.0:
	.section	.rodata,"a",@progbits
	.p2align	6, 0x0
	.amdhsa_kernel _ZN7rocprim17ROCPRIM_400000_NS6detail17trampoline_kernelINS0_14default_configENS1_35adjacent_difference_config_selectorILb1EfEEZNS1_24adjacent_difference_implIS3_Lb1ELb0EPfS7_N6thrust23THRUST_200600_302600_NS4plusIfEEEE10hipError_tPvRmT2_T3_mT4_P12ihipStream_tbEUlT_E_NS1_11comp_targetILNS1_3genE9ELNS1_11target_archE1100ELNS1_3gpuE3ELNS1_3repE0EEENS1_30default_config_static_selectorELNS0_4arch9wavefront6targetE1EEEvT1_
		.amdhsa_group_segment_fixed_size 0
		.amdhsa_private_segment_fixed_size 0
		.amdhsa_kernarg_size 56
		.amdhsa_user_sgpr_count 6
		.amdhsa_user_sgpr_private_segment_buffer 1
		.amdhsa_user_sgpr_dispatch_ptr 0
		.amdhsa_user_sgpr_queue_ptr 0
		.amdhsa_user_sgpr_kernarg_segment_ptr 1
		.amdhsa_user_sgpr_dispatch_id 0
		.amdhsa_user_sgpr_flat_scratch_init 0
		.amdhsa_user_sgpr_kernarg_preload_length 0
		.amdhsa_user_sgpr_kernarg_preload_offset 0
		.amdhsa_user_sgpr_private_segment_size 0
		.amdhsa_uses_dynamic_stack 0
		.amdhsa_system_sgpr_private_segment_wavefront_offset 0
		.amdhsa_system_sgpr_workgroup_id_x 1
		.amdhsa_system_sgpr_workgroup_id_y 0
		.amdhsa_system_sgpr_workgroup_id_z 0
		.amdhsa_system_sgpr_workgroup_info 0
		.amdhsa_system_vgpr_workitem_id 0
		.amdhsa_next_free_vgpr 1
		.amdhsa_next_free_sgpr 0
		.amdhsa_accum_offset 4
		.amdhsa_reserve_vcc 0
		.amdhsa_reserve_flat_scratch 0
		.amdhsa_float_round_mode_32 0
		.amdhsa_float_round_mode_16_64 0
		.amdhsa_float_denorm_mode_32 3
		.amdhsa_float_denorm_mode_16_64 3
		.amdhsa_dx10_clamp 1
		.amdhsa_ieee_mode 1
		.amdhsa_fp16_overflow 0
		.amdhsa_tg_split 0
		.amdhsa_exception_fp_ieee_invalid_op 0
		.amdhsa_exception_fp_denorm_src 0
		.amdhsa_exception_fp_ieee_div_zero 0
		.amdhsa_exception_fp_ieee_overflow 0
		.amdhsa_exception_fp_ieee_underflow 0
		.amdhsa_exception_fp_ieee_inexact 0
		.amdhsa_exception_int_div_zero 0
	.end_amdhsa_kernel
	.section	.text._ZN7rocprim17ROCPRIM_400000_NS6detail17trampoline_kernelINS0_14default_configENS1_35adjacent_difference_config_selectorILb1EfEEZNS1_24adjacent_difference_implIS3_Lb1ELb0EPfS7_N6thrust23THRUST_200600_302600_NS4plusIfEEEE10hipError_tPvRmT2_T3_mT4_P12ihipStream_tbEUlT_E_NS1_11comp_targetILNS1_3genE9ELNS1_11target_archE1100ELNS1_3gpuE3ELNS1_3repE0EEENS1_30default_config_static_selectorELNS0_4arch9wavefront6targetE1EEEvT1_,"axG",@progbits,_ZN7rocprim17ROCPRIM_400000_NS6detail17trampoline_kernelINS0_14default_configENS1_35adjacent_difference_config_selectorILb1EfEEZNS1_24adjacent_difference_implIS3_Lb1ELb0EPfS7_N6thrust23THRUST_200600_302600_NS4plusIfEEEE10hipError_tPvRmT2_T3_mT4_P12ihipStream_tbEUlT_E_NS1_11comp_targetILNS1_3genE9ELNS1_11target_archE1100ELNS1_3gpuE3ELNS1_3repE0EEENS1_30default_config_static_selectorELNS0_4arch9wavefront6targetE1EEEvT1_,comdat
.Lfunc_end201:
	.size	_ZN7rocprim17ROCPRIM_400000_NS6detail17trampoline_kernelINS0_14default_configENS1_35adjacent_difference_config_selectorILb1EfEEZNS1_24adjacent_difference_implIS3_Lb1ELb0EPfS7_N6thrust23THRUST_200600_302600_NS4plusIfEEEE10hipError_tPvRmT2_T3_mT4_P12ihipStream_tbEUlT_E_NS1_11comp_targetILNS1_3genE9ELNS1_11target_archE1100ELNS1_3gpuE3ELNS1_3repE0EEENS1_30default_config_static_selectorELNS0_4arch9wavefront6targetE1EEEvT1_, .Lfunc_end201-_ZN7rocprim17ROCPRIM_400000_NS6detail17trampoline_kernelINS0_14default_configENS1_35adjacent_difference_config_selectorILb1EfEEZNS1_24adjacent_difference_implIS3_Lb1ELb0EPfS7_N6thrust23THRUST_200600_302600_NS4plusIfEEEE10hipError_tPvRmT2_T3_mT4_P12ihipStream_tbEUlT_E_NS1_11comp_targetILNS1_3genE9ELNS1_11target_archE1100ELNS1_3gpuE3ELNS1_3repE0EEENS1_30default_config_static_selectorELNS0_4arch9wavefront6targetE1EEEvT1_
                                        ; -- End function
	.section	.AMDGPU.csdata,"",@progbits
; Kernel info:
; codeLenInByte = 0
; NumSgprs: 4
; NumVgprs: 0
; NumAgprs: 0
; TotalNumVgprs: 0
; ScratchSize: 0
; MemoryBound: 0
; FloatMode: 240
; IeeeMode: 1
; LDSByteSize: 0 bytes/workgroup (compile time only)
; SGPRBlocks: 0
; VGPRBlocks: 0
; NumSGPRsForWavesPerEU: 4
; NumVGPRsForWavesPerEU: 1
; AccumOffset: 4
; Occupancy: 8
; WaveLimiterHint : 0
; COMPUTE_PGM_RSRC2:SCRATCH_EN: 0
; COMPUTE_PGM_RSRC2:USER_SGPR: 6
; COMPUTE_PGM_RSRC2:TRAP_HANDLER: 0
; COMPUTE_PGM_RSRC2:TGID_X_EN: 1
; COMPUTE_PGM_RSRC2:TGID_Y_EN: 0
; COMPUTE_PGM_RSRC2:TGID_Z_EN: 0
; COMPUTE_PGM_RSRC2:TIDIG_COMP_CNT: 0
; COMPUTE_PGM_RSRC3_GFX90A:ACCUM_OFFSET: 0
; COMPUTE_PGM_RSRC3_GFX90A:TG_SPLIT: 0
	.section	.text._ZN7rocprim17ROCPRIM_400000_NS6detail17trampoline_kernelINS0_14default_configENS1_35adjacent_difference_config_selectorILb1EfEEZNS1_24adjacent_difference_implIS3_Lb1ELb0EPfS7_N6thrust23THRUST_200600_302600_NS4plusIfEEEE10hipError_tPvRmT2_T3_mT4_P12ihipStream_tbEUlT_E_NS1_11comp_targetILNS1_3genE8ELNS1_11target_archE1030ELNS1_3gpuE2ELNS1_3repE0EEENS1_30default_config_static_selectorELNS0_4arch9wavefront6targetE1EEEvT1_,"axG",@progbits,_ZN7rocprim17ROCPRIM_400000_NS6detail17trampoline_kernelINS0_14default_configENS1_35adjacent_difference_config_selectorILb1EfEEZNS1_24adjacent_difference_implIS3_Lb1ELb0EPfS7_N6thrust23THRUST_200600_302600_NS4plusIfEEEE10hipError_tPvRmT2_T3_mT4_P12ihipStream_tbEUlT_E_NS1_11comp_targetILNS1_3genE8ELNS1_11target_archE1030ELNS1_3gpuE2ELNS1_3repE0EEENS1_30default_config_static_selectorELNS0_4arch9wavefront6targetE1EEEvT1_,comdat
	.protected	_ZN7rocprim17ROCPRIM_400000_NS6detail17trampoline_kernelINS0_14default_configENS1_35adjacent_difference_config_selectorILb1EfEEZNS1_24adjacent_difference_implIS3_Lb1ELb0EPfS7_N6thrust23THRUST_200600_302600_NS4plusIfEEEE10hipError_tPvRmT2_T3_mT4_P12ihipStream_tbEUlT_E_NS1_11comp_targetILNS1_3genE8ELNS1_11target_archE1030ELNS1_3gpuE2ELNS1_3repE0EEENS1_30default_config_static_selectorELNS0_4arch9wavefront6targetE1EEEvT1_ ; -- Begin function _ZN7rocprim17ROCPRIM_400000_NS6detail17trampoline_kernelINS0_14default_configENS1_35adjacent_difference_config_selectorILb1EfEEZNS1_24adjacent_difference_implIS3_Lb1ELb0EPfS7_N6thrust23THRUST_200600_302600_NS4plusIfEEEE10hipError_tPvRmT2_T3_mT4_P12ihipStream_tbEUlT_E_NS1_11comp_targetILNS1_3genE8ELNS1_11target_archE1030ELNS1_3gpuE2ELNS1_3repE0EEENS1_30default_config_static_selectorELNS0_4arch9wavefront6targetE1EEEvT1_
	.globl	_ZN7rocprim17ROCPRIM_400000_NS6detail17trampoline_kernelINS0_14default_configENS1_35adjacent_difference_config_selectorILb1EfEEZNS1_24adjacent_difference_implIS3_Lb1ELb0EPfS7_N6thrust23THRUST_200600_302600_NS4plusIfEEEE10hipError_tPvRmT2_T3_mT4_P12ihipStream_tbEUlT_E_NS1_11comp_targetILNS1_3genE8ELNS1_11target_archE1030ELNS1_3gpuE2ELNS1_3repE0EEENS1_30default_config_static_selectorELNS0_4arch9wavefront6targetE1EEEvT1_
	.p2align	8
	.type	_ZN7rocprim17ROCPRIM_400000_NS6detail17trampoline_kernelINS0_14default_configENS1_35adjacent_difference_config_selectorILb1EfEEZNS1_24adjacent_difference_implIS3_Lb1ELb0EPfS7_N6thrust23THRUST_200600_302600_NS4plusIfEEEE10hipError_tPvRmT2_T3_mT4_P12ihipStream_tbEUlT_E_NS1_11comp_targetILNS1_3genE8ELNS1_11target_archE1030ELNS1_3gpuE2ELNS1_3repE0EEENS1_30default_config_static_selectorELNS0_4arch9wavefront6targetE1EEEvT1_,@function
_ZN7rocprim17ROCPRIM_400000_NS6detail17trampoline_kernelINS0_14default_configENS1_35adjacent_difference_config_selectorILb1EfEEZNS1_24adjacent_difference_implIS3_Lb1ELb0EPfS7_N6thrust23THRUST_200600_302600_NS4plusIfEEEE10hipError_tPvRmT2_T3_mT4_P12ihipStream_tbEUlT_E_NS1_11comp_targetILNS1_3genE8ELNS1_11target_archE1030ELNS1_3gpuE2ELNS1_3repE0EEENS1_30default_config_static_selectorELNS0_4arch9wavefront6targetE1EEEvT1_: ; @_ZN7rocprim17ROCPRIM_400000_NS6detail17trampoline_kernelINS0_14default_configENS1_35adjacent_difference_config_selectorILb1EfEEZNS1_24adjacent_difference_implIS3_Lb1ELb0EPfS7_N6thrust23THRUST_200600_302600_NS4plusIfEEEE10hipError_tPvRmT2_T3_mT4_P12ihipStream_tbEUlT_E_NS1_11comp_targetILNS1_3genE8ELNS1_11target_archE1030ELNS1_3gpuE2ELNS1_3repE0EEENS1_30default_config_static_selectorELNS0_4arch9wavefront6targetE1EEEvT1_
; %bb.0:
	.section	.rodata,"a",@progbits
	.p2align	6, 0x0
	.amdhsa_kernel _ZN7rocprim17ROCPRIM_400000_NS6detail17trampoline_kernelINS0_14default_configENS1_35adjacent_difference_config_selectorILb1EfEEZNS1_24adjacent_difference_implIS3_Lb1ELb0EPfS7_N6thrust23THRUST_200600_302600_NS4plusIfEEEE10hipError_tPvRmT2_T3_mT4_P12ihipStream_tbEUlT_E_NS1_11comp_targetILNS1_3genE8ELNS1_11target_archE1030ELNS1_3gpuE2ELNS1_3repE0EEENS1_30default_config_static_selectorELNS0_4arch9wavefront6targetE1EEEvT1_
		.amdhsa_group_segment_fixed_size 0
		.amdhsa_private_segment_fixed_size 0
		.amdhsa_kernarg_size 56
		.amdhsa_user_sgpr_count 6
		.amdhsa_user_sgpr_private_segment_buffer 1
		.amdhsa_user_sgpr_dispatch_ptr 0
		.amdhsa_user_sgpr_queue_ptr 0
		.amdhsa_user_sgpr_kernarg_segment_ptr 1
		.amdhsa_user_sgpr_dispatch_id 0
		.amdhsa_user_sgpr_flat_scratch_init 0
		.amdhsa_user_sgpr_kernarg_preload_length 0
		.amdhsa_user_sgpr_kernarg_preload_offset 0
		.amdhsa_user_sgpr_private_segment_size 0
		.amdhsa_uses_dynamic_stack 0
		.amdhsa_system_sgpr_private_segment_wavefront_offset 0
		.amdhsa_system_sgpr_workgroup_id_x 1
		.amdhsa_system_sgpr_workgroup_id_y 0
		.amdhsa_system_sgpr_workgroup_id_z 0
		.amdhsa_system_sgpr_workgroup_info 0
		.amdhsa_system_vgpr_workitem_id 0
		.amdhsa_next_free_vgpr 1
		.amdhsa_next_free_sgpr 0
		.amdhsa_accum_offset 4
		.amdhsa_reserve_vcc 0
		.amdhsa_reserve_flat_scratch 0
		.amdhsa_float_round_mode_32 0
		.amdhsa_float_round_mode_16_64 0
		.amdhsa_float_denorm_mode_32 3
		.amdhsa_float_denorm_mode_16_64 3
		.amdhsa_dx10_clamp 1
		.amdhsa_ieee_mode 1
		.amdhsa_fp16_overflow 0
		.amdhsa_tg_split 0
		.amdhsa_exception_fp_ieee_invalid_op 0
		.amdhsa_exception_fp_denorm_src 0
		.amdhsa_exception_fp_ieee_div_zero 0
		.amdhsa_exception_fp_ieee_overflow 0
		.amdhsa_exception_fp_ieee_underflow 0
		.amdhsa_exception_fp_ieee_inexact 0
		.amdhsa_exception_int_div_zero 0
	.end_amdhsa_kernel
	.section	.text._ZN7rocprim17ROCPRIM_400000_NS6detail17trampoline_kernelINS0_14default_configENS1_35adjacent_difference_config_selectorILb1EfEEZNS1_24adjacent_difference_implIS3_Lb1ELb0EPfS7_N6thrust23THRUST_200600_302600_NS4plusIfEEEE10hipError_tPvRmT2_T3_mT4_P12ihipStream_tbEUlT_E_NS1_11comp_targetILNS1_3genE8ELNS1_11target_archE1030ELNS1_3gpuE2ELNS1_3repE0EEENS1_30default_config_static_selectorELNS0_4arch9wavefront6targetE1EEEvT1_,"axG",@progbits,_ZN7rocprim17ROCPRIM_400000_NS6detail17trampoline_kernelINS0_14default_configENS1_35adjacent_difference_config_selectorILb1EfEEZNS1_24adjacent_difference_implIS3_Lb1ELb0EPfS7_N6thrust23THRUST_200600_302600_NS4plusIfEEEE10hipError_tPvRmT2_T3_mT4_P12ihipStream_tbEUlT_E_NS1_11comp_targetILNS1_3genE8ELNS1_11target_archE1030ELNS1_3gpuE2ELNS1_3repE0EEENS1_30default_config_static_selectorELNS0_4arch9wavefront6targetE1EEEvT1_,comdat
.Lfunc_end202:
	.size	_ZN7rocprim17ROCPRIM_400000_NS6detail17trampoline_kernelINS0_14default_configENS1_35adjacent_difference_config_selectorILb1EfEEZNS1_24adjacent_difference_implIS3_Lb1ELb0EPfS7_N6thrust23THRUST_200600_302600_NS4plusIfEEEE10hipError_tPvRmT2_T3_mT4_P12ihipStream_tbEUlT_E_NS1_11comp_targetILNS1_3genE8ELNS1_11target_archE1030ELNS1_3gpuE2ELNS1_3repE0EEENS1_30default_config_static_selectorELNS0_4arch9wavefront6targetE1EEEvT1_, .Lfunc_end202-_ZN7rocprim17ROCPRIM_400000_NS6detail17trampoline_kernelINS0_14default_configENS1_35adjacent_difference_config_selectorILb1EfEEZNS1_24adjacent_difference_implIS3_Lb1ELb0EPfS7_N6thrust23THRUST_200600_302600_NS4plusIfEEEE10hipError_tPvRmT2_T3_mT4_P12ihipStream_tbEUlT_E_NS1_11comp_targetILNS1_3genE8ELNS1_11target_archE1030ELNS1_3gpuE2ELNS1_3repE0EEENS1_30default_config_static_selectorELNS0_4arch9wavefront6targetE1EEEvT1_
                                        ; -- End function
	.section	.AMDGPU.csdata,"",@progbits
; Kernel info:
; codeLenInByte = 0
; NumSgprs: 4
; NumVgprs: 0
; NumAgprs: 0
; TotalNumVgprs: 0
; ScratchSize: 0
; MemoryBound: 0
; FloatMode: 240
; IeeeMode: 1
; LDSByteSize: 0 bytes/workgroup (compile time only)
; SGPRBlocks: 0
; VGPRBlocks: 0
; NumSGPRsForWavesPerEU: 4
; NumVGPRsForWavesPerEU: 1
; AccumOffset: 4
; Occupancy: 8
; WaveLimiterHint : 0
; COMPUTE_PGM_RSRC2:SCRATCH_EN: 0
; COMPUTE_PGM_RSRC2:USER_SGPR: 6
; COMPUTE_PGM_RSRC2:TRAP_HANDLER: 0
; COMPUTE_PGM_RSRC2:TGID_X_EN: 1
; COMPUTE_PGM_RSRC2:TGID_Y_EN: 0
; COMPUTE_PGM_RSRC2:TGID_Z_EN: 0
; COMPUTE_PGM_RSRC2:TIDIG_COMP_CNT: 0
; COMPUTE_PGM_RSRC3_GFX90A:ACCUM_OFFSET: 0
; COMPUTE_PGM_RSRC3_GFX90A:TG_SPLIT: 0
	.section	.text._ZN6thrust23THRUST_200600_302600_NS11hip_rocprim14__parallel_for6kernelILj256ENS1_10for_each_fINS0_10device_ptrI14custom_numericEENS0_6detail16wrapped_functionINS8_23allocator_traits_detail24construct1_via_allocatorINS0_16device_allocatorIS6_EEEEvEEEEmLj1EEEvT0_T1_SI_,"axG",@progbits,_ZN6thrust23THRUST_200600_302600_NS11hip_rocprim14__parallel_for6kernelILj256ENS1_10for_each_fINS0_10device_ptrI14custom_numericEENS0_6detail16wrapped_functionINS8_23allocator_traits_detail24construct1_via_allocatorINS0_16device_allocatorIS6_EEEEvEEEEmLj1EEEvT0_T1_SI_,comdat
	.protected	_ZN6thrust23THRUST_200600_302600_NS11hip_rocprim14__parallel_for6kernelILj256ENS1_10for_each_fINS0_10device_ptrI14custom_numericEENS0_6detail16wrapped_functionINS8_23allocator_traits_detail24construct1_via_allocatorINS0_16device_allocatorIS6_EEEEvEEEEmLj1EEEvT0_T1_SI_ ; -- Begin function _ZN6thrust23THRUST_200600_302600_NS11hip_rocprim14__parallel_for6kernelILj256ENS1_10for_each_fINS0_10device_ptrI14custom_numericEENS0_6detail16wrapped_functionINS8_23allocator_traits_detail24construct1_via_allocatorINS0_16device_allocatorIS6_EEEEvEEEEmLj1EEEvT0_T1_SI_
	.globl	_ZN6thrust23THRUST_200600_302600_NS11hip_rocprim14__parallel_for6kernelILj256ENS1_10for_each_fINS0_10device_ptrI14custom_numericEENS0_6detail16wrapped_functionINS8_23allocator_traits_detail24construct1_via_allocatorINS0_16device_allocatorIS6_EEEEvEEEEmLj1EEEvT0_T1_SI_
	.p2align	8
	.type	_ZN6thrust23THRUST_200600_302600_NS11hip_rocprim14__parallel_for6kernelILj256ENS1_10for_each_fINS0_10device_ptrI14custom_numericEENS0_6detail16wrapped_functionINS8_23allocator_traits_detail24construct1_via_allocatorINS0_16device_allocatorIS6_EEEEvEEEEmLj1EEEvT0_T1_SI_,@function
_ZN6thrust23THRUST_200600_302600_NS11hip_rocprim14__parallel_for6kernelILj256ENS1_10for_each_fINS0_10device_ptrI14custom_numericEENS0_6detail16wrapped_functionINS8_23allocator_traits_detail24construct1_via_allocatorINS0_16device_allocatorIS6_EEEEvEEEEmLj1EEEvT0_T1_SI_: ; @_ZN6thrust23THRUST_200600_302600_NS11hip_rocprim14__parallel_for6kernelILj256ENS1_10for_each_fINS0_10device_ptrI14custom_numericEENS0_6detail16wrapped_functionINS8_23allocator_traits_detail24construct1_via_allocatorINS0_16device_allocatorIS6_EEEEvEEEEmLj1EEEvT0_T1_SI_
; %bb.0:
	s_load_dwordx4 s[0:3], s[4:5], 0x10
	s_lshl_b32 s6, s6, 8
	v_mov_b32_e32 v2, 0x100
	v_mov_b32_e32 v3, 0
	s_waitcnt lgkmcnt(0)
	s_add_u32 s6, s6, s2
	s_addc_u32 s7, 0, s3
	s_sub_u32 s0, s0, s6
	s_subb_u32 s1, s1, s7
	v_cmp_lt_u64_e32 vcc, s[0:1], v[2:3]
	s_cbranch_vccz .LBB203_2
; %bb.1:
	v_cmp_gt_u32_e32 vcc, s0, v0
	s_and_b64 s[0:1], vcc, exec
	s_cbranch_execz .LBB203_3
	s_branch .LBB203_4
.LBB203_2:
	s_mov_b64 s[0:1], 0
.LBB203_3:
	s_or_b64 s[0:1], s[0:1], exec
.LBB203_4:
	s_and_saveexec_b64 s[2:3], s[0:1]
	s_cbranch_execnz .LBB203_6
; %bb.5:
	s_endpgm
.LBB203_6:
	s_load_dwordx2 s[0:1], s[4:5], 0x0
	s_mul_i32 s7, s7, 20
	s_mul_hi_u32 s2, s6, 20
	s_mul_i32 s6, s6, 20
	s_add_i32 s2, s2, s7
	s_waitcnt lgkmcnt(0)
	s_add_u32 s0, s0, s6
	s_addc_u32 s1, s1, s2
	v_mad_u64_u32 v[4:5], s[0:1], v0, 20, s[0:1]
	v_mov_b32_e32 v0, 0
	v_mov_b32_e32 v1, v0
	;; [unrolled: 1-line block ×4, first 2 shown]
	flat_store_dwordx4 v[4:5], v[0:3]
	flat_store_dword v[4:5], v0 offset:16
	s_endpgm
	.section	.rodata,"a",@progbits
	.p2align	6, 0x0
	.amdhsa_kernel _ZN6thrust23THRUST_200600_302600_NS11hip_rocprim14__parallel_for6kernelILj256ENS1_10for_each_fINS0_10device_ptrI14custom_numericEENS0_6detail16wrapped_functionINS8_23allocator_traits_detail24construct1_via_allocatorINS0_16device_allocatorIS6_EEEEvEEEEmLj1EEEvT0_T1_SI_
		.amdhsa_group_segment_fixed_size 0
		.amdhsa_private_segment_fixed_size 0
		.amdhsa_kernarg_size 32
		.amdhsa_user_sgpr_count 6
		.amdhsa_user_sgpr_private_segment_buffer 1
		.amdhsa_user_sgpr_dispatch_ptr 0
		.amdhsa_user_sgpr_queue_ptr 0
		.amdhsa_user_sgpr_kernarg_segment_ptr 1
		.amdhsa_user_sgpr_dispatch_id 0
		.amdhsa_user_sgpr_flat_scratch_init 0
		.amdhsa_user_sgpr_kernarg_preload_length 0
		.amdhsa_user_sgpr_kernarg_preload_offset 0
		.amdhsa_user_sgpr_private_segment_size 0
		.amdhsa_uses_dynamic_stack 0
		.amdhsa_system_sgpr_private_segment_wavefront_offset 0
		.amdhsa_system_sgpr_workgroup_id_x 1
		.amdhsa_system_sgpr_workgroup_id_y 0
		.amdhsa_system_sgpr_workgroup_id_z 0
		.amdhsa_system_sgpr_workgroup_info 0
		.amdhsa_system_vgpr_workitem_id 0
		.amdhsa_next_free_vgpr 6
		.amdhsa_next_free_sgpr 8
		.amdhsa_accum_offset 8
		.amdhsa_reserve_vcc 1
		.amdhsa_reserve_flat_scratch 0
		.amdhsa_float_round_mode_32 0
		.amdhsa_float_round_mode_16_64 0
		.amdhsa_float_denorm_mode_32 3
		.amdhsa_float_denorm_mode_16_64 3
		.amdhsa_dx10_clamp 1
		.amdhsa_ieee_mode 1
		.amdhsa_fp16_overflow 0
		.amdhsa_tg_split 0
		.amdhsa_exception_fp_ieee_invalid_op 0
		.amdhsa_exception_fp_denorm_src 0
		.amdhsa_exception_fp_ieee_div_zero 0
		.amdhsa_exception_fp_ieee_overflow 0
		.amdhsa_exception_fp_ieee_underflow 0
		.amdhsa_exception_fp_ieee_inexact 0
		.amdhsa_exception_int_div_zero 0
	.end_amdhsa_kernel
	.section	.text._ZN6thrust23THRUST_200600_302600_NS11hip_rocprim14__parallel_for6kernelILj256ENS1_10for_each_fINS0_10device_ptrI14custom_numericEENS0_6detail16wrapped_functionINS8_23allocator_traits_detail24construct1_via_allocatorINS0_16device_allocatorIS6_EEEEvEEEEmLj1EEEvT0_T1_SI_,"axG",@progbits,_ZN6thrust23THRUST_200600_302600_NS11hip_rocprim14__parallel_for6kernelILj256ENS1_10for_each_fINS0_10device_ptrI14custom_numericEENS0_6detail16wrapped_functionINS8_23allocator_traits_detail24construct1_via_allocatorINS0_16device_allocatorIS6_EEEEvEEEEmLj1EEEvT0_T1_SI_,comdat
.Lfunc_end203:
	.size	_ZN6thrust23THRUST_200600_302600_NS11hip_rocprim14__parallel_for6kernelILj256ENS1_10for_each_fINS0_10device_ptrI14custom_numericEENS0_6detail16wrapped_functionINS8_23allocator_traits_detail24construct1_via_allocatorINS0_16device_allocatorIS6_EEEEvEEEEmLj1EEEvT0_T1_SI_, .Lfunc_end203-_ZN6thrust23THRUST_200600_302600_NS11hip_rocprim14__parallel_for6kernelILj256ENS1_10for_each_fINS0_10device_ptrI14custom_numericEENS0_6detail16wrapped_functionINS8_23allocator_traits_detail24construct1_via_allocatorINS0_16device_allocatorIS6_EEEEvEEEEmLj1EEEvT0_T1_SI_
                                        ; -- End function
	.section	.AMDGPU.csdata,"",@progbits
; Kernel info:
; codeLenInByte = 168
; NumSgprs: 12
; NumVgprs: 6
; NumAgprs: 0
; TotalNumVgprs: 6
; ScratchSize: 0
; MemoryBound: 0
; FloatMode: 240
; IeeeMode: 1
; LDSByteSize: 0 bytes/workgroup (compile time only)
; SGPRBlocks: 1
; VGPRBlocks: 0
; NumSGPRsForWavesPerEU: 12
; NumVGPRsForWavesPerEU: 6
; AccumOffset: 8
; Occupancy: 8
; WaveLimiterHint : 0
; COMPUTE_PGM_RSRC2:SCRATCH_EN: 0
; COMPUTE_PGM_RSRC2:USER_SGPR: 6
; COMPUTE_PGM_RSRC2:TRAP_HANDLER: 0
; COMPUTE_PGM_RSRC2:TGID_X_EN: 1
; COMPUTE_PGM_RSRC2:TGID_Y_EN: 0
; COMPUTE_PGM_RSRC2:TGID_Z_EN: 0
; COMPUTE_PGM_RSRC2:TIDIG_COMP_CNT: 0
; COMPUTE_PGM_RSRC3_GFX90A:ACCUM_OFFSET: 1
; COMPUTE_PGM_RSRC3_GFX90A:TG_SPLIT: 0
	.section	.text._ZN6thrust23THRUST_200600_302600_NS11hip_rocprim14__parallel_for6kernelILj256ENS1_10for_each_fINS0_10device_ptrI14custom_numericEENS0_6detail16wrapped_functionINS8_23allocator_traits_detail5gozerEvEEEElLj1EEEvT0_T1_SF_,"axG",@progbits,_ZN6thrust23THRUST_200600_302600_NS11hip_rocprim14__parallel_for6kernelILj256ENS1_10for_each_fINS0_10device_ptrI14custom_numericEENS0_6detail16wrapped_functionINS8_23allocator_traits_detail5gozerEvEEEElLj1EEEvT0_T1_SF_,comdat
	.protected	_ZN6thrust23THRUST_200600_302600_NS11hip_rocprim14__parallel_for6kernelILj256ENS1_10for_each_fINS0_10device_ptrI14custom_numericEENS0_6detail16wrapped_functionINS8_23allocator_traits_detail5gozerEvEEEElLj1EEEvT0_T1_SF_ ; -- Begin function _ZN6thrust23THRUST_200600_302600_NS11hip_rocprim14__parallel_for6kernelILj256ENS1_10for_each_fINS0_10device_ptrI14custom_numericEENS0_6detail16wrapped_functionINS8_23allocator_traits_detail5gozerEvEEEElLj1EEEvT0_T1_SF_
	.globl	_ZN6thrust23THRUST_200600_302600_NS11hip_rocprim14__parallel_for6kernelILj256ENS1_10for_each_fINS0_10device_ptrI14custom_numericEENS0_6detail16wrapped_functionINS8_23allocator_traits_detail5gozerEvEEEElLj1EEEvT0_T1_SF_
	.p2align	8
	.type	_ZN6thrust23THRUST_200600_302600_NS11hip_rocprim14__parallel_for6kernelILj256ENS1_10for_each_fINS0_10device_ptrI14custom_numericEENS0_6detail16wrapped_functionINS8_23allocator_traits_detail5gozerEvEEEElLj1EEEvT0_T1_SF_,@function
_ZN6thrust23THRUST_200600_302600_NS11hip_rocprim14__parallel_for6kernelILj256ENS1_10for_each_fINS0_10device_ptrI14custom_numericEENS0_6detail16wrapped_functionINS8_23allocator_traits_detail5gozerEvEEEElLj1EEEvT0_T1_SF_: ; @_ZN6thrust23THRUST_200600_302600_NS11hip_rocprim14__parallel_for6kernelILj256ENS1_10for_each_fINS0_10device_ptrI14custom_numericEENS0_6detail16wrapped_functionINS8_23allocator_traits_detail5gozerEvEEEElLj1EEEvT0_T1_SF_
; %bb.0:
	s_endpgm
	.section	.rodata,"a",@progbits
	.p2align	6, 0x0
	.amdhsa_kernel _ZN6thrust23THRUST_200600_302600_NS11hip_rocprim14__parallel_for6kernelILj256ENS1_10for_each_fINS0_10device_ptrI14custom_numericEENS0_6detail16wrapped_functionINS8_23allocator_traits_detail5gozerEvEEEElLj1EEEvT0_T1_SF_
		.amdhsa_group_segment_fixed_size 0
		.amdhsa_private_segment_fixed_size 0
		.amdhsa_kernarg_size 32
		.amdhsa_user_sgpr_count 6
		.amdhsa_user_sgpr_private_segment_buffer 1
		.amdhsa_user_sgpr_dispatch_ptr 0
		.amdhsa_user_sgpr_queue_ptr 0
		.amdhsa_user_sgpr_kernarg_segment_ptr 1
		.amdhsa_user_sgpr_dispatch_id 0
		.amdhsa_user_sgpr_flat_scratch_init 0
		.amdhsa_user_sgpr_kernarg_preload_length 0
		.amdhsa_user_sgpr_kernarg_preload_offset 0
		.amdhsa_user_sgpr_private_segment_size 0
		.amdhsa_uses_dynamic_stack 0
		.amdhsa_system_sgpr_private_segment_wavefront_offset 0
		.amdhsa_system_sgpr_workgroup_id_x 1
		.amdhsa_system_sgpr_workgroup_id_y 0
		.amdhsa_system_sgpr_workgroup_id_z 0
		.amdhsa_system_sgpr_workgroup_info 0
		.amdhsa_system_vgpr_workitem_id 0
		.amdhsa_next_free_vgpr 1
		.amdhsa_next_free_sgpr 0
		.amdhsa_accum_offset 4
		.amdhsa_reserve_vcc 0
		.amdhsa_reserve_flat_scratch 0
		.amdhsa_float_round_mode_32 0
		.amdhsa_float_round_mode_16_64 0
		.amdhsa_float_denorm_mode_32 3
		.amdhsa_float_denorm_mode_16_64 3
		.amdhsa_dx10_clamp 1
		.amdhsa_ieee_mode 1
		.amdhsa_fp16_overflow 0
		.amdhsa_tg_split 0
		.amdhsa_exception_fp_ieee_invalid_op 0
		.amdhsa_exception_fp_denorm_src 0
		.amdhsa_exception_fp_ieee_div_zero 0
		.amdhsa_exception_fp_ieee_overflow 0
		.amdhsa_exception_fp_ieee_underflow 0
		.amdhsa_exception_fp_ieee_inexact 0
		.amdhsa_exception_int_div_zero 0
	.end_amdhsa_kernel
	.section	.text._ZN6thrust23THRUST_200600_302600_NS11hip_rocprim14__parallel_for6kernelILj256ENS1_10for_each_fINS0_10device_ptrI14custom_numericEENS0_6detail16wrapped_functionINS8_23allocator_traits_detail5gozerEvEEEElLj1EEEvT0_T1_SF_,"axG",@progbits,_ZN6thrust23THRUST_200600_302600_NS11hip_rocprim14__parallel_for6kernelILj256ENS1_10for_each_fINS0_10device_ptrI14custom_numericEENS0_6detail16wrapped_functionINS8_23allocator_traits_detail5gozerEvEEEElLj1EEEvT0_T1_SF_,comdat
.Lfunc_end204:
	.size	_ZN6thrust23THRUST_200600_302600_NS11hip_rocprim14__parallel_for6kernelILj256ENS1_10for_each_fINS0_10device_ptrI14custom_numericEENS0_6detail16wrapped_functionINS8_23allocator_traits_detail5gozerEvEEEElLj1EEEvT0_T1_SF_, .Lfunc_end204-_ZN6thrust23THRUST_200600_302600_NS11hip_rocprim14__parallel_for6kernelILj256ENS1_10for_each_fINS0_10device_ptrI14custom_numericEENS0_6detail16wrapped_functionINS8_23allocator_traits_detail5gozerEvEEEElLj1EEEvT0_T1_SF_
                                        ; -- End function
	.section	.AMDGPU.csdata,"",@progbits
; Kernel info:
; codeLenInByte = 4
; NumSgprs: 4
; NumVgprs: 0
; NumAgprs: 0
; TotalNumVgprs: 0
; ScratchSize: 0
; MemoryBound: 0
; FloatMode: 240
; IeeeMode: 1
; LDSByteSize: 0 bytes/workgroup (compile time only)
; SGPRBlocks: 0
; VGPRBlocks: 0
; NumSGPRsForWavesPerEU: 4
; NumVGPRsForWavesPerEU: 1
; AccumOffset: 4
; Occupancy: 8
; WaveLimiterHint : 0
; COMPUTE_PGM_RSRC2:SCRATCH_EN: 0
; COMPUTE_PGM_RSRC2:USER_SGPR: 6
; COMPUTE_PGM_RSRC2:TRAP_HANDLER: 0
; COMPUTE_PGM_RSRC2:TGID_X_EN: 1
; COMPUTE_PGM_RSRC2:TGID_Y_EN: 0
; COMPUTE_PGM_RSRC2:TGID_Z_EN: 0
; COMPUTE_PGM_RSRC2:TIDIG_COMP_CNT: 0
; COMPUTE_PGM_RSRC3_GFX90A:ACCUM_OFFSET: 0
; COMPUTE_PGM_RSRC3_GFX90A:TG_SPLIT: 0
	.section	.text._ZN6thrust23THRUST_200600_302600_NS11hip_rocprim14__parallel_for6kernelILj256ENS1_10for_each_fINS0_7pointerI14custom_numericNS1_3tagENS0_11use_defaultES8_EENS0_6detail16wrapped_functionINSA_23allocator_traits_detail24construct1_via_allocatorINSA_18no_throw_allocatorINSA_19temporary_allocatorIS6_S7_EEEEEEvEEEEmLj1EEEvT0_T1_SM_,"axG",@progbits,_ZN6thrust23THRUST_200600_302600_NS11hip_rocprim14__parallel_for6kernelILj256ENS1_10for_each_fINS0_7pointerI14custom_numericNS1_3tagENS0_11use_defaultES8_EENS0_6detail16wrapped_functionINSA_23allocator_traits_detail24construct1_via_allocatorINSA_18no_throw_allocatorINSA_19temporary_allocatorIS6_S7_EEEEEEvEEEEmLj1EEEvT0_T1_SM_,comdat
	.protected	_ZN6thrust23THRUST_200600_302600_NS11hip_rocprim14__parallel_for6kernelILj256ENS1_10for_each_fINS0_7pointerI14custom_numericNS1_3tagENS0_11use_defaultES8_EENS0_6detail16wrapped_functionINSA_23allocator_traits_detail24construct1_via_allocatorINSA_18no_throw_allocatorINSA_19temporary_allocatorIS6_S7_EEEEEEvEEEEmLj1EEEvT0_T1_SM_ ; -- Begin function _ZN6thrust23THRUST_200600_302600_NS11hip_rocprim14__parallel_for6kernelILj256ENS1_10for_each_fINS0_7pointerI14custom_numericNS1_3tagENS0_11use_defaultES8_EENS0_6detail16wrapped_functionINSA_23allocator_traits_detail24construct1_via_allocatorINSA_18no_throw_allocatorINSA_19temporary_allocatorIS6_S7_EEEEEEvEEEEmLj1EEEvT0_T1_SM_
	.globl	_ZN6thrust23THRUST_200600_302600_NS11hip_rocprim14__parallel_for6kernelILj256ENS1_10for_each_fINS0_7pointerI14custom_numericNS1_3tagENS0_11use_defaultES8_EENS0_6detail16wrapped_functionINSA_23allocator_traits_detail24construct1_via_allocatorINSA_18no_throw_allocatorINSA_19temporary_allocatorIS6_S7_EEEEEEvEEEEmLj1EEEvT0_T1_SM_
	.p2align	8
	.type	_ZN6thrust23THRUST_200600_302600_NS11hip_rocprim14__parallel_for6kernelILj256ENS1_10for_each_fINS0_7pointerI14custom_numericNS1_3tagENS0_11use_defaultES8_EENS0_6detail16wrapped_functionINSA_23allocator_traits_detail24construct1_via_allocatorINSA_18no_throw_allocatorINSA_19temporary_allocatorIS6_S7_EEEEEEvEEEEmLj1EEEvT0_T1_SM_,@function
_ZN6thrust23THRUST_200600_302600_NS11hip_rocprim14__parallel_for6kernelILj256ENS1_10for_each_fINS0_7pointerI14custom_numericNS1_3tagENS0_11use_defaultES8_EENS0_6detail16wrapped_functionINSA_23allocator_traits_detail24construct1_via_allocatorINSA_18no_throw_allocatorINSA_19temporary_allocatorIS6_S7_EEEEEEvEEEEmLj1EEEvT0_T1_SM_: ; @_ZN6thrust23THRUST_200600_302600_NS11hip_rocprim14__parallel_for6kernelILj256ENS1_10for_each_fINS0_7pointerI14custom_numericNS1_3tagENS0_11use_defaultES8_EENS0_6detail16wrapped_functionINSA_23allocator_traits_detail24construct1_via_allocatorINSA_18no_throw_allocatorINSA_19temporary_allocatorIS6_S7_EEEEEEvEEEEmLj1EEEvT0_T1_SM_
; %bb.0:
	s_load_dwordx4 s[0:3], s[4:5], 0x10
	s_lshl_b32 s6, s6, 8
	v_mov_b32_e32 v2, 0x100
	v_mov_b32_e32 v3, 0
	s_waitcnt lgkmcnt(0)
	s_add_u32 s6, s6, s2
	s_addc_u32 s7, 0, s3
	s_sub_u32 s0, s0, s6
	s_subb_u32 s1, s1, s7
	v_cmp_lt_u64_e32 vcc, s[0:1], v[2:3]
	s_cbranch_vccz .LBB205_2
; %bb.1:
	v_cmp_gt_u32_e32 vcc, s0, v0
	s_and_b64 s[0:1], vcc, exec
	s_cbranch_execz .LBB205_3
	s_branch .LBB205_4
.LBB205_2:
	s_mov_b64 s[0:1], 0
.LBB205_3:
	s_or_b64 s[0:1], s[0:1], exec
.LBB205_4:
	s_and_saveexec_b64 s[2:3], s[0:1]
	s_cbranch_execnz .LBB205_6
; %bb.5:
	s_endpgm
.LBB205_6:
	s_load_dwordx2 s[0:1], s[4:5], 0x0
	s_mul_i32 s7, s7, 20
	s_mul_hi_u32 s2, s6, 20
	s_mul_i32 s6, s6, 20
	s_add_i32 s2, s2, s7
	s_waitcnt lgkmcnt(0)
	s_add_u32 s0, s0, s6
	s_addc_u32 s1, s1, s2
	v_mad_u64_u32 v[4:5], s[0:1], v0, 20, s[0:1]
	v_mov_b32_e32 v0, 0
	v_mov_b32_e32 v1, v0
	;; [unrolled: 1-line block ×4, first 2 shown]
	flat_store_dwordx4 v[4:5], v[0:3]
	flat_store_dword v[4:5], v0 offset:16
	s_endpgm
	.section	.rodata,"a",@progbits
	.p2align	6, 0x0
	.amdhsa_kernel _ZN6thrust23THRUST_200600_302600_NS11hip_rocprim14__parallel_for6kernelILj256ENS1_10for_each_fINS0_7pointerI14custom_numericNS1_3tagENS0_11use_defaultES8_EENS0_6detail16wrapped_functionINSA_23allocator_traits_detail24construct1_via_allocatorINSA_18no_throw_allocatorINSA_19temporary_allocatorIS6_S7_EEEEEEvEEEEmLj1EEEvT0_T1_SM_
		.amdhsa_group_segment_fixed_size 0
		.amdhsa_private_segment_fixed_size 0
		.amdhsa_kernarg_size 32
		.amdhsa_user_sgpr_count 6
		.amdhsa_user_sgpr_private_segment_buffer 1
		.amdhsa_user_sgpr_dispatch_ptr 0
		.amdhsa_user_sgpr_queue_ptr 0
		.amdhsa_user_sgpr_kernarg_segment_ptr 1
		.amdhsa_user_sgpr_dispatch_id 0
		.amdhsa_user_sgpr_flat_scratch_init 0
		.amdhsa_user_sgpr_kernarg_preload_length 0
		.amdhsa_user_sgpr_kernarg_preload_offset 0
		.amdhsa_user_sgpr_private_segment_size 0
		.amdhsa_uses_dynamic_stack 0
		.amdhsa_system_sgpr_private_segment_wavefront_offset 0
		.amdhsa_system_sgpr_workgroup_id_x 1
		.amdhsa_system_sgpr_workgroup_id_y 0
		.amdhsa_system_sgpr_workgroup_id_z 0
		.amdhsa_system_sgpr_workgroup_info 0
		.amdhsa_system_vgpr_workitem_id 0
		.amdhsa_next_free_vgpr 6
		.amdhsa_next_free_sgpr 8
		.amdhsa_accum_offset 8
		.amdhsa_reserve_vcc 1
		.amdhsa_reserve_flat_scratch 0
		.amdhsa_float_round_mode_32 0
		.amdhsa_float_round_mode_16_64 0
		.amdhsa_float_denorm_mode_32 3
		.amdhsa_float_denorm_mode_16_64 3
		.amdhsa_dx10_clamp 1
		.amdhsa_ieee_mode 1
		.amdhsa_fp16_overflow 0
		.amdhsa_tg_split 0
		.amdhsa_exception_fp_ieee_invalid_op 0
		.amdhsa_exception_fp_denorm_src 0
		.amdhsa_exception_fp_ieee_div_zero 0
		.amdhsa_exception_fp_ieee_overflow 0
		.amdhsa_exception_fp_ieee_underflow 0
		.amdhsa_exception_fp_ieee_inexact 0
		.amdhsa_exception_int_div_zero 0
	.end_amdhsa_kernel
	.section	.text._ZN6thrust23THRUST_200600_302600_NS11hip_rocprim14__parallel_for6kernelILj256ENS1_10for_each_fINS0_7pointerI14custom_numericNS1_3tagENS0_11use_defaultES8_EENS0_6detail16wrapped_functionINSA_23allocator_traits_detail24construct1_via_allocatorINSA_18no_throw_allocatorINSA_19temporary_allocatorIS6_S7_EEEEEEvEEEEmLj1EEEvT0_T1_SM_,"axG",@progbits,_ZN6thrust23THRUST_200600_302600_NS11hip_rocprim14__parallel_for6kernelILj256ENS1_10for_each_fINS0_7pointerI14custom_numericNS1_3tagENS0_11use_defaultES8_EENS0_6detail16wrapped_functionINSA_23allocator_traits_detail24construct1_via_allocatorINSA_18no_throw_allocatorINSA_19temporary_allocatorIS6_S7_EEEEEEvEEEEmLj1EEEvT0_T1_SM_,comdat
.Lfunc_end205:
	.size	_ZN6thrust23THRUST_200600_302600_NS11hip_rocprim14__parallel_for6kernelILj256ENS1_10for_each_fINS0_7pointerI14custom_numericNS1_3tagENS0_11use_defaultES8_EENS0_6detail16wrapped_functionINSA_23allocator_traits_detail24construct1_via_allocatorINSA_18no_throw_allocatorINSA_19temporary_allocatorIS6_S7_EEEEEEvEEEEmLj1EEEvT0_T1_SM_, .Lfunc_end205-_ZN6thrust23THRUST_200600_302600_NS11hip_rocprim14__parallel_for6kernelILj256ENS1_10for_each_fINS0_7pointerI14custom_numericNS1_3tagENS0_11use_defaultES8_EENS0_6detail16wrapped_functionINSA_23allocator_traits_detail24construct1_via_allocatorINSA_18no_throw_allocatorINSA_19temporary_allocatorIS6_S7_EEEEEEvEEEEmLj1EEEvT0_T1_SM_
                                        ; -- End function
	.section	.AMDGPU.csdata,"",@progbits
; Kernel info:
; codeLenInByte = 168
; NumSgprs: 12
; NumVgprs: 6
; NumAgprs: 0
; TotalNumVgprs: 6
; ScratchSize: 0
; MemoryBound: 0
; FloatMode: 240
; IeeeMode: 1
; LDSByteSize: 0 bytes/workgroup (compile time only)
; SGPRBlocks: 1
; VGPRBlocks: 0
; NumSGPRsForWavesPerEU: 12
; NumVGPRsForWavesPerEU: 6
; AccumOffset: 8
; Occupancy: 8
; WaveLimiterHint : 0
; COMPUTE_PGM_RSRC2:SCRATCH_EN: 0
; COMPUTE_PGM_RSRC2:USER_SGPR: 6
; COMPUTE_PGM_RSRC2:TRAP_HANDLER: 0
; COMPUTE_PGM_RSRC2:TGID_X_EN: 1
; COMPUTE_PGM_RSRC2:TGID_Y_EN: 0
; COMPUTE_PGM_RSRC2:TGID_Z_EN: 0
; COMPUTE_PGM_RSRC2:TIDIG_COMP_CNT: 0
; COMPUTE_PGM_RSRC3_GFX90A:ACCUM_OFFSET: 1
; COMPUTE_PGM_RSRC3_GFX90A:TG_SPLIT: 0
	.section	.text._ZN6thrust23THRUST_200600_302600_NS11hip_rocprim14__parallel_for6kernelILj256ENS1_10for_each_fINS0_7pointerI14custom_numericNS1_3tagENS0_11use_defaultES8_EENS0_6detail16wrapped_functionINSA_23allocator_traits_detail5gozerEvEEEElLj1EEEvT0_T1_SH_,"axG",@progbits,_ZN6thrust23THRUST_200600_302600_NS11hip_rocprim14__parallel_for6kernelILj256ENS1_10for_each_fINS0_7pointerI14custom_numericNS1_3tagENS0_11use_defaultES8_EENS0_6detail16wrapped_functionINSA_23allocator_traits_detail5gozerEvEEEElLj1EEEvT0_T1_SH_,comdat
	.protected	_ZN6thrust23THRUST_200600_302600_NS11hip_rocprim14__parallel_for6kernelILj256ENS1_10for_each_fINS0_7pointerI14custom_numericNS1_3tagENS0_11use_defaultES8_EENS0_6detail16wrapped_functionINSA_23allocator_traits_detail5gozerEvEEEElLj1EEEvT0_T1_SH_ ; -- Begin function _ZN6thrust23THRUST_200600_302600_NS11hip_rocprim14__parallel_for6kernelILj256ENS1_10for_each_fINS0_7pointerI14custom_numericNS1_3tagENS0_11use_defaultES8_EENS0_6detail16wrapped_functionINSA_23allocator_traits_detail5gozerEvEEEElLj1EEEvT0_T1_SH_
	.globl	_ZN6thrust23THRUST_200600_302600_NS11hip_rocprim14__parallel_for6kernelILj256ENS1_10for_each_fINS0_7pointerI14custom_numericNS1_3tagENS0_11use_defaultES8_EENS0_6detail16wrapped_functionINSA_23allocator_traits_detail5gozerEvEEEElLj1EEEvT0_T1_SH_
	.p2align	8
	.type	_ZN6thrust23THRUST_200600_302600_NS11hip_rocprim14__parallel_for6kernelILj256ENS1_10for_each_fINS0_7pointerI14custom_numericNS1_3tagENS0_11use_defaultES8_EENS0_6detail16wrapped_functionINSA_23allocator_traits_detail5gozerEvEEEElLj1EEEvT0_T1_SH_,@function
_ZN6thrust23THRUST_200600_302600_NS11hip_rocprim14__parallel_for6kernelILj256ENS1_10for_each_fINS0_7pointerI14custom_numericNS1_3tagENS0_11use_defaultES8_EENS0_6detail16wrapped_functionINSA_23allocator_traits_detail5gozerEvEEEElLj1EEEvT0_T1_SH_: ; @_ZN6thrust23THRUST_200600_302600_NS11hip_rocprim14__parallel_for6kernelILj256ENS1_10for_each_fINS0_7pointerI14custom_numericNS1_3tagENS0_11use_defaultES8_EENS0_6detail16wrapped_functionINSA_23allocator_traits_detail5gozerEvEEEElLj1EEEvT0_T1_SH_
; %bb.0:
	s_endpgm
	.section	.rodata,"a",@progbits
	.p2align	6, 0x0
	.amdhsa_kernel _ZN6thrust23THRUST_200600_302600_NS11hip_rocprim14__parallel_for6kernelILj256ENS1_10for_each_fINS0_7pointerI14custom_numericNS1_3tagENS0_11use_defaultES8_EENS0_6detail16wrapped_functionINSA_23allocator_traits_detail5gozerEvEEEElLj1EEEvT0_T1_SH_
		.amdhsa_group_segment_fixed_size 0
		.amdhsa_private_segment_fixed_size 0
		.amdhsa_kernarg_size 32
		.amdhsa_user_sgpr_count 6
		.amdhsa_user_sgpr_private_segment_buffer 1
		.amdhsa_user_sgpr_dispatch_ptr 0
		.amdhsa_user_sgpr_queue_ptr 0
		.amdhsa_user_sgpr_kernarg_segment_ptr 1
		.amdhsa_user_sgpr_dispatch_id 0
		.amdhsa_user_sgpr_flat_scratch_init 0
		.amdhsa_user_sgpr_kernarg_preload_length 0
		.amdhsa_user_sgpr_kernarg_preload_offset 0
		.amdhsa_user_sgpr_private_segment_size 0
		.amdhsa_uses_dynamic_stack 0
		.amdhsa_system_sgpr_private_segment_wavefront_offset 0
		.amdhsa_system_sgpr_workgroup_id_x 1
		.amdhsa_system_sgpr_workgroup_id_y 0
		.amdhsa_system_sgpr_workgroup_id_z 0
		.amdhsa_system_sgpr_workgroup_info 0
		.amdhsa_system_vgpr_workitem_id 0
		.amdhsa_next_free_vgpr 1
		.amdhsa_next_free_sgpr 0
		.amdhsa_accum_offset 4
		.amdhsa_reserve_vcc 0
		.amdhsa_reserve_flat_scratch 0
		.amdhsa_float_round_mode_32 0
		.amdhsa_float_round_mode_16_64 0
		.amdhsa_float_denorm_mode_32 3
		.amdhsa_float_denorm_mode_16_64 3
		.amdhsa_dx10_clamp 1
		.amdhsa_ieee_mode 1
		.amdhsa_fp16_overflow 0
		.amdhsa_tg_split 0
		.amdhsa_exception_fp_ieee_invalid_op 0
		.amdhsa_exception_fp_denorm_src 0
		.amdhsa_exception_fp_ieee_div_zero 0
		.amdhsa_exception_fp_ieee_overflow 0
		.amdhsa_exception_fp_ieee_underflow 0
		.amdhsa_exception_fp_ieee_inexact 0
		.amdhsa_exception_int_div_zero 0
	.end_amdhsa_kernel
	.section	.text._ZN6thrust23THRUST_200600_302600_NS11hip_rocprim14__parallel_for6kernelILj256ENS1_10for_each_fINS0_7pointerI14custom_numericNS1_3tagENS0_11use_defaultES8_EENS0_6detail16wrapped_functionINSA_23allocator_traits_detail5gozerEvEEEElLj1EEEvT0_T1_SH_,"axG",@progbits,_ZN6thrust23THRUST_200600_302600_NS11hip_rocprim14__parallel_for6kernelILj256ENS1_10for_each_fINS0_7pointerI14custom_numericNS1_3tagENS0_11use_defaultES8_EENS0_6detail16wrapped_functionINSA_23allocator_traits_detail5gozerEvEEEElLj1EEEvT0_T1_SH_,comdat
.Lfunc_end206:
	.size	_ZN6thrust23THRUST_200600_302600_NS11hip_rocprim14__parallel_for6kernelILj256ENS1_10for_each_fINS0_7pointerI14custom_numericNS1_3tagENS0_11use_defaultES8_EENS0_6detail16wrapped_functionINSA_23allocator_traits_detail5gozerEvEEEElLj1EEEvT0_T1_SH_, .Lfunc_end206-_ZN6thrust23THRUST_200600_302600_NS11hip_rocprim14__parallel_for6kernelILj256ENS1_10for_each_fINS0_7pointerI14custom_numericNS1_3tagENS0_11use_defaultES8_EENS0_6detail16wrapped_functionINSA_23allocator_traits_detail5gozerEvEEEElLj1EEEvT0_T1_SH_
                                        ; -- End function
	.section	.AMDGPU.csdata,"",@progbits
; Kernel info:
; codeLenInByte = 4
; NumSgprs: 4
; NumVgprs: 0
; NumAgprs: 0
; TotalNumVgprs: 0
; ScratchSize: 0
; MemoryBound: 0
; FloatMode: 240
; IeeeMode: 1
; LDSByteSize: 0 bytes/workgroup (compile time only)
; SGPRBlocks: 0
; VGPRBlocks: 0
; NumSGPRsForWavesPerEU: 4
; NumVGPRsForWavesPerEU: 1
; AccumOffset: 4
; Occupancy: 8
; WaveLimiterHint : 0
; COMPUTE_PGM_RSRC2:SCRATCH_EN: 0
; COMPUTE_PGM_RSRC2:USER_SGPR: 6
; COMPUTE_PGM_RSRC2:TRAP_HANDLER: 0
; COMPUTE_PGM_RSRC2:TGID_X_EN: 1
; COMPUTE_PGM_RSRC2:TGID_Y_EN: 0
; COMPUTE_PGM_RSRC2:TGID_Z_EN: 0
; COMPUTE_PGM_RSRC2:TIDIG_COMP_CNT: 0
; COMPUTE_PGM_RSRC3_GFX90A:ACCUM_OFFSET: 0
; COMPUTE_PGM_RSRC3_GFX90A:TG_SPLIT: 0
	.section	.text._ZN6thrust23THRUST_200600_302600_NS11hip_rocprim14__parallel_for6kernelILj256ENS1_11__transform17unary_transform_fINS0_7pointerI14custom_numericNS1_3tagENS0_11use_defaultES9_EENS0_10device_ptrIS7_EENS4_14no_stencil_tagENS0_8identityIS7_EENS4_21always_true_predicateEEElLj1EEEvT0_T1_SJ_,"axG",@progbits,_ZN6thrust23THRUST_200600_302600_NS11hip_rocprim14__parallel_for6kernelILj256ENS1_11__transform17unary_transform_fINS0_7pointerI14custom_numericNS1_3tagENS0_11use_defaultES9_EENS0_10device_ptrIS7_EENS4_14no_stencil_tagENS0_8identityIS7_EENS4_21always_true_predicateEEElLj1EEEvT0_T1_SJ_,comdat
	.protected	_ZN6thrust23THRUST_200600_302600_NS11hip_rocprim14__parallel_for6kernelILj256ENS1_11__transform17unary_transform_fINS0_7pointerI14custom_numericNS1_3tagENS0_11use_defaultES9_EENS0_10device_ptrIS7_EENS4_14no_stencil_tagENS0_8identityIS7_EENS4_21always_true_predicateEEElLj1EEEvT0_T1_SJ_ ; -- Begin function _ZN6thrust23THRUST_200600_302600_NS11hip_rocprim14__parallel_for6kernelILj256ENS1_11__transform17unary_transform_fINS0_7pointerI14custom_numericNS1_3tagENS0_11use_defaultES9_EENS0_10device_ptrIS7_EENS4_14no_stencil_tagENS0_8identityIS7_EENS4_21always_true_predicateEEElLj1EEEvT0_T1_SJ_
	.globl	_ZN6thrust23THRUST_200600_302600_NS11hip_rocprim14__parallel_for6kernelILj256ENS1_11__transform17unary_transform_fINS0_7pointerI14custom_numericNS1_3tagENS0_11use_defaultES9_EENS0_10device_ptrIS7_EENS4_14no_stencil_tagENS0_8identityIS7_EENS4_21always_true_predicateEEElLj1EEEvT0_T1_SJ_
	.p2align	8
	.type	_ZN6thrust23THRUST_200600_302600_NS11hip_rocprim14__parallel_for6kernelILj256ENS1_11__transform17unary_transform_fINS0_7pointerI14custom_numericNS1_3tagENS0_11use_defaultES9_EENS0_10device_ptrIS7_EENS4_14no_stencil_tagENS0_8identityIS7_EENS4_21always_true_predicateEEElLj1EEEvT0_T1_SJ_,@function
_ZN6thrust23THRUST_200600_302600_NS11hip_rocprim14__parallel_for6kernelILj256ENS1_11__transform17unary_transform_fINS0_7pointerI14custom_numericNS1_3tagENS0_11use_defaultES9_EENS0_10device_ptrIS7_EENS4_14no_stencil_tagENS0_8identityIS7_EENS4_21always_true_predicateEEElLj1EEEvT0_T1_SJ_: ; @_ZN6thrust23THRUST_200600_302600_NS11hip_rocprim14__parallel_for6kernelILj256ENS1_11__transform17unary_transform_fINS0_7pointerI14custom_numericNS1_3tagENS0_11use_defaultES9_EENS0_10device_ptrIS7_EENS4_14no_stencil_tagENS0_8identityIS7_EENS4_21always_true_predicateEEElLj1EEEvT0_T1_SJ_
; %bb.0:
	s_load_dwordx4 s[8:11], s[4:5], 0x18
	s_lshl_b32 s0, s6, 8
	v_mov_b32_e32 v2, 0x100
	v_mov_b32_e32 v3, 0
	s_waitcnt lgkmcnt(0)
	s_add_u32 s0, s0, s10
	s_addc_u32 s1, 0, s11
	s_sub_u32 s2, s8, s0
	s_subb_u32 s3, s9, s1
	v_cmp_lt_i64_e32 vcc, s[2:3], v[2:3]
	s_and_b64 s[6:7], vcc, exec
	s_cselect_b32 s6, s2, 0x100
	s_cmpk_eq_i32 s6, 0x100
	s_cselect_b64 s[2:3], -1, 0
	v_cmp_gt_u32_e32 vcc, s6, v0
	s_or_b64 s[2:3], s[2:3], vcc
	s_and_saveexec_b64 s[6:7], s[2:3]
	s_cbranch_execz .LBB207_2
; %bb.1:
	s_load_dwordx4 s[4:7], s[4:5], 0x0
	v_mov_b32_e32 v1, s1
	v_add_co_u32_e32 v4, vcc, s0, v0
	v_addc_co_u32_e32 v5, vcc, 0, v1, vcc
	s_waitcnt lgkmcnt(0)
	v_mov_b32_e32 v2, s4
	v_mov_b32_e32 v3, s5
	v_mad_u64_u32 v[0:1], s[0:1], v4, 20, v[2:3]
	v_mul_lo_u32 v6, v5, 20
	v_add_u32_e32 v1, v6, v1
	flat_load_dword v0, v[0:1]
	v_mov_b32_e32 v2, s6
	v_mov_b32_e32 v3, s7
	v_mad_u64_u32 v[4:5], s[0:1], v4, 20, v[2:3]
	v_add_u32_e32 v5, v6, v5
	s_waitcnt vmcnt(0) lgkmcnt(0)
	v_mov_b32_e32 v1, v0
	v_mov_b32_e32 v2, v0
	;; [unrolled: 1-line block ×3, first 2 shown]
	flat_store_dwordx4 v[4:5], v[0:3]
	flat_store_dword v[4:5], v0 offset:16
.LBB207_2:
	s_endpgm
	.section	.rodata,"a",@progbits
	.p2align	6, 0x0
	.amdhsa_kernel _ZN6thrust23THRUST_200600_302600_NS11hip_rocprim14__parallel_for6kernelILj256ENS1_11__transform17unary_transform_fINS0_7pointerI14custom_numericNS1_3tagENS0_11use_defaultES9_EENS0_10device_ptrIS7_EENS4_14no_stencil_tagENS0_8identityIS7_EENS4_21always_true_predicateEEElLj1EEEvT0_T1_SJ_
		.amdhsa_group_segment_fixed_size 0
		.amdhsa_private_segment_fixed_size 0
		.amdhsa_kernarg_size 40
		.amdhsa_user_sgpr_count 6
		.amdhsa_user_sgpr_private_segment_buffer 1
		.amdhsa_user_sgpr_dispatch_ptr 0
		.amdhsa_user_sgpr_queue_ptr 0
		.amdhsa_user_sgpr_kernarg_segment_ptr 1
		.amdhsa_user_sgpr_dispatch_id 0
		.amdhsa_user_sgpr_flat_scratch_init 0
		.amdhsa_user_sgpr_kernarg_preload_length 0
		.amdhsa_user_sgpr_kernarg_preload_offset 0
		.amdhsa_user_sgpr_private_segment_size 0
		.amdhsa_uses_dynamic_stack 0
		.amdhsa_system_sgpr_private_segment_wavefront_offset 0
		.amdhsa_system_sgpr_workgroup_id_x 1
		.amdhsa_system_sgpr_workgroup_id_y 0
		.amdhsa_system_sgpr_workgroup_id_z 0
		.amdhsa_system_sgpr_workgroup_info 0
		.amdhsa_system_vgpr_workitem_id 0
		.amdhsa_next_free_vgpr 7
		.amdhsa_next_free_sgpr 12
		.amdhsa_accum_offset 8
		.amdhsa_reserve_vcc 1
		.amdhsa_reserve_flat_scratch 0
		.amdhsa_float_round_mode_32 0
		.amdhsa_float_round_mode_16_64 0
		.amdhsa_float_denorm_mode_32 3
		.amdhsa_float_denorm_mode_16_64 3
		.amdhsa_dx10_clamp 1
		.amdhsa_ieee_mode 1
		.amdhsa_fp16_overflow 0
		.amdhsa_tg_split 0
		.amdhsa_exception_fp_ieee_invalid_op 0
		.amdhsa_exception_fp_denorm_src 0
		.amdhsa_exception_fp_ieee_div_zero 0
		.amdhsa_exception_fp_ieee_overflow 0
		.amdhsa_exception_fp_ieee_underflow 0
		.amdhsa_exception_fp_ieee_inexact 0
		.amdhsa_exception_int_div_zero 0
	.end_amdhsa_kernel
	.section	.text._ZN6thrust23THRUST_200600_302600_NS11hip_rocprim14__parallel_for6kernelILj256ENS1_11__transform17unary_transform_fINS0_7pointerI14custom_numericNS1_3tagENS0_11use_defaultES9_EENS0_10device_ptrIS7_EENS4_14no_stencil_tagENS0_8identityIS7_EENS4_21always_true_predicateEEElLj1EEEvT0_T1_SJ_,"axG",@progbits,_ZN6thrust23THRUST_200600_302600_NS11hip_rocprim14__parallel_for6kernelILj256ENS1_11__transform17unary_transform_fINS0_7pointerI14custom_numericNS1_3tagENS0_11use_defaultES9_EENS0_10device_ptrIS7_EENS4_14no_stencil_tagENS0_8identityIS7_EENS4_21always_true_predicateEEElLj1EEEvT0_T1_SJ_,comdat
.Lfunc_end207:
	.size	_ZN6thrust23THRUST_200600_302600_NS11hip_rocprim14__parallel_for6kernelILj256ENS1_11__transform17unary_transform_fINS0_7pointerI14custom_numericNS1_3tagENS0_11use_defaultES9_EENS0_10device_ptrIS7_EENS4_14no_stencil_tagENS0_8identityIS7_EENS4_21always_true_predicateEEElLj1EEEvT0_T1_SJ_, .Lfunc_end207-_ZN6thrust23THRUST_200600_302600_NS11hip_rocprim14__parallel_for6kernelILj256ENS1_11__transform17unary_transform_fINS0_7pointerI14custom_numericNS1_3tagENS0_11use_defaultES9_EENS0_10device_ptrIS7_EENS4_14no_stencil_tagENS0_8identityIS7_EENS4_21always_true_predicateEEElLj1EEEvT0_T1_SJ_
                                        ; -- End function
	.section	.AMDGPU.csdata,"",@progbits
; Kernel info:
; codeLenInByte = 200
; NumSgprs: 16
; NumVgprs: 7
; NumAgprs: 0
; TotalNumVgprs: 7
; ScratchSize: 0
; MemoryBound: 0
; FloatMode: 240
; IeeeMode: 1
; LDSByteSize: 0 bytes/workgroup (compile time only)
; SGPRBlocks: 1
; VGPRBlocks: 0
; NumSGPRsForWavesPerEU: 16
; NumVGPRsForWavesPerEU: 7
; AccumOffset: 8
; Occupancy: 8
; WaveLimiterHint : 0
; COMPUTE_PGM_RSRC2:SCRATCH_EN: 0
; COMPUTE_PGM_RSRC2:USER_SGPR: 6
; COMPUTE_PGM_RSRC2:TRAP_HANDLER: 0
; COMPUTE_PGM_RSRC2:TGID_X_EN: 1
; COMPUTE_PGM_RSRC2:TGID_Y_EN: 0
; COMPUTE_PGM_RSRC2:TGID_Z_EN: 0
; COMPUTE_PGM_RSRC2:TIDIG_COMP_CNT: 0
; COMPUTE_PGM_RSRC3_GFX90A:ACCUM_OFFSET: 1
; COMPUTE_PGM_RSRC3_GFX90A:TG_SPLIT: 0
	.section	.text._ZN6thrust23THRUST_200600_302600_NS11hip_rocprim14__parallel_for6kernelILj256ENS1_20__uninitialized_copy7functorINS0_7pointerI14custom_numericNS1_3tagENS0_11use_defaultES9_EESA_EEmLj1EEEvT0_T1_SD_,"axG",@progbits,_ZN6thrust23THRUST_200600_302600_NS11hip_rocprim14__parallel_for6kernelILj256ENS1_20__uninitialized_copy7functorINS0_7pointerI14custom_numericNS1_3tagENS0_11use_defaultES9_EESA_EEmLj1EEEvT0_T1_SD_,comdat
	.protected	_ZN6thrust23THRUST_200600_302600_NS11hip_rocprim14__parallel_for6kernelILj256ENS1_20__uninitialized_copy7functorINS0_7pointerI14custom_numericNS1_3tagENS0_11use_defaultES9_EESA_EEmLj1EEEvT0_T1_SD_ ; -- Begin function _ZN6thrust23THRUST_200600_302600_NS11hip_rocprim14__parallel_for6kernelILj256ENS1_20__uninitialized_copy7functorINS0_7pointerI14custom_numericNS1_3tagENS0_11use_defaultES9_EESA_EEmLj1EEEvT0_T1_SD_
	.globl	_ZN6thrust23THRUST_200600_302600_NS11hip_rocprim14__parallel_for6kernelILj256ENS1_20__uninitialized_copy7functorINS0_7pointerI14custom_numericNS1_3tagENS0_11use_defaultES9_EESA_EEmLj1EEEvT0_T1_SD_
	.p2align	8
	.type	_ZN6thrust23THRUST_200600_302600_NS11hip_rocprim14__parallel_for6kernelILj256ENS1_20__uninitialized_copy7functorINS0_7pointerI14custom_numericNS1_3tagENS0_11use_defaultES9_EESA_EEmLj1EEEvT0_T1_SD_,@function
_ZN6thrust23THRUST_200600_302600_NS11hip_rocprim14__parallel_for6kernelILj256ENS1_20__uninitialized_copy7functorINS0_7pointerI14custom_numericNS1_3tagENS0_11use_defaultES9_EESA_EEmLj1EEEvT0_T1_SD_: ; @_ZN6thrust23THRUST_200600_302600_NS11hip_rocprim14__parallel_for6kernelILj256ENS1_20__uninitialized_copy7functorINS0_7pointerI14custom_numericNS1_3tagENS0_11use_defaultES9_EESA_EEmLj1EEEvT0_T1_SD_
; %bb.0:
	s_load_dwordx8 s[8:15], s[4:5], 0x0
	s_lshl_b32 s0, s6, 8
	v_mov_b32_e32 v2, 0x100
	v_mov_b32_e32 v3, 0
	s_waitcnt lgkmcnt(0)
	s_add_u32 s4, s0, s14
	s_addc_u32 s5, 0, s15
	s_sub_u32 s0, s12, s4
	s_subb_u32 s1, s13, s5
	v_cmp_lt_u64_e32 vcc, s[0:1], v[2:3]
	s_cbranch_vccz .LBB208_2
; %bb.1:
	v_cmp_gt_u32_e32 vcc, s0, v0
	s_and_b64 s[0:1], vcc, exec
	s_cbranch_execz .LBB208_3
	s_branch .LBB208_4
.LBB208_2:
	s_mov_b64 s[0:1], 0
.LBB208_3:
	s_or_b64 s[0:1], s[0:1], exec
.LBB208_4:
	s_and_saveexec_b64 s[2:3], s[0:1]
	s_cbranch_execnz .LBB208_6
; %bb.5:
	s_endpgm
.LBB208_6:
	v_mov_b32_e32 v1, s5
	v_add_co_u32_e32 v4, vcc, s4, v0
	v_mov_b32_e32 v2, s8
	v_mov_b32_e32 v3, s9
	v_addc_co_u32_e32 v5, vcc, 0, v1, vcc
	v_mad_u64_u32 v[0:1], s[0:1], v4, 20, v[2:3]
	v_mul_lo_u32 v6, v5, 20
	v_add_u32_e32 v1, v6, v1
	flat_load_dword v0, v[0:1]
	v_mov_b32_e32 v2, s10
	v_mov_b32_e32 v3, s11
	v_mad_u64_u32 v[4:5], s[0:1], v4, 20, v[2:3]
	v_add_u32_e32 v5, v6, v5
	s_waitcnt vmcnt(0) lgkmcnt(0)
	v_mov_b32_e32 v1, v0
	v_mov_b32_e32 v2, v0
	;; [unrolled: 1-line block ×3, first 2 shown]
	flat_store_dwordx4 v[4:5], v[0:3]
	flat_store_dword v[4:5], v0 offset:16
	s_endpgm
	.section	.rodata,"a",@progbits
	.p2align	6, 0x0
	.amdhsa_kernel _ZN6thrust23THRUST_200600_302600_NS11hip_rocprim14__parallel_for6kernelILj256ENS1_20__uninitialized_copy7functorINS0_7pointerI14custom_numericNS1_3tagENS0_11use_defaultES9_EESA_EEmLj1EEEvT0_T1_SD_
		.amdhsa_group_segment_fixed_size 0
		.amdhsa_private_segment_fixed_size 0
		.amdhsa_kernarg_size 32
		.amdhsa_user_sgpr_count 6
		.amdhsa_user_sgpr_private_segment_buffer 1
		.amdhsa_user_sgpr_dispatch_ptr 0
		.amdhsa_user_sgpr_queue_ptr 0
		.amdhsa_user_sgpr_kernarg_segment_ptr 1
		.amdhsa_user_sgpr_dispatch_id 0
		.amdhsa_user_sgpr_flat_scratch_init 0
		.amdhsa_user_sgpr_kernarg_preload_length 0
		.amdhsa_user_sgpr_kernarg_preload_offset 0
		.amdhsa_user_sgpr_private_segment_size 0
		.amdhsa_uses_dynamic_stack 0
		.amdhsa_system_sgpr_private_segment_wavefront_offset 0
		.amdhsa_system_sgpr_workgroup_id_x 1
		.amdhsa_system_sgpr_workgroup_id_y 0
		.amdhsa_system_sgpr_workgroup_id_z 0
		.amdhsa_system_sgpr_workgroup_info 0
		.amdhsa_system_vgpr_workitem_id 0
		.amdhsa_next_free_vgpr 7
		.amdhsa_next_free_sgpr 16
		.amdhsa_accum_offset 8
		.amdhsa_reserve_vcc 1
		.amdhsa_reserve_flat_scratch 0
		.amdhsa_float_round_mode_32 0
		.amdhsa_float_round_mode_16_64 0
		.amdhsa_float_denorm_mode_32 3
		.amdhsa_float_denorm_mode_16_64 3
		.amdhsa_dx10_clamp 1
		.amdhsa_ieee_mode 1
		.amdhsa_fp16_overflow 0
		.amdhsa_tg_split 0
		.amdhsa_exception_fp_ieee_invalid_op 0
		.amdhsa_exception_fp_denorm_src 0
		.amdhsa_exception_fp_ieee_div_zero 0
		.amdhsa_exception_fp_ieee_overflow 0
		.amdhsa_exception_fp_ieee_underflow 0
		.amdhsa_exception_fp_ieee_inexact 0
		.amdhsa_exception_int_div_zero 0
	.end_amdhsa_kernel
	.section	.text._ZN6thrust23THRUST_200600_302600_NS11hip_rocprim14__parallel_for6kernelILj256ENS1_20__uninitialized_copy7functorINS0_7pointerI14custom_numericNS1_3tagENS0_11use_defaultES9_EESA_EEmLj1EEEvT0_T1_SD_,"axG",@progbits,_ZN6thrust23THRUST_200600_302600_NS11hip_rocprim14__parallel_for6kernelILj256ENS1_20__uninitialized_copy7functorINS0_7pointerI14custom_numericNS1_3tagENS0_11use_defaultES9_EESA_EEmLj1EEEvT0_T1_SD_,comdat
.Lfunc_end208:
	.size	_ZN6thrust23THRUST_200600_302600_NS11hip_rocprim14__parallel_for6kernelILj256ENS1_20__uninitialized_copy7functorINS0_7pointerI14custom_numericNS1_3tagENS0_11use_defaultES9_EESA_EEmLj1EEEvT0_T1_SD_, .Lfunc_end208-_ZN6thrust23THRUST_200600_302600_NS11hip_rocprim14__parallel_for6kernelILj256ENS1_20__uninitialized_copy7functorINS0_7pointerI14custom_numericNS1_3tagENS0_11use_defaultES9_EESA_EEmLj1EEEvT0_T1_SD_
                                        ; -- End function
	.section	.AMDGPU.csdata,"",@progbits
; Kernel info:
; codeLenInByte = 192
; NumSgprs: 20
; NumVgprs: 7
; NumAgprs: 0
; TotalNumVgprs: 7
; ScratchSize: 0
; MemoryBound: 0
; FloatMode: 240
; IeeeMode: 1
; LDSByteSize: 0 bytes/workgroup (compile time only)
; SGPRBlocks: 2
; VGPRBlocks: 0
; NumSGPRsForWavesPerEU: 20
; NumVGPRsForWavesPerEU: 7
; AccumOffset: 8
; Occupancy: 8
; WaveLimiterHint : 0
; COMPUTE_PGM_RSRC2:SCRATCH_EN: 0
; COMPUTE_PGM_RSRC2:USER_SGPR: 6
; COMPUTE_PGM_RSRC2:TRAP_HANDLER: 0
; COMPUTE_PGM_RSRC2:TGID_X_EN: 1
; COMPUTE_PGM_RSRC2:TGID_Y_EN: 0
; COMPUTE_PGM_RSRC2:TGID_Z_EN: 0
; COMPUTE_PGM_RSRC2:TIDIG_COMP_CNT: 0
; COMPUTE_PGM_RSRC3_GFX90A:ACCUM_OFFSET: 1
; COMPUTE_PGM_RSRC3_GFX90A:TG_SPLIT: 0
	.section	.text._ZN7rocprim17ROCPRIM_400000_NS6detail17trampoline_kernelINS0_14default_configENS1_35adjacent_difference_config_selectorILb0E14custom_numericEEZNS1_24adjacent_difference_implIS3_Lb0ELb0EPS5_S8_N6thrust23THRUST_200600_302600_NS5minusIS5_EEEE10hipError_tPvRmT2_T3_mT4_P12ihipStream_tbEUlT_E_NS1_11comp_targetILNS1_3genE0ELNS1_11target_archE4294967295ELNS1_3gpuE0ELNS1_3repE0EEENS1_30default_config_static_selectorELNS0_4arch9wavefront6targetE1EEEvT1_,"axG",@progbits,_ZN7rocprim17ROCPRIM_400000_NS6detail17trampoline_kernelINS0_14default_configENS1_35adjacent_difference_config_selectorILb0E14custom_numericEEZNS1_24adjacent_difference_implIS3_Lb0ELb0EPS5_S8_N6thrust23THRUST_200600_302600_NS5minusIS5_EEEE10hipError_tPvRmT2_T3_mT4_P12ihipStream_tbEUlT_E_NS1_11comp_targetILNS1_3genE0ELNS1_11target_archE4294967295ELNS1_3gpuE0ELNS1_3repE0EEENS1_30default_config_static_selectorELNS0_4arch9wavefront6targetE1EEEvT1_,comdat
	.protected	_ZN7rocprim17ROCPRIM_400000_NS6detail17trampoline_kernelINS0_14default_configENS1_35adjacent_difference_config_selectorILb0E14custom_numericEEZNS1_24adjacent_difference_implIS3_Lb0ELb0EPS5_S8_N6thrust23THRUST_200600_302600_NS5minusIS5_EEEE10hipError_tPvRmT2_T3_mT4_P12ihipStream_tbEUlT_E_NS1_11comp_targetILNS1_3genE0ELNS1_11target_archE4294967295ELNS1_3gpuE0ELNS1_3repE0EEENS1_30default_config_static_selectorELNS0_4arch9wavefront6targetE1EEEvT1_ ; -- Begin function _ZN7rocprim17ROCPRIM_400000_NS6detail17trampoline_kernelINS0_14default_configENS1_35adjacent_difference_config_selectorILb0E14custom_numericEEZNS1_24adjacent_difference_implIS3_Lb0ELb0EPS5_S8_N6thrust23THRUST_200600_302600_NS5minusIS5_EEEE10hipError_tPvRmT2_T3_mT4_P12ihipStream_tbEUlT_E_NS1_11comp_targetILNS1_3genE0ELNS1_11target_archE4294967295ELNS1_3gpuE0ELNS1_3repE0EEENS1_30default_config_static_selectorELNS0_4arch9wavefront6targetE1EEEvT1_
	.globl	_ZN7rocprim17ROCPRIM_400000_NS6detail17trampoline_kernelINS0_14default_configENS1_35adjacent_difference_config_selectorILb0E14custom_numericEEZNS1_24adjacent_difference_implIS3_Lb0ELb0EPS5_S8_N6thrust23THRUST_200600_302600_NS5minusIS5_EEEE10hipError_tPvRmT2_T3_mT4_P12ihipStream_tbEUlT_E_NS1_11comp_targetILNS1_3genE0ELNS1_11target_archE4294967295ELNS1_3gpuE0ELNS1_3repE0EEENS1_30default_config_static_selectorELNS0_4arch9wavefront6targetE1EEEvT1_
	.p2align	8
	.type	_ZN7rocprim17ROCPRIM_400000_NS6detail17trampoline_kernelINS0_14default_configENS1_35adjacent_difference_config_selectorILb0E14custom_numericEEZNS1_24adjacent_difference_implIS3_Lb0ELb0EPS5_S8_N6thrust23THRUST_200600_302600_NS5minusIS5_EEEE10hipError_tPvRmT2_T3_mT4_P12ihipStream_tbEUlT_E_NS1_11comp_targetILNS1_3genE0ELNS1_11target_archE4294967295ELNS1_3gpuE0ELNS1_3repE0EEENS1_30default_config_static_selectorELNS0_4arch9wavefront6targetE1EEEvT1_,@function
_ZN7rocprim17ROCPRIM_400000_NS6detail17trampoline_kernelINS0_14default_configENS1_35adjacent_difference_config_selectorILb0E14custom_numericEEZNS1_24adjacent_difference_implIS3_Lb0ELb0EPS5_S8_N6thrust23THRUST_200600_302600_NS5minusIS5_EEEE10hipError_tPvRmT2_T3_mT4_P12ihipStream_tbEUlT_E_NS1_11comp_targetILNS1_3genE0ELNS1_11target_archE4294967295ELNS1_3gpuE0ELNS1_3repE0EEENS1_30default_config_static_selectorELNS0_4arch9wavefront6targetE1EEEvT1_: ; @_ZN7rocprim17ROCPRIM_400000_NS6detail17trampoline_kernelINS0_14default_configENS1_35adjacent_difference_config_selectorILb0E14custom_numericEEZNS1_24adjacent_difference_implIS3_Lb0ELb0EPS5_S8_N6thrust23THRUST_200600_302600_NS5minusIS5_EEEE10hipError_tPvRmT2_T3_mT4_P12ihipStream_tbEUlT_E_NS1_11comp_targetILNS1_3genE0ELNS1_11target_archE4294967295ELNS1_3gpuE0ELNS1_3repE0EEENS1_30default_config_static_selectorELNS0_4arch9wavefront6targetE1EEEvT1_
; %bb.0:
	.section	.rodata,"a",@progbits
	.p2align	6, 0x0
	.amdhsa_kernel _ZN7rocprim17ROCPRIM_400000_NS6detail17trampoline_kernelINS0_14default_configENS1_35adjacent_difference_config_selectorILb0E14custom_numericEEZNS1_24adjacent_difference_implIS3_Lb0ELb0EPS5_S8_N6thrust23THRUST_200600_302600_NS5minusIS5_EEEE10hipError_tPvRmT2_T3_mT4_P12ihipStream_tbEUlT_E_NS1_11comp_targetILNS1_3genE0ELNS1_11target_archE4294967295ELNS1_3gpuE0ELNS1_3repE0EEENS1_30default_config_static_selectorELNS0_4arch9wavefront6targetE1EEEvT1_
		.amdhsa_group_segment_fixed_size 0
		.amdhsa_private_segment_fixed_size 0
		.amdhsa_kernarg_size 56
		.amdhsa_user_sgpr_count 6
		.amdhsa_user_sgpr_private_segment_buffer 1
		.amdhsa_user_sgpr_dispatch_ptr 0
		.amdhsa_user_sgpr_queue_ptr 0
		.amdhsa_user_sgpr_kernarg_segment_ptr 1
		.amdhsa_user_sgpr_dispatch_id 0
		.amdhsa_user_sgpr_flat_scratch_init 0
		.amdhsa_user_sgpr_kernarg_preload_length 0
		.amdhsa_user_sgpr_kernarg_preload_offset 0
		.amdhsa_user_sgpr_private_segment_size 0
		.amdhsa_uses_dynamic_stack 0
		.amdhsa_system_sgpr_private_segment_wavefront_offset 0
		.amdhsa_system_sgpr_workgroup_id_x 1
		.amdhsa_system_sgpr_workgroup_id_y 0
		.amdhsa_system_sgpr_workgroup_id_z 0
		.amdhsa_system_sgpr_workgroup_info 0
		.amdhsa_system_vgpr_workitem_id 0
		.amdhsa_next_free_vgpr 1
		.amdhsa_next_free_sgpr 0
		.amdhsa_accum_offset 4
		.amdhsa_reserve_vcc 0
		.amdhsa_reserve_flat_scratch 0
		.amdhsa_float_round_mode_32 0
		.amdhsa_float_round_mode_16_64 0
		.amdhsa_float_denorm_mode_32 3
		.amdhsa_float_denorm_mode_16_64 3
		.amdhsa_dx10_clamp 1
		.amdhsa_ieee_mode 1
		.amdhsa_fp16_overflow 0
		.amdhsa_tg_split 0
		.amdhsa_exception_fp_ieee_invalid_op 0
		.amdhsa_exception_fp_denorm_src 0
		.amdhsa_exception_fp_ieee_div_zero 0
		.amdhsa_exception_fp_ieee_overflow 0
		.amdhsa_exception_fp_ieee_underflow 0
		.amdhsa_exception_fp_ieee_inexact 0
		.amdhsa_exception_int_div_zero 0
	.end_amdhsa_kernel
	.section	.text._ZN7rocprim17ROCPRIM_400000_NS6detail17trampoline_kernelINS0_14default_configENS1_35adjacent_difference_config_selectorILb0E14custom_numericEEZNS1_24adjacent_difference_implIS3_Lb0ELb0EPS5_S8_N6thrust23THRUST_200600_302600_NS5minusIS5_EEEE10hipError_tPvRmT2_T3_mT4_P12ihipStream_tbEUlT_E_NS1_11comp_targetILNS1_3genE0ELNS1_11target_archE4294967295ELNS1_3gpuE0ELNS1_3repE0EEENS1_30default_config_static_selectorELNS0_4arch9wavefront6targetE1EEEvT1_,"axG",@progbits,_ZN7rocprim17ROCPRIM_400000_NS6detail17trampoline_kernelINS0_14default_configENS1_35adjacent_difference_config_selectorILb0E14custom_numericEEZNS1_24adjacent_difference_implIS3_Lb0ELb0EPS5_S8_N6thrust23THRUST_200600_302600_NS5minusIS5_EEEE10hipError_tPvRmT2_T3_mT4_P12ihipStream_tbEUlT_E_NS1_11comp_targetILNS1_3genE0ELNS1_11target_archE4294967295ELNS1_3gpuE0ELNS1_3repE0EEENS1_30default_config_static_selectorELNS0_4arch9wavefront6targetE1EEEvT1_,comdat
.Lfunc_end209:
	.size	_ZN7rocprim17ROCPRIM_400000_NS6detail17trampoline_kernelINS0_14default_configENS1_35adjacent_difference_config_selectorILb0E14custom_numericEEZNS1_24adjacent_difference_implIS3_Lb0ELb0EPS5_S8_N6thrust23THRUST_200600_302600_NS5minusIS5_EEEE10hipError_tPvRmT2_T3_mT4_P12ihipStream_tbEUlT_E_NS1_11comp_targetILNS1_3genE0ELNS1_11target_archE4294967295ELNS1_3gpuE0ELNS1_3repE0EEENS1_30default_config_static_selectorELNS0_4arch9wavefront6targetE1EEEvT1_, .Lfunc_end209-_ZN7rocprim17ROCPRIM_400000_NS6detail17trampoline_kernelINS0_14default_configENS1_35adjacent_difference_config_selectorILb0E14custom_numericEEZNS1_24adjacent_difference_implIS3_Lb0ELb0EPS5_S8_N6thrust23THRUST_200600_302600_NS5minusIS5_EEEE10hipError_tPvRmT2_T3_mT4_P12ihipStream_tbEUlT_E_NS1_11comp_targetILNS1_3genE0ELNS1_11target_archE4294967295ELNS1_3gpuE0ELNS1_3repE0EEENS1_30default_config_static_selectorELNS0_4arch9wavefront6targetE1EEEvT1_
                                        ; -- End function
	.section	.AMDGPU.csdata,"",@progbits
; Kernel info:
; codeLenInByte = 0
; NumSgprs: 4
; NumVgprs: 0
; NumAgprs: 0
; TotalNumVgprs: 0
; ScratchSize: 0
; MemoryBound: 0
; FloatMode: 240
; IeeeMode: 1
; LDSByteSize: 0 bytes/workgroup (compile time only)
; SGPRBlocks: 0
; VGPRBlocks: 0
; NumSGPRsForWavesPerEU: 4
; NumVGPRsForWavesPerEU: 1
; AccumOffset: 4
; Occupancy: 8
; WaveLimiterHint : 0
; COMPUTE_PGM_RSRC2:SCRATCH_EN: 0
; COMPUTE_PGM_RSRC2:USER_SGPR: 6
; COMPUTE_PGM_RSRC2:TRAP_HANDLER: 0
; COMPUTE_PGM_RSRC2:TGID_X_EN: 1
; COMPUTE_PGM_RSRC2:TGID_Y_EN: 0
; COMPUTE_PGM_RSRC2:TGID_Z_EN: 0
; COMPUTE_PGM_RSRC2:TIDIG_COMP_CNT: 0
; COMPUTE_PGM_RSRC3_GFX90A:ACCUM_OFFSET: 0
; COMPUTE_PGM_RSRC3_GFX90A:TG_SPLIT: 0
	.section	.text._ZN7rocprim17ROCPRIM_400000_NS6detail17trampoline_kernelINS0_14default_configENS1_35adjacent_difference_config_selectorILb0E14custom_numericEEZNS1_24adjacent_difference_implIS3_Lb0ELb0EPS5_S8_N6thrust23THRUST_200600_302600_NS5minusIS5_EEEE10hipError_tPvRmT2_T3_mT4_P12ihipStream_tbEUlT_E_NS1_11comp_targetILNS1_3genE10ELNS1_11target_archE1201ELNS1_3gpuE5ELNS1_3repE0EEENS1_30default_config_static_selectorELNS0_4arch9wavefront6targetE1EEEvT1_,"axG",@progbits,_ZN7rocprim17ROCPRIM_400000_NS6detail17trampoline_kernelINS0_14default_configENS1_35adjacent_difference_config_selectorILb0E14custom_numericEEZNS1_24adjacent_difference_implIS3_Lb0ELb0EPS5_S8_N6thrust23THRUST_200600_302600_NS5minusIS5_EEEE10hipError_tPvRmT2_T3_mT4_P12ihipStream_tbEUlT_E_NS1_11comp_targetILNS1_3genE10ELNS1_11target_archE1201ELNS1_3gpuE5ELNS1_3repE0EEENS1_30default_config_static_selectorELNS0_4arch9wavefront6targetE1EEEvT1_,comdat
	.protected	_ZN7rocprim17ROCPRIM_400000_NS6detail17trampoline_kernelINS0_14default_configENS1_35adjacent_difference_config_selectorILb0E14custom_numericEEZNS1_24adjacent_difference_implIS3_Lb0ELb0EPS5_S8_N6thrust23THRUST_200600_302600_NS5minusIS5_EEEE10hipError_tPvRmT2_T3_mT4_P12ihipStream_tbEUlT_E_NS1_11comp_targetILNS1_3genE10ELNS1_11target_archE1201ELNS1_3gpuE5ELNS1_3repE0EEENS1_30default_config_static_selectorELNS0_4arch9wavefront6targetE1EEEvT1_ ; -- Begin function _ZN7rocprim17ROCPRIM_400000_NS6detail17trampoline_kernelINS0_14default_configENS1_35adjacent_difference_config_selectorILb0E14custom_numericEEZNS1_24adjacent_difference_implIS3_Lb0ELb0EPS5_S8_N6thrust23THRUST_200600_302600_NS5minusIS5_EEEE10hipError_tPvRmT2_T3_mT4_P12ihipStream_tbEUlT_E_NS1_11comp_targetILNS1_3genE10ELNS1_11target_archE1201ELNS1_3gpuE5ELNS1_3repE0EEENS1_30default_config_static_selectorELNS0_4arch9wavefront6targetE1EEEvT1_
	.globl	_ZN7rocprim17ROCPRIM_400000_NS6detail17trampoline_kernelINS0_14default_configENS1_35adjacent_difference_config_selectorILb0E14custom_numericEEZNS1_24adjacent_difference_implIS3_Lb0ELb0EPS5_S8_N6thrust23THRUST_200600_302600_NS5minusIS5_EEEE10hipError_tPvRmT2_T3_mT4_P12ihipStream_tbEUlT_E_NS1_11comp_targetILNS1_3genE10ELNS1_11target_archE1201ELNS1_3gpuE5ELNS1_3repE0EEENS1_30default_config_static_selectorELNS0_4arch9wavefront6targetE1EEEvT1_
	.p2align	8
	.type	_ZN7rocprim17ROCPRIM_400000_NS6detail17trampoline_kernelINS0_14default_configENS1_35adjacent_difference_config_selectorILb0E14custom_numericEEZNS1_24adjacent_difference_implIS3_Lb0ELb0EPS5_S8_N6thrust23THRUST_200600_302600_NS5minusIS5_EEEE10hipError_tPvRmT2_T3_mT4_P12ihipStream_tbEUlT_E_NS1_11comp_targetILNS1_3genE10ELNS1_11target_archE1201ELNS1_3gpuE5ELNS1_3repE0EEENS1_30default_config_static_selectorELNS0_4arch9wavefront6targetE1EEEvT1_,@function
_ZN7rocprim17ROCPRIM_400000_NS6detail17trampoline_kernelINS0_14default_configENS1_35adjacent_difference_config_selectorILb0E14custom_numericEEZNS1_24adjacent_difference_implIS3_Lb0ELb0EPS5_S8_N6thrust23THRUST_200600_302600_NS5minusIS5_EEEE10hipError_tPvRmT2_T3_mT4_P12ihipStream_tbEUlT_E_NS1_11comp_targetILNS1_3genE10ELNS1_11target_archE1201ELNS1_3gpuE5ELNS1_3repE0EEENS1_30default_config_static_selectorELNS0_4arch9wavefront6targetE1EEEvT1_: ; @_ZN7rocprim17ROCPRIM_400000_NS6detail17trampoline_kernelINS0_14default_configENS1_35adjacent_difference_config_selectorILb0E14custom_numericEEZNS1_24adjacent_difference_implIS3_Lb0ELb0EPS5_S8_N6thrust23THRUST_200600_302600_NS5minusIS5_EEEE10hipError_tPvRmT2_T3_mT4_P12ihipStream_tbEUlT_E_NS1_11comp_targetILNS1_3genE10ELNS1_11target_archE1201ELNS1_3gpuE5ELNS1_3repE0EEENS1_30default_config_static_selectorELNS0_4arch9wavefront6targetE1EEEvT1_
; %bb.0:
	.section	.rodata,"a",@progbits
	.p2align	6, 0x0
	.amdhsa_kernel _ZN7rocprim17ROCPRIM_400000_NS6detail17trampoline_kernelINS0_14default_configENS1_35adjacent_difference_config_selectorILb0E14custom_numericEEZNS1_24adjacent_difference_implIS3_Lb0ELb0EPS5_S8_N6thrust23THRUST_200600_302600_NS5minusIS5_EEEE10hipError_tPvRmT2_T3_mT4_P12ihipStream_tbEUlT_E_NS1_11comp_targetILNS1_3genE10ELNS1_11target_archE1201ELNS1_3gpuE5ELNS1_3repE0EEENS1_30default_config_static_selectorELNS0_4arch9wavefront6targetE1EEEvT1_
		.amdhsa_group_segment_fixed_size 0
		.amdhsa_private_segment_fixed_size 0
		.amdhsa_kernarg_size 56
		.amdhsa_user_sgpr_count 6
		.amdhsa_user_sgpr_private_segment_buffer 1
		.amdhsa_user_sgpr_dispatch_ptr 0
		.amdhsa_user_sgpr_queue_ptr 0
		.amdhsa_user_sgpr_kernarg_segment_ptr 1
		.amdhsa_user_sgpr_dispatch_id 0
		.amdhsa_user_sgpr_flat_scratch_init 0
		.amdhsa_user_sgpr_kernarg_preload_length 0
		.amdhsa_user_sgpr_kernarg_preload_offset 0
		.amdhsa_user_sgpr_private_segment_size 0
		.amdhsa_uses_dynamic_stack 0
		.amdhsa_system_sgpr_private_segment_wavefront_offset 0
		.amdhsa_system_sgpr_workgroup_id_x 1
		.amdhsa_system_sgpr_workgroup_id_y 0
		.amdhsa_system_sgpr_workgroup_id_z 0
		.amdhsa_system_sgpr_workgroup_info 0
		.amdhsa_system_vgpr_workitem_id 0
		.amdhsa_next_free_vgpr 1
		.amdhsa_next_free_sgpr 0
		.amdhsa_accum_offset 4
		.amdhsa_reserve_vcc 0
		.amdhsa_reserve_flat_scratch 0
		.amdhsa_float_round_mode_32 0
		.amdhsa_float_round_mode_16_64 0
		.amdhsa_float_denorm_mode_32 3
		.amdhsa_float_denorm_mode_16_64 3
		.amdhsa_dx10_clamp 1
		.amdhsa_ieee_mode 1
		.amdhsa_fp16_overflow 0
		.amdhsa_tg_split 0
		.amdhsa_exception_fp_ieee_invalid_op 0
		.amdhsa_exception_fp_denorm_src 0
		.amdhsa_exception_fp_ieee_div_zero 0
		.amdhsa_exception_fp_ieee_overflow 0
		.amdhsa_exception_fp_ieee_underflow 0
		.amdhsa_exception_fp_ieee_inexact 0
		.amdhsa_exception_int_div_zero 0
	.end_amdhsa_kernel
	.section	.text._ZN7rocprim17ROCPRIM_400000_NS6detail17trampoline_kernelINS0_14default_configENS1_35adjacent_difference_config_selectorILb0E14custom_numericEEZNS1_24adjacent_difference_implIS3_Lb0ELb0EPS5_S8_N6thrust23THRUST_200600_302600_NS5minusIS5_EEEE10hipError_tPvRmT2_T3_mT4_P12ihipStream_tbEUlT_E_NS1_11comp_targetILNS1_3genE10ELNS1_11target_archE1201ELNS1_3gpuE5ELNS1_3repE0EEENS1_30default_config_static_selectorELNS0_4arch9wavefront6targetE1EEEvT1_,"axG",@progbits,_ZN7rocprim17ROCPRIM_400000_NS6detail17trampoline_kernelINS0_14default_configENS1_35adjacent_difference_config_selectorILb0E14custom_numericEEZNS1_24adjacent_difference_implIS3_Lb0ELb0EPS5_S8_N6thrust23THRUST_200600_302600_NS5minusIS5_EEEE10hipError_tPvRmT2_T3_mT4_P12ihipStream_tbEUlT_E_NS1_11comp_targetILNS1_3genE10ELNS1_11target_archE1201ELNS1_3gpuE5ELNS1_3repE0EEENS1_30default_config_static_selectorELNS0_4arch9wavefront6targetE1EEEvT1_,comdat
.Lfunc_end210:
	.size	_ZN7rocprim17ROCPRIM_400000_NS6detail17trampoline_kernelINS0_14default_configENS1_35adjacent_difference_config_selectorILb0E14custom_numericEEZNS1_24adjacent_difference_implIS3_Lb0ELb0EPS5_S8_N6thrust23THRUST_200600_302600_NS5minusIS5_EEEE10hipError_tPvRmT2_T3_mT4_P12ihipStream_tbEUlT_E_NS1_11comp_targetILNS1_3genE10ELNS1_11target_archE1201ELNS1_3gpuE5ELNS1_3repE0EEENS1_30default_config_static_selectorELNS0_4arch9wavefront6targetE1EEEvT1_, .Lfunc_end210-_ZN7rocprim17ROCPRIM_400000_NS6detail17trampoline_kernelINS0_14default_configENS1_35adjacent_difference_config_selectorILb0E14custom_numericEEZNS1_24adjacent_difference_implIS3_Lb0ELb0EPS5_S8_N6thrust23THRUST_200600_302600_NS5minusIS5_EEEE10hipError_tPvRmT2_T3_mT4_P12ihipStream_tbEUlT_E_NS1_11comp_targetILNS1_3genE10ELNS1_11target_archE1201ELNS1_3gpuE5ELNS1_3repE0EEENS1_30default_config_static_selectorELNS0_4arch9wavefront6targetE1EEEvT1_
                                        ; -- End function
	.section	.AMDGPU.csdata,"",@progbits
; Kernel info:
; codeLenInByte = 0
; NumSgprs: 4
; NumVgprs: 0
; NumAgprs: 0
; TotalNumVgprs: 0
; ScratchSize: 0
; MemoryBound: 0
; FloatMode: 240
; IeeeMode: 1
; LDSByteSize: 0 bytes/workgroup (compile time only)
; SGPRBlocks: 0
; VGPRBlocks: 0
; NumSGPRsForWavesPerEU: 4
; NumVGPRsForWavesPerEU: 1
; AccumOffset: 4
; Occupancy: 8
; WaveLimiterHint : 0
; COMPUTE_PGM_RSRC2:SCRATCH_EN: 0
; COMPUTE_PGM_RSRC2:USER_SGPR: 6
; COMPUTE_PGM_RSRC2:TRAP_HANDLER: 0
; COMPUTE_PGM_RSRC2:TGID_X_EN: 1
; COMPUTE_PGM_RSRC2:TGID_Y_EN: 0
; COMPUTE_PGM_RSRC2:TGID_Z_EN: 0
; COMPUTE_PGM_RSRC2:TIDIG_COMP_CNT: 0
; COMPUTE_PGM_RSRC3_GFX90A:ACCUM_OFFSET: 0
; COMPUTE_PGM_RSRC3_GFX90A:TG_SPLIT: 0
	.section	.text._ZN7rocprim17ROCPRIM_400000_NS6detail17trampoline_kernelINS0_14default_configENS1_35adjacent_difference_config_selectorILb0E14custom_numericEEZNS1_24adjacent_difference_implIS3_Lb0ELb0EPS5_S8_N6thrust23THRUST_200600_302600_NS5minusIS5_EEEE10hipError_tPvRmT2_T3_mT4_P12ihipStream_tbEUlT_E_NS1_11comp_targetILNS1_3genE5ELNS1_11target_archE942ELNS1_3gpuE9ELNS1_3repE0EEENS1_30default_config_static_selectorELNS0_4arch9wavefront6targetE1EEEvT1_,"axG",@progbits,_ZN7rocprim17ROCPRIM_400000_NS6detail17trampoline_kernelINS0_14default_configENS1_35adjacent_difference_config_selectorILb0E14custom_numericEEZNS1_24adjacent_difference_implIS3_Lb0ELb0EPS5_S8_N6thrust23THRUST_200600_302600_NS5minusIS5_EEEE10hipError_tPvRmT2_T3_mT4_P12ihipStream_tbEUlT_E_NS1_11comp_targetILNS1_3genE5ELNS1_11target_archE942ELNS1_3gpuE9ELNS1_3repE0EEENS1_30default_config_static_selectorELNS0_4arch9wavefront6targetE1EEEvT1_,comdat
	.protected	_ZN7rocprim17ROCPRIM_400000_NS6detail17trampoline_kernelINS0_14default_configENS1_35adjacent_difference_config_selectorILb0E14custom_numericEEZNS1_24adjacent_difference_implIS3_Lb0ELb0EPS5_S8_N6thrust23THRUST_200600_302600_NS5minusIS5_EEEE10hipError_tPvRmT2_T3_mT4_P12ihipStream_tbEUlT_E_NS1_11comp_targetILNS1_3genE5ELNS1_11target_archE942ELNS1_3gpuE9ELNS1_3repE0EEENS1_30default_config_static_selectorELNS0_4arch9wavefront6targetE1EEEvT1_ ; -- Begin function _ZN7rocprim17ROCPRIM_400000_NS6detail17trampoline_kernelINS0_14default_configENS1_35adjacent_difference_config_selectorILb0E14custom_numericEEZNS1_24adjacent_difference_implIS3_Lb0ELb0EPS5_S8_N6thrust23THRUST_200600_302600_NS5minusIS5_EEEE10hipError_tPvRmT2_T3_mT4_P12ihipStream_tbEUlT_E_NS1_11comp_targetILNS1_3genE5ELNS1_11target_archE942ELNS1_3gpuE9ELNS1_3repE0EEENS1_30default_config_static_selectorELNS0_4arch9wavefront6targetE1EEEvT1_
	.globl	_ZN7rocprim17ROCPRIM_400000_NS6detail17trampoline_kernelINS0_14default_configENS1_35adjacent_difference_config_selectorILb0E14custom_numericEEZNS1_24adjacent_difference_implIS3_Lb0ELb0EPS5_S8_N6thrust23THRUST_200600_302600_NS5minusIS5_EEEE10hipError_tPvRmT2_T3_mT4_P12ihipStream_tbEUlT_E_NS1_11comp_targetILNS1_3genE5ELNS1_11target_archE942ELNS1_3gpuE9ELNS1_3repE0EEENS1_30default_config_static_selectorELNS0_4arch9wavefront6targetE1EEEvT1_
	.p2align	8
	.type	_ZN7rocprim17ROCPRIM_400000_NS6detail17trampoline_kernelINS0_14default_configENS1_35adjacent_difference_config_selectorILb0E14custom_numericEEZNS1_24adjacent_difference_implIS3_Lb0ELb0EPS5_S8_N6thrust23THRUST_200600_302600_NS5minusIS5_EEEE10hipError_tPvRmT2_T3_mT4_P12ihipStream_tbEUlT_E_NS1_11comp_targetILNS1_3genE5ELNS1_11target_archE942ELNS1_3gpuE9ELNS1_3repE0EEENS1_30default_config_static_selectorELNS0_4arch9wavefront6targetE1EEEvT1_,@function
_ZN7rocprim17ROCPRIM_400000_NS6detail17trampoline_kernelINS0_14default_configENS1_35adjacent_difference_config_selectorILb0E14custom_numericEEZNS1_24adjacent_difference_implIS3_Lb0ELb0EPS5_S8_N6thrust23THRUST_200600_302600_NS5minusIS5_EEEE10hipError_tPvRmT2_T3_mT4_P12ihipStream_tbEUlT_E_NS1_11comp_targetILNS1_3genE5ELNS1_11target_archE942ELNS1_3gpuE9ELNS1_3repE0EEENS1_30default_config_static_selectorELNS0_4arch9wavefront6targetE1EEEvT1_: ; @_ZN7rocprim17ROCPRIM_400000_NS6detail17trampoline_kernelINS0_14default_configENS1_35adjacent_difference_config_selectorILb0E14custom_numericEEZNS1_24adjacent_difference_implIS3_Lb0ELb0EPS5_S8_N6thrust23THRUST_200600_302600_NS5minusIS5_EEEE10hipError_tPvRmT2_T3_mT4_P12ihipStream_tbEUlT_E_NS1_11comp_targetILNS1_3genE5ELNS1_11target_archE942ELNS1_3gpuE9ELNS1_3repE0EEENS1_30default_config_static_selectorELNS0_4arch9wavefront6targetE1EEEvT1_
; %bb.0:
	.section	.rodata,"a",@progbits
	.p2align	6, 0x0
	.amdhsa_kernel _ZN7rocprim17ROCPRIM_400000_NS6detail17trampoline_kernelINS0_14default_configENS1_35adjacent_difference_config_selectorILb0E14custom_numericEEZNS1_24adjacent_difference_implIS3_Lb0ELb0EPS5_S8_N6thrust23THRUST_200600_302600_NS5minusIS5_EEEE10hipError_tPvRmT2_T3_mT4_P12ihipStream_tbEUlT_E_NS1_11comp_targetILNS1_3genE5ELNS1_11target_archE942ELNS1_3gpuE9ELNS1_3repE0EEENS1_30default_config_static_selectorELNS0_4arch9wavefront6targetE1EEEvT1_
		.amdhsa_group_segment_fixed_size 0
		.amdhsa_private_segment_fixed_size 0
		.amdhsa_kernarg_size 56
		.amdhsa_user_sgpr_count 6
		.amdhsa_user_sgpr_private_segment_buffer 1
		.amdhsa_user_sgpr_dispatch_ptr 0
		.amdhsa_user_sgpr_queue_ptr 0
		.amdhsa_user_sgpr_kernarg_segment_ptr 1
		.amdhsa_user_sgpr_dispatch_id 0
		.amdhsa_user_sgpr_flat_scratch_init 0
		.amdhsa_user_sgpr_kernarg_preload_length 0
		.amdhsa_user_sgpr_kernarg_preload_offset 0
		.amdhsa_user_sgpr_private_segment_size 0
		.amdhsa_uses_dynamic_stack 0
		.amdhsa_system_sgpr_private_segment_wavefront_offset 0
		.amdhsa_system_sgpr_workgroup_id_x 1
		.amdhsa_system_sgpr_workgroup_id_y 0
		.amdhsa_system_sgpr_workgroup_id_z 0
		.amdhsa_system_sgpr_workgroup_info 0
		.amdhsa_system_vgpr_workitem_id 0
		.amdhsa_next_free_vgpr 1
		.amdhsa_next_free_sgpr 0
		.amdhsa_accum_offset 4
		.amdhsa_reserve_vcc 0
		.amdhsa_reserve_flat_scratch 0
		.amdhsa_float_round_mode_32 0
		.amdhsa_float_round_mode_16_64 0
		.amdhsa_float_denorm_mode_32 3
		.amdhsa_float_denorm_mode_16_64 3
		.amdhsa_dx10_clamp 1
		.amdhsa_ieee_mode 1
		.amdhsa_fp16_overflow 0
		.amdhsa_tg_split 0
		.amdhsa_exception_fp_ieee_invalid_op 0
		.amdhsa_exception_fp_denorm_src 0
		.amdhsa_exception_fp_ieee_div_zero 0
		.amdhsa_exception_fp_ieee_overflow 0
		.amdhsa_exception_fp_ieee_underflow 0
		.amdhsa_exception_fp_ieee_inexact 0
		.amdhsa_exception_int_div_zero 0
	.end_amdhsa_kernel
	.section	.text._ZN7rocprim17ROCPRIM_400000_NS6detail17trampoline_kernelINS0_14default_configENS1_35adjacent_difference_config_selectorILb0E14custom_numericEEZNS1_24adjacent_difference_implIS3_Lb0ELb0EPS5_S8_N6thrust23THRUST_200600_302600_NS5minusIS5_EEEE10hipError_tPvRmT2_T3_mT4_P12ihipStream_tbEUlT_E_NS1_11comp_targetILNS1_3genE5ELNS1_11target_archE942ELNS1_3gpuE9ELNS1_3repE0EEENS1_30default_config_static_selectorELNS0_4arch9wavefront6targetE1EEEvT1_,"axG",@progbits,_ZN7rocprim17ROCPRIM_400000_NS6detail17trampoline_kernelINS0_14default_configENS1_35adjacent_difference_config_selectorILb0E14custom_numericEEZNS1_24adjacent_difference_implIS3_Lb0ELb0EPS5_S8_N6thrust23THRUST_200600_302600_NS5minusIS5_EEEE10hipError_tPvRmT2_T3_mT4_P12ihipStream_tbEUlT_E_NS1_11comp_targetILNS1_3genE5ELNS1_11target_archE942ELNS1_3gpuE9ELNS1_3repE0EEENS1_30default_config_static_selectorELNS0_4arch9wavefront6targetE1EEEvT1_,comdat
.Lfunc_end211:
	.size	_ZN7rocprim17ROCPRIM_400000_NS6detail17trampoline_kernelINS0_14default_configENS1_35adjacent_difference_config_selectorILb0E14custom_numericEEZNS1_24adjacent_difference_implIS3_Lb0ELb0EPS5_S8_N6thrust23THRUST_200600_302600_NS5minusIS5_EEEE10hipError_tPvRmT2_T3_mT4_P12ihipStream_tbEUlT_E_NS1_11comp_targetILNS1_3genE5ELNS1_11target_archE942ELNS1_3gpuE9ELNS1_3repE0EEENS1_30default_config_static_selectorELNS0_4arch9wavefront6targetE1EEEvT1_, .Lfunc_end211-_ZN7rocprim17ROCPRIM_400000_NS6detail17trampoline_kernelINS0_14default_configENS1_35adjacent_difference_config_selectorILb0E14custom_numericEEZNS1_24adjacent_difference_implIS3_Lb0ELb0EPS5_S8_N6thrust23THRUST_200600_302600_NS5minusIS5_EEEE10hipError_tPvRmT2_T3_mT4_P12ihipStream_tbEUlT_E_NS1_11comp_targetILNS1_3genE5ELNS1_11target_archE942ELNS1_3gpuE9ELNS1_3repE0EEENS1_30default_config_static_selectorELNS0_4arch9wavefront6targetE1EEEvT1_
                                        ; -- End function
	.section	.AMDGPU.csdata,"",@progbits
; Kernel info:
; codeLenInByte = 0
; NumSgprs: 4
; NumVgprs: 0
; NumAgprs: 0
; TotalNumVgprs: 0
; ScratchSize: 0
; MemoryBound: 0
; FloatMode: 240
; IeeeMode: 1
; LDSByteSize: 0 bytes/workgroup (compile time only)
; SGPRBlocks: 0
; VGPRBlocks: 0
; NumSGPRsForWavesPerEU: 4
; NumVGPRsForWavesPerEU: 1
; AccumOffset: 4
; Occupancy: 8
; WaveLimiterHint : 0
; COMPUTE_PGM_RSRC2:SCRATCH_EN: 0
; COMPUTE_PGM_RSRC2:USER_SGPR: 6
; COMPUTE_PGM_RSRC2:TRAP_HANDLER: 0
; COMPUTE_PGM_RSRC2:TGID_X_EN: 1
; COMPUTE_PGM_RSRC2:TGID_Y_EN: 0
; COMPUTE_PGM_RSRC2:TGID_Z_EN: 0
; COMPUTE_PGM_RSRC2:TIDIG_COMP_CNT: 0
; COMPUTE_PGM_RSRC3_GFX90A:ACCUM_OFFSET: 0
; COMPUTE_PGM_RSRC3_GFX90A:TG_SPLIT: 0
	.section	.text._ZN7rocprim17ROCPRIM_400000_NS6detail17trampoline_kernelINS0_14default_configENS1_35adjacent_difference_config_selectorILb0E14custom_numericEEZNS1_24adjacent_difference_implIS3_Lb0ELb0EPS5_S8_N6thrust23THRUST_200600_302600_NS5minusIS5_EEEE10hipError_tPvRmT2_T3_mT4_P12ihipStream_tbEUlT_E_NS1_11comp_targetILNS1_3genE4ELNS1_11target_archE910ELNS1_3gpuE8ELNS1_3repE0EEENS1_30default_config_static_selectorELNS0_4arch9wavefront6targetE1EEEvT1_,"axG",@progbits,_ZN7rocprim17ROCPRIM_400000_NS6detail17trampoline_kernelINS0_14default_configENS1_35adjacent_difference_config_selectorILb0E14custom_numericEEZNS1_24adjacent_difference_implIS3_Lb0ELb0EPS5_S8_N6thrust23THRUST_200600_302600_NS5minusIS5_EEEE10hipError_tPvRmT2_T3_mT4_P12ihipStream_tbEUlT_E_NS1_11comp_targetILNS1_3genE4ELNS1_11target_archE910ELNS1_3gpuE8ELNS1_3repE0EEENS1_30default_config_static_selectorELNS0_4arch9wavefront6targetE1EEEvT1_,comdat
	.protected	_ZN7rocprim17ROCPRIM_400000_NS6detail17trampoline_kernelINS0_14default_configENS1_35adjacent_difference_config_selectorILb0E14custom_numericEEZNS1_24adjacent_difference_implIS3_Lb0ELb0EPS5_S8_N6thrust23THRUST_200600_302600_NS5minusIS5_EEEE10hipError_tPvRmT2_T3_mT4_P12ihipStream_tbEUlT_E_NS1_11comp_targetILNS1_3genE4ELNS1_11target_archE910ELNS1_3gpuE8ELNS1_3repE0EEENS1_30default_config_static_selectorELNS0_4arch9wavefront6targetE1EEEvT1_ ; -- Begin function _ZN7rocprim17ROCPRIM_400000_NS6detail17trampoline_kernelINS0_14default_configENS1_35adjacent_difference_config_selectorILb0E14custom_numericEEZNS1_24adjacent_difference_implIS3_Lb0ELb0EPS5_S8_N6thrust23THRUST_200600_302600_NS5minusIS5_EEEE10hipError_tPvRmT2_T3_mT4_P12ihipStream_tbEUlT_E_NS1_11comp_targetILNS1_3genE4ELNS1_11target_archE910ELNS1_3gpuE8ELNS1_3repE0EEENS1_30default_config_static_selectorELNS0_4arch9wavefront6targetE1EEEvT1_
	.globl	_ZN7rocprim17ROCPRIM_400000_NS6detail17trampoline_kernelINS0_14default_configENS1_35adjacent_difference_config_selectorILb0E14custom_numericEEZNS1_24adjacent_difference_implIS3_Lb0ELb0EPS5_S8_N6thrust23THRUST_200600_302600_NS5minusIS5_EEEE10hipError_tPvRmT2_T3_mT4_P12ihipStream_tbEUlT_E_NS1_11comp_targetILNS1_3genE4ELNS1_11target_archE910ELNS1_3gpuE8ELNS1_3repE0EEENS1_30default_config_static_selectorELNS0_4arch9wavefront6targetE1EEEvT1_
	.p2align	8
	.type	_ZN7rocprim17ROCPRIM_400000_NS6detail17trampoline_kernelINS0_14default_configENS1_35adjacent_difference_config_selectorILb0E14custom_numericEEZNS1_24adjacent_difference_implIS3_Lb0ELb0EPS5_S8_N6thrust23THRUST_200600_302600_NS5minusIS5_EEEE10hipError_tPvRmT2_T3_mT4_P12ihipStream_tbEUlT_E_NS1_11comp_targetILNS1_3genE4ELNS1_11target_archE910ELNS1_3gpuE8ELNS1_3repE0EEENS1_30default_config_static_selectorELNS0_4arch9wavefront6targetE1EEEvT1_,@function
_ZN7rocprim17ROCPRIM_400000_NS6detail17trampoline_kernelINS0_14default_configENS1_35adjacent_difference_config_selectorILb0E14custom_numericEEZNS1_24adjacent_difference_implIS3_Lb0ELb0EPS5_S8_N6thrust23THRUST_200600_302600_NS5minusIS5_EEEE10hipError_tPvRmT2_T3_mT4_P12ihipStream_tbEUlT_E_NS1_11comp_targetILNS1_3genE4ELNS1_11target_archE910ELNS1_3gpuE8ELNS1_3repE0EEENS1_30default_config_static_selectorELNS0_4arch9wavefront6targetE1EEEvT1_: ; @_ZN7rocprim17ROCPRIM_400000_NS6detail17trampoline_kernelINS0_14default_configENS1_35adjacent_difference_config_selectorILb0E14custom_numericEEZNS1_24adjacent_difference_implIS3_Lb0ELb0EPS5_S8_N6thrust23THRUST_200600_302600_NS5minusIS5_EEEE10hipError_tPvRmT2_T3_mT4_P12ihipStream_tbEUlT_E_NS1_11comp_targetILNS1_3genE4ELNS1_11target_archE910ELNS1_3gpuE8ELNS1_3repE0EEENS1_30default_config_static_selectorELNS0_4arch9wavefront6targetE1EEEvT1_
; %bb.0:
	s_load_dwordx8 s[8:15], s[4:5], 0x0
	s_load_dwordx2 s[0:1], s[4:5], 0x30
	s_mov_b32 s3, 0x55500000
	v_mov_b32_e32 v1, 0x55555000
	s_mul_i32 s16, s6, 0x300
	s_waitcnt lgkmcnt(0)
	s_mul_i32 s2, s11, 20
	s_mul_hi_u32 s17, s10, 20
	s_add_i32 s17, s17, s2
	s_mul_i32 s18, s10, 20
	s_add_u32 s20, s8, s18
	s_addc_u32 s21, s9, s17
	s_add_u32 s3, 0x55555, s3
	s_addc_u32 s3, 0, 0x555
	;; [unrolled: 2-line block ×3, first 2 shown]
	v_add_co_u32_e32 v1, vcc, s3, v1
	s_cmp_lg_u64 vcc, 0
	s_addc_u32 s3, s4, 0x555555
	v_readfirstlane_b32 s7, v1
	s_mul_i32 s5, s14, s3
	s_mul_hi_u32 s8, s14, s7
	s_mul_hi_u32 s4, s14, s3
	s_add_u32 s5, s8, s5
	s_addc_u32 s4, 0, s4
	s_mul_hi_u32 s9, s15, s7
	s_mul_i32 s7, s15, s7
	s_add_u32 s5, s5, s7
	s_mul_hi_u32 s8, s15, s3
	s_addc_u32 s4, s4, s9
	s_addc_u32 s5, s8, 0
	s_mul_i32 s3, s15, s3
	s_add_u32 s3, s4, s3
	s_addc_u32 s4, 0, s5
	s_add_u32 s5, s3, 1
	s_addc_u32 s7, s4, 0
	s_add_u32 s8, s3, 2
	s_mul_i32 s10, s4, 0x300
	s_mul_hi_u32 s11, s3, 0x300
	s_addc_u32 s9, s4, 0
	s_add_i32 s11, s11, s10
	s_mul_i32 s10, s3, 0x300
	v_mov_b32_e32 v1, s10
	v_sub_co_u32_e32 v1, vcc, s14, v1
	s_movk_i32 s2, 0x300
	s_cmp_lg_u64 vcc, 0
	s_subb_u32 s10, s15, s11
	v_subrev_co_u32_e32 v2, vcc, s2, v1
	s_cmp_lg_u64 vcc, 0
	s_subb_u32 s2, s10, 0
	v_readfirstlane_b32 s11, v2
	s_cmpk_gt_u32 s11, 0x2ff
	s_cselect_b32 s11, -1, 0
	s_cmp_eq_u32 s2, 0
	s_cselect_b32 s2, s11, -1
	s_cmp_lg_u32 s2, 0
	s_cselect_b32 s2, s8, s5
	s_cselect_b32 s5, s9, s7
	v_readfirstlane_b32 s7, v1
	s_cmpk_gt_u32 s7, 0x2ff
	s_cselect_b32 s7, -1, 0
	s_cmp_eq_u32 s10, 0
	s_cselect_b32 s7, s7, -1
	s_cmp_lg_u32 s7, 0
	s_cselect_b32 s4, s5, s4
	s_cselect_b32 s5, s2, s3
	s_mul_i32 s2, s4, 0x300
	s_mul_hi_u32 s3, s5, 0x300
	s_add_i32 s3, s3, s2
	s_mul_i32 s2, s5, 0x300
	s_sub_u32 s2, s14, s2
	s_subb_u32 s3, s15, s3
	s_cmp_lg_u64 s[2:3], 0
	s_cselect_b64 s[2:3], -1, 0
	v_cndmask_b32_e64 v1, 0, 1, s[2:3]
	v_readfirstlane_b32 s2, v1
	s_add_u32 s2, s5, s2
	s_addc_u32 s3, s4, 0
	s_add_u32 s4, s0, s6
	s_addc_u32 s5, s1, 0
	s_add_u32 s6, s2, -1
	s_addc_u32 s7, s3, -1
	v_pk_mov_b32 v[2:3], s[6:7], s[6:7] op_sel:[0,1]
	v_cmp_ge_u64_e64 s[0:1], s[4:5], v[2:3]
	s_mov_b64 s[8:9], -1
	s_and_b64 vcc, exec, s[0:1]
	s_mul_i32 s19, s6, 0xfffffd00
	s_mul_hi_u32 s15, s16, 20
	s_mul_i32 s16, s16, 20
	s_cbranch_vccz .LBB212_8
; %bb.1:
	s_add_i32 s22, s19, s14
	s_add_u32 s8, s20, s16
	s_addc_u32 s9, s21, s15
	v_cmp_gt_u32_e32 vcc, s22, v0
	v_mov_b32_e32 v1, 0
	v_mov_b32_e32 v2, 0
	s_and_saveexec_b64 s[10:11], vcc
	s_cbranch_execz .LBB212_3
; %bb.2:
	v_mad_u64_u32 v[2:3], s[24:25], v0, 20, s[8:9]
	global_load_dword v2, v[2:3], off
.LBB212_3:
	s_or_b64 exec, exec, s[10:11]
	v_or_b32_e32 v3, 0x100, v0
	v_cmp_gt_u32_e32 vcc, s22, v3
	s_and_saveexec_b64 s[10:11], vcc
	s_cbranch_execz .LBB212_5
; %bb.4:
	v_mad_u64_u32 v[4:5], s[24:25], v3, 20, s[8:9]
	global_load_dword v1, v[4:5], off
.LBB212_5:
	s_or_b64 exec, exec, s[10:11]
	v_or_b32_e32 v4, 0x200, v0
	v_cmp_gt_u32_e32 vcc, s22, v4
	v_mov_b32_e32 v3, 0
	s_and_saveexec_b64 s[10:11], vcc
	s_cbranch_execz .LBB212_7
; %bb.6:
	v_mad_u64_u32 v[4:5], s[8:9], v4, 20, s[8:9]
	global_load_dword v3, v[4:5], off
.LBB212_7:
	s_or_b64 exec, exec, s[10:11]
	v_mov_b32_e32 v5, 0x1400
	v_mul_u32_u24_e32 v4, 20, v0
	v_mad_u32_u24 v5, v0, 20, v5
	s_waitcnt vmcnt(0)
	ds_write2_b32 v4, v2, v2 offset1:1
	ds_write2_b32 v4, v2, v2 offset0:2 offset1:3
	ds_write2_b32 v5, v1, v1 offset1:1
	v_mov_b32_e32 v5, 0x1408
	v_mad_u32_u24 v5, v0, 20, v5
	ds_write2_b32 v5, v1, v1 offset1:1
	v_add_u32_e32 v5, 16, v4
	ds_write2st64_b32 v5, v2, v1 offset1:20
	v_mov_b32_e32 v1, 0x2800
	v_mad_u32_u24 v1, v0, 20, v1
	ds_write2_b32 v1, v3, v3 offset1:1
	v_mov_b32_e32 v1, 0x2808
	v_mad_u32_u24 v1, v0, 20, v1
	s_mov_b64 s[8:9], 0
	ds_write2_b32 v1, v3, v3 offset1:1
	ds_write_b32 v4, v3 offset:10256
	s_waitcnt lgkmcnt(0)
	s_barrier
.LBB212_8:
	s_and_b64 vcc, exec, s[8:9]
	v_mul_u32_u24_e32 v1, 20, v0
	s_cbranch_vccz .LBB212_10
; %bb.9:
	s_add_u32 s8, s20, s16
	s_addc_u32 s9, s21, s15
	v_mad_u64_u32 v[2:3], s[8:9], v0, 20, s[8:9]
	v_add_co_u32_e32 v4, vcc, 0x1000, v2
	v_addc_co_u32_e32 v5, vcc, 0, v3, vcc
	global_load_dword v6, v[2:3], off
	global_load_dword v7, v[4:5], off offset:1024
	v_add_co_u32_e32 v2, vcc, 0x2000, v2
	v_addc_co_u32_e32 v3, vcc, 0, v3, vcc
	global_load_dword v2, v[2:3], off offset:2048
	v_mov_b32_e32 v3, 0x1400
	v_mov_b32_e32 v4, 0x1408
	;; [unrolled: 1-line block ×4, first 2 shown]
	v_add_u32_e32 v5, 16, v1
	v_mad_u32_u24 v3, v0, 20, v3
	v_mad_u32_u24 v4, v0, 20, v4
	;; [unrolled: 1-line block ×4, first 2 shown]
	s_waitcnt vmcnt(2)
	ds_write2_b32 v1, v6, v6 offset1:1
	ds_write2_b32 v1, v6, v6 offset0:2 offset1:3
	s_waitcnt vmcnt(1)
	ds_write2_b32 v3, v7, v7 offset1:1
	ds_write2_b32 v4, v7, v7 offset1:1
	ds_write2st64_b32 v5, v6, v7 offset1:20
	s_waitcnt vmcnt(0)
	ds_write2_b32 v8, v2, v2 offset1:1
	ds_write2_b32 v9, v2, v2 offset1:1
	ds_write_b32 v1, v2 offset:10256
	s_waitcnt lgkmcnt(0)
	s_barrier
.LBB212_10:
	v_mul_u32_u24_e32 v2, 3, v0
	v_mul_lo_u32 v4, v2, 20
	ds_read2_b32 v[2:3], v4 offset1:5
	ds_read_b32 v4, v4 offset:40
	s_cmp_eq_u64 s[4:5], 0
	s_waitcnt lgkmcnt(0)
	s_barrier
	s_cbranch_scc1 .LBB212_15
; %bb.11:
	s_add_u32 s8, s20, s16
	s_addc_u32 s9, s21, s15
	s_add_u32 s8, s8, 0xffffffec
	s_addc_u32 s9, s9, -1
	s_load_dword s8, s[8:9], 0x0
	s_cmp_eq_u64 s[4:5], s[6:7]
	s_cbranch_scc1 .LBB212_16
; %bb.12:
	v_cmp_ne_u32_e32 vcc, 0, v0
	s_waitcnt lgkmcnt(0)
	v_mov_b32_e32 v5, s8
	ds_write2_b32 v1, v4, v4 offset1:1
	ds_write2_b32 v1, v4, v4 offset0:2 offset1:3
	ds_write_b32 v1, v4 offset:16
	s_waitcnt lgkmcnt(0)
	s_barrier
	s_and_saveexec_b64 s[6:7], vcc
	s_cbranch_execz .LBB212_14
; %bb.13:
	v_subrev_u32_e32 v5, 20, v1
	ds_read_b32 v5, v5
.LBB212_14:
	s_or_b64 exec, exec, s[6:7]
	s_waitcnt lgkmcnt(0)
	v_sub_u32_e32 v5, v2, v5
	v_mov_b32_e32 v6, v3
	v_mov_b32_e32 v7, v2
	s_branch .LBB212_20
.LBB212_15:
                                        ; implicit-def: $vgpr6
                                        ; implicit-def: $vgpr7
                                        ; implicit-def: $vgpr5
	s_branch .LBB212_21
.LBB212_16:
                                        ; implicit-def: $vgpr5
	v_mov_b32_e32 v6, v3
	v_mov_b32_e32 v7, v2
	s_cbranch_execz .LBB212_20
; %bb.17:
	v_mul_u32_u24_e32 v5, 3, v0
	v_cmp_ne_u32_e32 vcc, 0, v0
	s_waitcnt lgkmcnt(0)
	v_mov_b32_e32 v8, s8
	ds_write2_b32 v1, v4, v4 offset1:1
	ds_write2_b32 v1, v4, v4 offset0:2 offset1:3
	ds_write_b32 v1, v4 offset:16
	s_waitcnt lgkmcnt(0)
	s_barrier
	s_and_saveexec_b64 s[6:7], vcc
	s_cbranch_execz .LBB212_19
; %bb.18:
	v_subrev_u32_e32 v6, 20, v1
	ds_read_b32 v8, v6
.LBB212_19:
	s_or_b64 exec, exec, s[6:7]
	s_mulk_i32 s4, 0xfd00
	s_add_i32 s4, s4, s14
	v_add_u32_e32 v6, 1, v5
	v_add_u32_e32 v9, 2, v5
	v_cmp_gt_u32_e32 vcc, s4, v6
	v_cndmask_b32_e32 v7, 0, v2, vcc
	v_cmp_gt_u32_e32 vcc, s4, v9
	v_cndmask_b32_e32 v6, 0, v3, vcc
	v_cmp_gt_u32_e32 vcc, s4, v5
	s_waitcnt lgkmcnt(0)
	v_cndmask_b32_e32 v5, 0, v8, vcc
	v_sub_u32_e32 v5, v2, v5
.LBB212_20:
	s_cbranch_execnz .LBB212_30
.LBB212_21:
	s_cmp_eq_u64 s[2:3], 1
	v_cmp_ne_u32_e32 vcc, 0, v0
	s_cbranch_scc1 .LBB212_25
; %bb.22:
	v_mov_b32_e32 v5, v2
	ds_write2_b32 v1, v4, v4 offset1:1
	ds_write2_b32 v1, v4, v4 offset0:2 offset1:3
	ds_write_b32 v1, v4 offset:16
	s_waitcnt lgkmcnt(0)
	s_barrier
	s_and_saveexec_b64 s[2:3], vcc
	s_cbranch_execz .LBB212_24
; %bb.23:
	v_subrev_u32_e32 v5, 20, v1
	ds_read_b32 v5, v5
	s_waitcnt lgkmcnt(0)
	v_sub_u32_e32 v5, v2, v5
.LBB212_24:
	s_or_b64 exec, exec, s[2:3]
	v_mov_b32_e32 v6, v3
	s_cbranch_execz .LBB212_26
	s_branch .LBB212_29
.LBB212_25:
                                        ; implicit-def: $vgpr5
	v_mov_b32_e32 v6, v3
.LBB212_26:
	v_mul_u32_u24_e32 v5, 3, v0
	v_mad_u32_u24 v6, v0, 3, 1
	v_mad_u32_u24 v7, v0, 3, 2
	v_cmp_ne_u32_e64 s[4:5], 0, v0
	v_cmp_gt_u32_e64 s[6:7], s14, v5
	v_cmp_gt_u32_e32 vcc, s14, v7
	v_cmp_gt_u32_e64 s[2:3], s14, v6
	s_and_b64 s[6:7], s[4:5], s[6:7]
	v_mov_b32_e32 v5, v2
	ds_write2_b32 v1, v4, v4 offset1:1
	ds_write2_b32 v1, v4, v4 offset0:2 offset1:3
	ds_write_b32 v1, v4 offset:16
	s_waitcnt lgkmcnt(0)
	s_barrier
	s_and_saveexec_b64 s[4:5], s[6:7]
	s_cbranch_execz .LBB212_28
; %bb.27:
	v_subrev_u32_e32 v1, 20, v1
	ds_read_b32 v1, v1
	s_waitcnt lgkmcnt(0)
	v_sub_u32_e32 v5, v2, v1
.LBB212_28:
	s_or_b64 exec, exec, s[4:5]
	v_cndmask_b32_e64 v2, 0, v2, s[2:3]
	v_cndmask_b32_e32 v6, 0, v3, vcc
.LBB212_29:
	v_mov_b32_e32 v7, v2
.LBB212_30:
	s_add_u32 s5, s12, s18
	s_addc_u32 s4, s13, s17
	v_sub_u32_e32 v1, v4, v6
	v_sub_u32_e32 v4, v3, v7
	s_and_b64 vcc, exec, s[0:1]
	v_mul_u32_u24_e32 v8, 60, v0
	s_waitcnt lgkmcnt(0)
	s_barrier
	s_cbranch_vccz .LBB212_36
; %bb.31:
	v_mul_i32_i24_e32 v9, 0xffffffd8, v0
	v_mad_u32_u24 v2, v0, 60, v9
	ds_write2_b32 v8, v5, v5 offset1:1
	ds_write2_b32 v8, v5, v5 offset0:2 offset1:3
	ds_write_b32 v8, v5 offset:16
	ds_write2_b32 v8, v4, v4 offset0:5 offset1:6
	ds_write2_b32 v8, v4, v4 offset0:7 offset1:8
	;; [unrolled: 1-line block ×5, first 2 shown]
	s_waitcnt lgkmcnt(0)
	s_barrier
	ds_read2st64_b32 v[2:3], v2 offset0:20 offset1:40
	s_add_i32 s19, s19, s14
	s_add_u32 s0, s5, s16
	s_addc_u32 s1, s4, s15
	v_mad_u64_u32 v[6:7], s[0:1], v0, 20, s[0:1]
	v_cmp_gt_u32_e32 vcc, s19, v0
	s_and_saveexec_b64 s[0:1], vcc
	s_cbranch_execz .LBB212_33
; %bb.32:
	v_add_u32_e32 v9, v8, v9
	ds_read_b32 v10, v9
	s_waitcnt lgkmcnt(0)
	v_mov_b32_e32 v11, v10
	v_mov_b32_e32 v12, v10
	;; [unrolled: 1-line block ×3, first 2 shown]
	global_store_dwordx4 v[6:7], v[10:13], off
	global_store_dword v[6:7], v10, off offset:16
.LBB212_33:
	s_or_b64 exec, exec, s[0:1]
	v_or_b32_e32 v9, 0x100, v0
	v_cmp_gt_u32_e32 vcc, s19, v9
	s_and_saveexec_b64 s[0:1], vcc
	s_cbranch_execz .LBB212_35
; %bb.34:
	v_add_co_u32_e32 v14, vcc, 0x1000, v6
	s_waitcnt lgkmcnt(0)
	v_mov_b32_e32 v10, v2
	v_mov_b32_e32 v11, v2
	;; [unrolled: 1-line block ×4, first 2 shown]
	v_addc_co_u32_e32 v15, vcc, 0, v7, vcc
	global_store_dwordx4 v[14:15], v[10:13], off offset:1024
	global_store_dword v[14:15], v2, off offset:1040
.LBB212_35:
	s_or_b64 exec, exec, s[0:1]
	s_waitcnt lgkmcnt(0)
	v_or_b32_e32 v2, 0x200, v0
	v_cmp_gt_u32_e64 s[0:1], s19, v2
	s_branch .LBB212_38
.LBB212_36:
	s_mov_b64 s[0:1], 0
                                        ; implicit-def: $vgpr3
                                        ; implicit-def: $vgpr6_vgpr7
	s_cbranch_execz .LBB212_38
; %bb.37:
	ds_write2_b32 v8, v5, v5 offset1:1
	ds_write2_b32 v8, v5, v5 offset0:2 offset1:3
	ds_write_b32 v8, v5 offset:16
	ds_write2_b32 v8, v4, v4 offset0:5 offset1:6
	ds_write2_b32 v8, v4, v4 offset0:7 offset1:8
	;; [unrolled: 1-line block ×5, first 2 shown]
	v_mul_i32_i24_e32 v1, 0xffffffd8, v0
	v_mad_u32_u24 v1, v0, 60, v1
	s_waitcnt lgkmcnt(0)
	s_barrier
	ds_read2st64_b32 v[8:9], v1 offset1:20
	s_add_u32 s2, s5, s16
	ds_read_b32 v3, v1 offset:10240
	s_addc_u32 s3, s4, s15
	v_mad_u64_u32 v[6:7], s[2:3], v0, 20, s[2:3]
	s_waitcnt lgkmcnt(1)
	v_mov_b32_e32 v10, v8
	v_mov_b32_e32 v11, v8
	;; [unrolled: 1-line block ×4, first 2 shown]
	v_add_co_u32_e32 v0, vcc, 0x1000, v6
	global_store_dwordx4 v[6:7], v[10:13], off
	global_store_dword v[6:7], v8, off offset:16
	v_mov_b32_e32 v8, v9
	v_mov_b32_e32 v10, v9
	;; [unrolled: 1-line block ×3, first 2 shown]
	v_addc_co_u32_e32 v1, vcc, 0, v7, vcc
	s_or_b64 s[0:1], s[0:1], exec
	global_store_dwordx4 v[0:1], v[8:11], off offset:1024
	global_store_dword v[0:1], v9, off offset:1040
.LBB212_38:
	s_and_saveexec_b64 s[2:3], s[0:1]
	s_cbranch_execnz .LBB212_40
; %bb.39:
	s_endpgm
.LBB212_40:
	v_add_co_u32_e32 v0, vcc, 0x2000, v6
	s_waitcnt lgkmcnt(0)
	v_mov_b32_e32 v2, v3
	v_mov_b32_e32 v4, v3
	;; [unrolled: 1-line block ×3, first 2 shown]
	v_addc_co_u32_e32 v1, vcc, 0, v7, vcc
	global_store_dwordx4 v[0:1], v[2:5], off offset:2048
	global_store_dword v[0:1], v3, off offset:2064
	s_endpgm
	.section	.rodata,"a",@progbits
	.p2align	6, 0x0
	.amdhsa_kernel _ZN7rocprim17ROCPRIM_400000_NS6detail17trampoline_kernelINS0_14default_configENS1_35adjacent_difference_config_selectorILb0E14custom_numericEEZNS1_24adjacent_difference_implIS3_Lb0ELb0EPS5_S8_N6thrust23THRUST_200600_302600_NS5minusIS5_EEEE10hipError_tPvRmT2_T3_mT4_P12ihipStream_tbEUlT_E_NS1_11comp_targetILNS1_3genE4ELNS1_11target_archE910ELNS1_3gpuE8ELNS1_3repE0EEENS1_30default_config_static_selectorELNS0_4arch9wavefront6targetE1EEEvT1_
		.amdhsa_group_segment_fixed_size 15360
		.amdhsa_private_segment_fixed_size 0
		.amdhsa_kernarg_size 56
		.amdhsa_user_sgpr_count 6
		.amdhsa_user_sgpr_private_segment_buffer 1
		.amdhsa_user_sgpr_dispatch_ptr 0
		.amdhsa_user_sgpr_queue_ptr 0
		.amdhsa_user_sgpr_kernarg_segment_ptr 1
		.amdhsa_user_sgpr_dispatch_id 0
		.amdhsa_user_sgpr_flat_scratch_init 0
		.amdhsa_user_sgpr_kernarg_preload_length 0
		.amdhsa_user_sgpr_kernarg_preload_offset 0
		.amdhsa_user_sgpr_private_segment_size 0
		.amdhsa_uses_dynamic_stack 0
		.amdhsa_system_sgpr_private_segment_wavefront_offset 0
		.amdhsa_system_sgpr_workgroup_id_x 1
		.amdhsa_system_sgpr_workgroup_id_y 0
		.amdhsa_system_sgpr_workgroup_id_z 0
		.amdhsa_system_sgpr_workgroup_info 0
		.amdhsa_system_vgpr_workitem_id 0
		.amdhsa_next_free_vgpr 16
		.amdhsa_next_free_sgpr 26
		.amdhsa_accum_offset 16
		.amdhsa_reserve_vcc 1
		.amdhsa_reserve_flat_scratch 0
		.amdhsa_float_round_mode_32 0
		.amdhsa_float_round_mode_16_64 0
		.amdhsa_float_denorm_mode_32 3
		.amdhsa_float_denorm_mode_16_64 3
		.amdhsa_dx10_clamp 1
		.amdhsa_ieee_mode 1
		.amdhsa_fp16_overflow 0
		.amdhsa_tg_split 0
		.amdhsa_exception_fp_ieee_invalid_op 0
		.amdhsa_exception_fp_denorm_src 0
		.amdhsa_exception_fp_ieee_div_zero 0
		.amdhsa_exception_fp_ieee_overflow 0
		.amdhsa_exception_fp_ieee_underflow 0
		.amdhsa_exception_fp_ieee_inexact 0
		.amdhsa_exception_int_div_zero 0
	.end_amdhsa_kernel
	.section	.text._ZN7rocprim17ROCPRIM_400000_NS6detail17trampoline_kernelINS0_14default_configENS1_35adjacent_difference_config_selectorILb0E14custom_numericEEZNS1_24adjacent_difference_implIS3_Lb0ELb0EPS5_S8_N6thrust23THRUST_200600_302600_NS5minusIS5_EEEE10hipError_tPvRmT2_T3_mT4_P12ihipStream_tbEUlT_E_NS1_11comp_targetILNS1_3genE4ELNS1_11target_archE910ELNS1_3gpuE8ELNS1_3repE0EEENS1_30default_config_static_selectorELNS0_4arch9wavefront6targetE1EEEvT1_,"axG",@progbits,_ZN7rocprim17ROCPRIM_400000_NS6detail17trampoline_kernelINS0_14default_configENS1_35adjacent_difference_config_selectorILb0E14custom_numericEEZNS1_24adjacent_difference_implIS3_Lb0ELb0EPS5_S8_N6thrust23THRUST_200600_302600_NS5minusIS5_EEEE10hipError_tPvRmT2_T3_mT4_P12ihipStream_tbEUlT_E_NS1_11comp_targetILNS1_3genE4ELNS1_11target_archE910ELNS1_3gpuE8ELNS1_3repE0EEENS1_30default_config_static_selectorELNS0_4arch9wavefront6targetE1EEEvT1_,comdat
.Lfunc_end212:
	.size	_ZN7rocprim17ROCPRIM_400000_NS6detail17trampoline_kernelINS0_14default_configENS1_35adjacent_difference_config_selectorILb0E14custom_numericEEZNS1_24adjacent_difference_implIS3_Lb0ELb0EPS5_S8_N6thrust23THRUST_200600_302600_NS5minusIS5_EEEE10hipError_tPvRmT2_T3_mT4_P12ihipStream_tbEUlT_E_NS1_11comp_targetILNS1_3genE4ELNS1_11target_archE910ELNS1_3gpuE8ELNS1_3repE0EEENS1_30default_config_static_selectorELNS0_4arch9wavefront6targetE1EEEvT1_, .Lfunc_end212-_ZN7rocprim17ROCPRIM_400000_NS6detail17trampoline_kernelINS0_14default_configENS1_35adjacent_difference_config_selectorILb0E14custom_numericEEZNS1_24adjacent_difference_implIS3_Lb0ELb0EPS5_S8_N6thrust23THRUST_200600_302600_NS5minusIS5_EEEE10hipError_tPvRmT2_T3_mT4_P12ihipStream_tbEUlT_E_NS1_11comp_targetILNS1_3genE4ELNS1_11target_archE910ELNS1_3gpuE8ELNS1_3repE0EEENS1_30default_config_static_selectorELNS0_4arch9wavefront6targetE1EEEvT1_
                                        ; -- End function
	.section	.AMDGPU.csdata,"",@progbits
; Kernel info:
; codeLenInByte = 2064
; NumSgprs: 30
; NumVgprs: 16
; NumAgprs: 0
; TotalNumVgprs: 16
; ScratchSize: 0
; MemoryBound: 0
; FloatMode: 240
; IeeeMode: 1
; LDSByteSize: 15360 bytes/workgroup (compile time only)
; SGPRBlocks: 3
; VGPRBlocks: 1
; NumSGPRsForWavesPerEU: 30
; NumVGPRsForWavesPerEU: 16
; AccumOffset: 16
; Occupancy: 4
; WaveLimiterHint : 1
; COMPUTE_PGM_RSRC2:SCRATCH_EN: 0
; COMPUTE_PGM_RSRC2:USER_SGPR: 6
; COMPUTE_PGM_RSRC2:TRAP_HANDLER: 0
; COMPUTE_PGM_RSRC2:TGID_X_EN: 1
; COMPUTE_PGM_RSRC2:TGID_Y_EN: 0
; COMPUTE_PGM_RSRC2:TGID_Z_EN: 0
; COMPUTE_PGM_RSRC2:TIDIG_COMP_CNT: 0
; COMPUTE_PGM_RSRC3_GFX90A:ACCUM_OFFSET: 3
; COMPUTE_PGM_RSRC3_GFX90A:TG_SPLIT: 0
	.section	.text._ZN7rocprim17ROCPRIM_400000_NS6detail17trampoline_kernelINS0_14default_configENS1_35adjacent_difference_config_selectorILb0E14custom_numericEEZNS1_24adjacent_difference_implIS3_Lb0ELb0EPS5_S8_N6thrust23THRUST_200600_302600_NS5minusIS5_EEEE10hipError_tPvRmT2_T3_mT4_P12ihipStream_tbEUlT_E_NS1_11comp_targetILNS1_3genE3ELNS1_11target_archE908ELNS1_3gpuE7ELNS1_3repE0EEENS1_30default_config_static_selectorELNS0_4arch9wavefront6targetE1EEEvT1_,"axG",@progbits,_ZN7rocprim17ROCPRIM_400000_NS6detail17trampoline_kernelINS0_14default_configENS1_35adjacent_difference_config_selectorILb0E14custom_numericEEZNS1_24adjacent_difference_implIS3_Lb0ELb0EPS5_S8_N6thrust23THRUST_200600_302600_NS5minusIS5_EEEE10hipError_tPvRmT2_T3_mT4_P12ihipStream_tbEUlT_E_NS1_11comp_targetILNS1_3genE3ELNS1_11target_archE908ELNS1_3gpuE7ELNS1_3repE0EEENS1_30default_config_static_selectorELNS0_4arch9wavefront6targetE1EEEvT1_,comdat
	.protected	_ZN7rocprim17ROCPRIM_400000_NS6detail17trampoline_kernelINS0_14default_configENS1_35adjacent_difference_config_selectorILb0E14custom_numericEEZNS1_24adjacent_difference_implIS3_Lb0ELb0EPS5_S8_N6thrust23THRUST_200600_302600_NS5minusIS5_EEEE10hipError_tPvRmT2_T3_mT4_P12ihipStream_tbEUlT_E_NS1_11comp_targetILNS1_3genE3ELNS1_11target_archE908ELNS1_3gpuE7ELNS1_3repE0EEENS1_30default_config_static_selectorELNS0_4arch9wavefront6targetE1EEEvT1_ ; -- Begin function _ZN7rocprim17ROCPRIM_400000_NS6detail17trampoline_kernelINS0_14default_configENS1_35adjacent_difference_config_selectorILb0E14custom_numericEEZNS1_24adjacent_difference_implIS3_Lb0ELb0EPS5_S8_N6thrust23THRUST_200600_302600_NS5minusIS5_EEEE10hipError_tPvRmT2_T3_mT4_P12ihipStream_tbEUlT_E_NS1_11comp_targetILNS1_3genE3ELNS1_11target_archE908ELNS1_3gpuE7ELNS1_3repE0EEENS1_30default_config_static_selectorELNS0_4arch9wavefront6targetE1EEEvT1_
	.globl	_ZN7rocprim17ROCPRIM_400000_NS6detail17trampoline_kernelINS0_14default_configENS1_35adjacent_difference_config_selectorILb0E14custom_numericEEZNS1_24adjacent_difference_implIS3_Lb0ELb0EPS5_S8_N6thrust23THRUST_200600_302600_NS5minusIS5_EEEE10hipError_tPvRmT2_T3_mT4_P12ihipStream_tbEUlT_E_NS1_11comp_targetILNS1_3genE3ELNS1_11target_archE908ELNS1_3gpuE7ELNS1_3repE0EEENS1_30default_config_static_selectorELNS0_4arch9wavefront6targetE1EEEvT1_
	.p2align	8
	.type	_ZN7rocprim17ROCPRIM_400000_NS6detail17trampoline_kernelINS0_14default_configENS1_35adjacent_difference_config_selectorILb0E14custom_numericEEZNS1_24adjacent_difference_implIS3_Lb0ELb0EPS5_S8_N6thrust23THRUST_200600_302600_NS5minusIS5_EEEE10hipError_tPvRmT2_T3_mT4_P12ihipStream_tbEUlT_E_NS1_11comp_targetILNS1_3genE3ELNS1_11target_archE908ELNS1_3gpuE7ELNS1_3repE0EEENS1_30default_config_static_selectorELNS0_4arch9wavefront6targetE1EEEvT1_,@function
_ZN7rocprim17ROCPRIM_400000_NS6detail17trampoline_kernelINS0_14default_configENS1_35adjacent_difference_config_selectorILb0E14custom_numericEEZNS1_24adjacent_difference_implIS3_Lb0ELb0EPS5_S8_N6thrust23THRUST_200600_302600_NS5minusIS5_EEEE10hipError_tPvRmT2_T3_mT4_P12ihipStream_tbEUlT_E_NS1_11comp_targetILNS1_3genE3ELNS1_11target_archE908ELNS1_3gpuE7ELNS1_3repE0EEENS1_30default_config_static_selectorELNS0_4arch9wavefront6targetE1EEEvT1_: ; @_ZN7rocprim17ROCPRIM_400000_NS6detail17trampoline_kernelINS0_14default_configENS1_35adjacent_difference_config_selectorILb0E14custom_numericEEZNS1_24adjacent_difference_implIS3_Lb0ELb0EPS5_S8_N6thrust23THRUST_200600_302600_NS5minusIS5_EEEE10hipError_tPvRmT2_T3_mT4_P12ihipStream_tbEUlT_E_NS1_11comp_targetILNS1_3genE3ELNS1_11target_archE908ELNS1_3gpuE7ELNS1_3repE0EEENS1_30default_config_static_selectorELNS0_4arch9wavefront6targetE1EEEvT1_
; %bb.0:
	.section	.rodata,"a",@progbits
	.p2align	6, 0x0
	.amdhsa_kernel _ZN7rocprim17ROCPRIM_400000_NS6detail17trampoline_kernelINS0_14default_configENS1_35adjacent_difference_config_selectorILb0E14custom_numericEEZNS1_24adjacent_difference_implIS3_Lb0ELb0EPS5_S8_N6thrust23THRUST_200600_302600_NS5minusIS5_EEEE10hipError_tPvRmT2_T3_mT4_P12ihipStream_tbEUlT_E_NS1_11comp_targetILNS1_3genE3ELNS1_11target_archE908ELNS1_3gpuE7ELNS1_3repE0EEENS1_30default_config_static_selectorELNS0_4arch9wavefront6targetE1EEEvT1_
		.amdhsa_group_segment_fixed_size 0
		.amdhsa_private_segment_fixed_size 0
		.amdhsa_kernarg_size 56
		.amdhsa_user_sgpr_count 6
		.amdhsa_user_sgpr_private_segment_buffer 1
		.amdhsa_user_sgpr_dispatch_ptr 0
		.amdhsa_user_sgpr_queue_ptr 0
		.amdhsa_user_sgpr_kernarg_segment_ptr 1
		.amdhsa_user_sgpr_dispatch_id 0
		.amdhsa_user_sgpr_flat_scratch_init 0
		.amdhsa_user_sgpr_kernarg_preload_length 0
		.amdhsa_user_sgpr_kernarg_preload_offset 0
		.amdhsa_user_sgpr_private_segment_size 0
		.amdhsa_uses_dynamic_stack 0
		.amdhsa_system_sgpr_private_segment_wavefront_offset 0
		.amdhsa_system_sgpr_workgroup_id_x 1
		.amdhsa_system_sgpr_workgroup_id_y 0
		.amdhsa_system_sgpr_workgroup_id_z 0
		.amdhsa_system_sgpr_workgroup_info 0
		.amdhsa_system_vgpr_workitem_id 0
		.amdhsa_next_free_vgpr 1
		.amdhsa_next_free_sgpr 0
		.amdhsa_accum_offset 4
		.amdhsa_reserve_vcc 0
		.amdhsa_reserve_flat_scratch 0
		.amdhsa_float_round_mode_32 0
		.amdhsa_float_round_mode_16_64 0
		.amdhsa_float_denorm_mode_32 3
		.amdhsa_float_denorm_mode_16_64 3
		.amdhsa_dx10_clamp 1
		.amdhsa_ieee_mode 1
		.amdhsa_fp16_overflow 0
		.amdhsa_tg_split 0
		.amdhsa_exception_fp_ieee_invalid_op 0
		.amdhsa_exception_fp_denorm_src 0
		.amdhsa_exception_fp_ieee_div_zero 0
		.amdhsa_exception_fp_ieee_overflow 0
		.amdhsa_exception_fp_ieee_underflow 0
		.amdhsa_exception_fp_ieee_inexact 0
		.amdhsa_exception_int_div_zero 0
	.end_amdhsa_kernel
	.section	.text._ZN7rocprim17ROCPRIM_400000_NS6detail17trampoline_kernelINS0_14default_configENS1_35adjacent_difference_config_selectorILb0E14custom_numericEEZNS1_24adjacent_difference_implIS3_Lb0ELb0EPS5_S8_N6thrust23THRUST_200600_302600_NS5minusIS5_EEEE10hipError_tPvRmT2_T3_mT4_P12ihipStream_tbEUlT_E_NS1_11comp_targetILNS1_3genE3ELNS1_11target_archE908ELNS1_3gpuE7ELNS1_3repE0EEENS1_30default_config_static_selectorELNS0_4arch9wavefront6targetE1EEEvT1_,"axG",@progbits,_ZN7rocprim17ROCPRIM_400000_NS6detail17trampoline_kernelINS0_14default_configENS1_35adjacent_difference_config_selectorILb0E14custom_numericEEZNS1_24adjacent_difference_implIS3_Lb0ELb0EPS5_S8_N6thrust23THRUST_200600_302600_NS5minusIS5_EEEE10hipError_tPvRmT2_T3_mT4_P12ihipStream_tbEUlT_E_NS1_11comp_targetILNS1_3genE3ELNS1_11target_archE908ELNS1_3gpuE7ELNS1_3repE0EEENS1_30default_config_static_selectorELNS0_4arch9wavefront6targetE1EEEvT1_,comdat
.Lfunc_end213:
	.size	_ZN7rocprim17ROCPRIM_400000_NS6detail17trampoline_kernelINS0_14default_configENS1_35adjacent_difference_config_selectorILb0E14custom_numericEEZNS1_24adjacent_difference_implIS3_Lb0ELb0EPS5_S8_N6thrust23THRUST_200600_302600_NS5minusIS5_EEEE10hipError_tPvRmT2_T3_mT4_P12ihipStream_tbEUlT_E_NS1_11comp_targetILNS1_3genE3ELNS1_11target_archE908ELNS1_3gpuE7ELNS1_3repE0EEENS1_30default_config_static_selectorELNS0_4arch9wavefront6targetE1EEEvT1_, .Lfunc_end213-_ZN7rocprim17ROCPRIM_400000_NS6detail17trampoline_kernelINS0_14default_configENS1_35adjacent_difference_config_selectorILb0E14custom_numericEEZNS1_24adjacent_difference_implIS3_Lb0ELb0EPS5_S8_N6thrust23THRUST_200600_302600_NS5minusIS5_EEEE10hipError_tPvRmT2_T3_mT4_P12ihipStream_tbEUlT_E_NS1_11comp_targetILNS1_3genE3ELNS1_11target_archE908ELNS1_3gpuE7ELNS1_3repE0EEENS1_30default_config_static_selectorELNS0_4arch9wavefront6targetE1EEEvT1_
                                        ; -- End function
	.section	.AMDGPU.csdata,"",@progbits
; Kernel info:
; codeLenInByte = 0
; NumSgprs: 4
; NumVgprs: 0
; NumAgprs: 0
; TotalNumVgprs: 0
; ScratchSize: 0
; MemoryBound: 0
; FloatMode: 240
; IeeeMode: 1
; LDSByteSize: 0 bytes/workgroup (compile time only)
; SGPRBlocks: 0
; VGPRBlocks: 0
; NumSGPRsForWavesPerEU: 4
; NumVGPRsForWavesPerEU: 1
; AccumOffset: 4
; Occupancy: 8
; WaveLimiterHint : 0
; COMPUTE_PGM_RSRC2:SCRATCH_EN: 0
; COMPUTE_PGM_RSRC2:USER_SGPR: 6
; COMPUTE_PGM_RSRC2:TRAP_HANDLER: 0
; COMPUTE_PGM_RSRC2:TGID_X_EN: 1
; COMPUTE_PGM_RSRC2:TGID_Y_EN: 0
; COMPUTE_PGM_RSRC2:TGID_Z_EN: 0
; COMPUTE_PGM_RSRC2:TIDIG_COMP_CNT: 0
; COMPUTE_PGM_RSRC3_GFX90A:ACCUM_OFFSET: 0
; COMPUTE_PGM_RSRC3_GFX90A:TG_SPLIT: 0
	.section	.text._ZN7rocprim17ROCPRIM_400000_NS6detail17trampoline_kernelINS0_14default_configENS1_35adjacent_difference_config_selectorILb0E14custom_numericEEZNS1_24adjacent_difference_implIS3_Lb0ELb0EPS5_S8_N6thrust23THRUST_200600_302600_NS5minusIS5_EEEE10hipError_tPvRmT2_T3_mT4_P12ihipStream_tbEUlT_E_NS1_11comp_targetILNS1_3genE2ELNS1_11target_archE906ELNS1_3gpuE6ELNS1_3repE0EEENS1_30default_config_static_selectorELNS0_4arch9wavefront6targetE1EEEvT1_,"axG",@progbits,_ZN7rocprim17ROCPRIM_400000_NS6detail17trampoline_kernelINS0_14default_configENS1_35adjacent_difference_config_selectorILb0E14custom_numericEEZNS1_24adjacent_difference_implIS3_Lb0ELb0EPS5_S8_N6thrust23THRUST_200600_302600_NS5minusIS5_EEEE10hipError_tPvRmT2_T3_mT4_P12ihipStream_tbEUlT_E_NS1_11comp_targetILNS1_3genE2ELNS1_11target_archE906ELNS1_3gpuE6ELNS1_3repE0EEENS1_30default_config_static_selectorELNS0_4arch9wavefront6targetE1EEEvT1_,comdat
	.protected	_ZN7rocprim17ROCPRIM_400000_NS6detail17trampoline_kernelINS0_14default_configENS1_35adjacent_difference_config_selectorILb0E14custom_numericEEZNS1_24adjacent_difference_implIS3_Lb0ELb0EPS5_S8_N6thrust23THRUST_200600_302600_NS5minusIS5_EEEE10hipError_tPvRmT2_T3_mT4_P12ihipStream_tbEUlT_E_NS1_11comp_targetILNS1_3genE2ELNS1_11target_archE906ELNS1_3gpuE6ELNS1_3repE0EEENS1_30default_config_static_selectorELNS0_4arch9wavefront6targetE1EEEvT1_ ; -- Begin function _ZN7rocprim17ROCPRIM_400000_NS6detail17trampoline_kernelINS0_14default_configENS1_35adjacent_difference_config_selectorILb0E14custom_numericEEZNS1_24adjacent_difference_implIS3_Lb0ELb0EPS5_S8_N6thrust23THRUST_200600_302600_NS5minusIS5_EEEE10hipError_tPvRmT2_T3_mT4_P12ihipStream_tbEUlT_E_NS1_11comp_targetILNS1_3genE2ELNS1_11target_archE906ELNS1_3gpuE6ELNS1_3repE0EEENS1_30default_config_static_selectorELNS0_4arch9wavefront6targetE1EEEvT1_
	.globl	_ZN7rocprim17ROCPRIM_400000_NS6detail17trampoline_kernelINS0_14default_configENS1_35adjacent_difference_config_selectorILb0E14custom_numericEEZNS1_24adjacent_difference_implIS3_Lb0ELb0EPS5_S8_N6thrust23THRUST_200600_302600_NS5minusIS5_EEEE10hipError_tPvRmT2_T3_mT4_P12ihipStream_tbEUlT_E_NS1_11comp_targetILNS1_3genE2ELNS1_11target_archE906ELNS1_3gpuE6ELNS1_3repE0EEENS1_30default_config_static_selectorELNS0_4arch9wavefront6targetE1EEEvT1_
	.p2align	8
	.type	_ZN7rocprim17ROCPRIM_400000_NS6detail17trampoline_kernelINS0_14default_configENS1_35adjacent_difference_config_selectorILb0E14custom_numericEEZNS1_24adjacent_difference_implIS3_Lb0ELb0EPS5_S8_N6thrust23THRUST_200600_302600_NS5minusIS5_EEEE10hipError_tPvRmT2_T3_mT4_P12ihipStream_tbEUlT_E_NS1_11comp_targetILNS1_3genE2ELNS1_11target_archE906ELNS1_3gpuE6ELNS1_3repE0EEENS1_30default_config_static_selectorELNS0_4arch9wavefront6targetE1EEEvT1_,@function
_ZN7rocprim17ROCPRIM_400000_NS6detail17trampoline_kernelINS0_14default_configENS1_35adjacent_difference_config_selectorILb0E14custom_numericEEZNS1_24adjacent_difference_implIS3_Lb0ELb0EPS5_S8_N6thrust23THRUST_200600_302600_NS5minusIS5_EEEE10hipError_tPvRmT2_T3_mT4_P12ihipStream_tbEUlT_E_NS1_11comp_targetILNS1_3genE2ELNS1_11target_archE906ELNS1_3gpuE6ELNS1_3repE0EEENS1_30default_config_static_selectorELNS0_4arch9wavefront6targetE1EEEvT1_: ; @_ZN7rocprim17ROCPRIM_400000_NS6detail17trampoline_kernelINS0_14default_configENS1_35adjacent_difference_config_selectorILb0E14custom_numericEEZNS1_24adjacent_difference_implIS3_Lb0ELb0EPS5_S8_N6thrust23THRUST_200600_302600_NS5minusIS5_EEEE10hipError_tPvRmT2_T3_mT4_P12ihipStream_tbEUlT_E_NS1_11comp_targetILNS1_3genE2ELNS1_11target_archE906ELNS1_3gpuE6ELNS1_3repE0EEENS1_30default_config_static_selectorELNS0_4arch9wavefront6targetE1EEEvT1_
; %bb.0:
	.section	.rodata,"a",@progbits
	.p2align	6, 0x0
	.amdhsa_kernel _ZN7rocprim17ROCPRIM_400000_NS6detail17trampoline_kernelINS0_14default_configENS1_35adjacent_difference_config_selectorILb0E14custom_numericEEZNS1_24adjacent_difference_implIS3_Lb0ELb0EPS5_S8_N6thrust23THRUST_200600_302600_NS5minusIS5_EEEE10hipError_tPvRmT2_T3_mT4_P12ihipStream_tbEUlT_E_NS1_11comp_targetILNS1_3genE2ELNS1_11target_archE906ELNS1_3gpuE6ELNS1_3repE0EEENS1_30default_config_static_selectorELNS0_4arch9wavefront6targetE1EEEvT1_
		.amdhsa_group_segment_fixed_size 0
		.amdhsa_private_segment_fixed_size 0
		.amdhsa_kernarg_size 56
		.amdhsa_user_sgpr_count 6
		.amdhsa_user_sgpr_private_segment_buffer 1
		.amdhsa_user_sgpr_dispatch_ptr 0
		.amdhsa_user_sgpr_queue_ptr 0
		.amdhsa_user_sgpr_kernarg_segment_ptr 1
		.amdhsa_user_sgpr_dispatch_id 0
		.amdhsa_user_sgpr_flat_scratch_init 0
		.amdhsa_user_sgpr_kernarg_preload_length 0
		.amdhsa_user_sgpr_kernarg_preload_offset 0
		.amdhsa_user_sgpr_private_segment_size 0
		.amdhsa_uses_dynamic_stack 0
		.amdhsa_system_sgpr_private_segment_wavefront_offset 0
		.amdhsa_system_sgpr_workgroup_id_x 1
		.amdhsa_system_sgpr_workgroup_id_y 0
		.amdhsa_system_sgpr_workgroup_id_z 0
		.amdhsa_system_sgpr_workgroup_info 0
		.amdhsa_system_vgpr_workitem_id 0
		.amdhsa_next_free_vgpr 1
		.amdhsa_next_free_sgpr 0
		.amdhsa_accum_offset 4
		.amdhsa_reserve_vcc 0
		.amdhsa_reserve_flat_scratch 0
		.amdhsa_float_round_mode_32 0
		.amdhsa_float_round_mode_16_64 0
		.amdhsa_float_denorm_mode_32 3
		.amdhsa_float_denorm_mode_16_64 3
		.amdhsa_dx10_clamp 1
		.amdhsa_ieee_mode 1
		.amdhsa_fp16_overflow 0
		.amdhsa_tg_split 0
		.amdhsa_exception_fp_ieee_invalid_op 0
		.amdhsa_exception_fp_denorm_src 0
		.amdhsa_exception_fp_ieee_div_zero 0
		.amdhsa_exception_fp_ieee_overflow 0
		.amdhsa_exception_fp_ieee_underflow 0
		.amdhsa_exception_fp_ieee_inexact 0
		.amdhsa_exception_int_div_zero 0
	.end_amdhsa_kernel
	.section	.text._ZN7rocprim17ROCPRIM_400000_NS6detail17trampoline_kernelINS0_14default_configENS1_35adjacent_difference_config_selectorILb0E14custom_numericEEZNS1_24adjacent_difference_implIS3_Lb0ELb0EPS5_S8_N6thrust23THRUST_200600_302600_NS5minusIS5_EEEE10hipError_tPvRmT2_T3_mT4_P12ihipStream_tbEUlT_E_NS1_11comp_targetILNS1_3genE2ELNS1_11target_archE906ELNS1_3gpuE6ELNS1_3repE0EEENS1_30default_config_static_selectorELNS0_4arch9wavefront6targetE1EEEvT1_,"axG",@progbits,_ZN7rocprim17ROCPRIM_400000_NS6detail17trampoline_kernelINS0_14default_configENS1_35adjacent_difference_config_selectorILb0E14custom_numericEEZNS1_24adjacent_difference_implIS3_Lb0ELb0EPS5_S8_N6thrust23THRUST_200600_302600_NS5minusIS5_EEEE10hipError_tPvRmT2_T3_mT4_P12ihipStream_tbEUlT_E_NS1_11comp_targetILNS1_3genE2ELNS1_11target_archE906ELNS1_3gpuE6ELNS1_3repE0EEENS1_30default_config_static_selectorELNS0_4arch9wavefront6targetE1EEEvT1_,comdat
.Lfunc_end214:
	.size	_ZN7rocprim17ROCPRIM_400000_NS6detail17trampoline_kernelINS0_14default_configENS1_35adjacent_difference_config_selectorILb0E14custom_numericEEZNS1_24adjacent_difference_implIS3_Lb0ELb0EPS5_S8_N6thrust23THRUST_200600_302600_NS5minusIS5_EEEE10hipError_tPvRmT2_T3_mT4_P12ihipStream_tbEUlT_E_NS1_11comp_targetILNS1_3genE2ELNS1_11target_archE906ELNS1_3gpuE6ELNS1_3repE0EEENS1_30default_config_static_selectorELNS0_4arch9wavefront6targetE1EEEvT1_, .Lfunc_end214-_ZN7rocprim17ROCPRIM_400000_NS6detail17trampoline_kernelINS0_14default_configENS1_35adjacent_difference_config_selectorILb0E14custom_numericEEZNS1_24adjacent_difference_implIS3_Lb0ELb0EPS5_S8_N6thrust23THRUST_200600_302600_NS5minusIS5_EEEE10hipError_tPvRmT2_T3_mT4_P12ihipStream_tbEUlT_E_NS1_11comp_targetILNS1_3genE2ELNS1_11target_archE906ELNS1_3gpuE6ELNS1_3repE0EEENS1_30default_config_static_selectorELNS0_4arch9wavefront6targetE1EEEvT1_
                                        ; -- End function
	.section	.AMDGPU.csdata,"",@progbits
; Kernel info:
; codeLenInByte = 0
; NumSgprs: 4
; NumVgprs: 0
; NumAgprs: 0
; TotalNumVgprs: 0
; ScratchSize: 0
; MemoryBound: 0
; FloatMode: 240
; IeeeMode: 1
; LDSByteSize: 0 bytes/workgroup (compile time only)
; SGPRBlocks: 0
; VGPRBlocks: 0
; NumSGPRsForWavesPerEU: 4
; NumVGPRsForWavesPerEU: 1
; AccumOffset: 4
; Occupancy: 8
; WaveLimiterHint : 0
; COMPUTE_PGM_RSRC2:SCRATCH_EN: 0
; COMPUTE_PGM_RSRC2:USER_SGPR: 6
; COMPUTE_PGM_RSRC2:TRAP_HANDLER: 0
; COMPUTE_PGM_RSRC2:TGID_X_EN: 1
; COMPUTE_PGM_RSRC2:TGID_Y_EN: 0
; COMPUTE_PGM_RSRC2:TGID_Z_EN: 0
; COMPUTE_PGM_RSRC2:TIDIG_COMP_CNT: 0
; COMPUTE_PGM_RSRC3_GFX90A:ACCUM_OFFSET: 0
; COMPUTE_PGM_RSRC3_GFX90A:TG_SPLIT: 0
	.section	.text._ZN7rocprim17ROCPRIM_400000_NS6detail17trampoline_kernelINS0_14default_configENS1_35adjacent_difference_config_selectorILb0E14custom_numericEEZNS1_24adjacent_difference_implIS3_Lb0ELb0EPS5_S8_N6thrust23THRUST_200600_302600_NS5minusIS5_EEEE10hipError_tPvRmT2_T3_mT4_P12ihipStream_tbEUlT_E_NS1_11comp_targetILNS1_3genE9ELNS1_11target_archE1100ELNS1_3gpuE3ELNS1_3repE0EEENS1_30default_config_static_selectorELNS0_4arch9wavefront6targetE1EEEvT1_,"axG",@progbits,_ZN7rocprim17ROCPRIM_400000_NS6detail17trampoline_kernelINS0_14default_configENS1_35adjacent_difference_config_selectorILb0E14custom_numericEEZNS1_24adjacent_difference_implIS3_Lb0ELb0EPS5_S8_N6thrust23THRUST_200600_302600_NS5minusIS5_EEEE10hipError_tPvRmT2_T3_mT4_P12ihipStream_tbEUlT_E_NS1_11comp_targetILNS1_3genE9ELNS1_11target_archE1100ELNS1_3gpuE3ELNS1_3repE0EEENS1_30default_config_static_selectorELNS0_4arch9wavefront6targetE1EEEvT1_,comdat
	.protected	_ZN7rocprim17ROCPRIM_400000_NS6detail17trampoline_kernelINS0_14default_configENS1_35adjacent_difference_config_selectorILb0E14custom_numericEEZNS1_24adjacent_difference_implIS3_Lb0ELb0EPS5_S8_N6thrust23THRUST_200600_302600_NS5minusIS5_EEEE10hipError_tPvRmT2_T3_mT4_P12ihipStream_tbEUlT_E_NS1_11comp_targetILNS1_3genE9ELNS1_11target_archE1100ELNS1_3gpuE3ELNS1_3repE0EEENS1_30default_config_static_selectorELNS0_4arch9wavefront6targetE1EEEvT1_ ; -- Begin function _ZN7rocprim17ROCPRIM_400000_NS6detail17trampoline_kernelINS0_14default_configENS1_35adjacent_difference_config_selectorILb0E14custom_numericEEZNS1_24adjacent_difference_implIS3_Lb0ELb0EPS5_S8_N6thrust23THRUST_200600_302600_NS5minusIS5_EEEE10hipError_tPvRmT2_T3_mT4_P12ihipStream_tbEUlT_E_NS1_11comp_targetILNS1_3genE9ELNS1_11target_archE1100ELNS1_3gpuE3ELNS1_3repE0EEENS1_30default_config_static_selectorELNS0_4arch9wavefront6targetE1EEEvT1_
	.globl	_ZN7rocprim17ROCPRIM_400000_NS6detail17trampoline_kernelINS0_14default_configENS1_35adjacent_difference_config_selectorILb0E14custom_numericEEZNS1_24adjacent_difference_implIS3_Lb0ELb0EPS5_S8_N6thrust23THRUST_200600_302600_NS5minusIS5_EEEE10hipError_tPvRmT2_T3_mT4_P12ihipStream_tbEUlT_E_NS1_11comp_targetILNS1_3genE9ELNS1_11target_archE1100ELNS1_3gpuE3ELNS1_3repE0EEENS1_30default_config_static_selectorELNS0_4arch9wavefront6targetE1EEEvT1_
	.p2align	8
	.type	_ZN7rocprim17ROCPRIM_400000_NS6detail17trampoline_kernelINS0_14default_configENS1_35adjacent_difference_config_selectorILb0E14custom_numericEEZNS1_24adjacent_difference_implIS3_Lb0ELb0EPS5_S8_N6thrust23THRUST_200600_302600_NS5minusIS5_EEEE10hipError_tPvRmT2_T3_mT4_P12ihipStream_tbEUlT_E_NS1_11comp_targetILNS1_3genE9ELNS1_11target_archE1100ELNS1_3gpuE3ELNS1_3repE0EEENS1_30default_config_static_selectorELNS0_4arch9wavefront6targetE1EEEvT1_,@function
_ZN7rocprim17ROCPRIM_400000_NS6detail17trampoline_kernelINS0_14default_configENS1_35adjacent_difference_config_selectorILb0E14custom_numericEEZNS1_24adjacent_difference_implIS3_Lb0ELb0EPS5_S8_N6thrust23THRUST_200600_302600_NS5minusIS5_EEEE10hipError_tPvRmT2_T3_mT4_P12ihipStream_tbEUlT_E_NS1_11comp_targetILNS1_3genE9ELNS1_11target_archE1100ELNS1_3gpuE3ELNS1_3repE0EEENS1_30default_config_static_selectorELNS0_4arch9wavefront6targetE1EEEvT1_: ; @_ZN7rocprim17ROCPRIM_400000_NS6detail17trampoline_kernelINS0_14default_configENS1_35adjacent_difference_config_selectorILb0E14custom_numericEEZNS1_24adjacent_difference_implIS3_Lb0ELb0EPS5_S8_N6thrust23THRUST_200600_302600_NS5minusIS5_EEEE10hipError_tPvRmT2_T3_mT4_P12ihipStream_tbEUlT_E_NS1_11comp_targetILNS1_3genE9ELNS1_11target_archE1100ELNS1_3gpuE3ELNS1_3repE0EEENS1_30default_config_static_selectorELNS0_4arch9wavefront6targetE1EEEvT1_
; %bb.0:
	.section	.rodata,"a",@progbits
	.p2align	6, 0x0
	.amdhsa_kernel _ZN7rocprim17ROCPRIM_400000_NS6detail17trampoline_kernelINS0_14default_configENS1_35adjacent_difference_config_selectorILb0E14custom_numericEEZNS1_24adjacent_difference_implIS3_Lb0ELb0EPS5_S8_N6thrust23THRUST_200600_302600_NS5minusIS5_EEEE10hipError_tPvRmT2_T3_mT4_P12ihipStream_tbEUlT_E_NS1_11comp_targetILNS1_3genE9ELNS1_11target_archE1100ELNS1_3gpuE3ELNS1_3repE0EEENS1_30default_config_static_selectorELNS0_4arch9wavefront6targetE1EEEvT1_
		.amdhsa_group_segment_fixed_size 0
		.amdhsa_private_segment_fixed_size 0
		.amdhsa_kernarg_size 56
		.amdhsa_user_sgpr_count 6
		.amdhsa_user_sgpr_private_segment_buffer 1
		.amdhsa_user_sgpr_dispatch_ptr 0
		.amdhsa_user_sgpr_queue_ptr 0
		.amdhsa_user_sgpr_kernarg_segment_ptr 1
		.amdhsa_user_sgpr_dispatch_id 0
		.amdhsa_user_sgpr_flat_scratch_init 0
		.amdhsa_user_sgpr_kernarg_preload_length 0
		.amdhsa_user_sgpr_kernarg_preload_offset 0
		.amdhsa_user_sgpr_private_segment_size 0
		.amdhsa_uses_dynamic_stack 0
		.amdhsa_system_sgpr_private_segment_wavefront_offset 0
		.amdhsa_system_sgpr_workgroup_id_x 1
		.amdhsa_system_sgpr_workgroup_id_y 0
		.amdhsa_system_sgpr_workgroup_id_z 0
		.amdhsa_system_sgpr_workgroup_info 0
		.amdhsa_system_vgpr_workitem_id 0
		.amdhsa_next_free_vgpr 1
		.amdhsa_next_free_sgpr 0
		.amdhsa_accum_offset 4
		.amdhsa_reserve_vcc 0
		.amdhsa_reserve_flat_scratch 0
		.amdhsa_float_round_mode_32 0
		.amdhsa_float_round_mode_16_64 0
		.amdhsa_float_denorm_mode_32 3
		.amdhsa_float_denorm_mode_16_64 3
		.amdhsa_dx10_clamp 1
		.amdhsa_ieee_mode 1
		.amdhsa_fp16_overflow 0
		.amdhsa_tg_split 0
		.amdhsa_exception_fp_ieee_invalid_op 0
		.amdhsa_exception_fp_denorm_src 0
		.amdhsa_exception_fp_ieee_div_zero 0
		.amdhsa_exception_fp_ieee_overflow 0
		.amdhsa_exception_fp_ieee_underflow 0
		.amdhsa_exception_fp_ieee_inexact 0
		.amdhsa_exception_int_div_zero 0
	.end_amdhsa_kernel
	.section	.text._ZN7rocprim17ROCPRIM_400000_NS6detail17trampoline_kernelINS0_14default_configENS1_35adjacent_difference_config_selectorILb0E14custom_numericEEZNS1_24adjacent_difference_implIS3_Lb0ELb0EPS5_S8_N6thrust23THRUST_200600_302600_NS5minusIS5_EEEE10hipError_tPvRmT2_T3_mT4_P12ihipStream_tbEUlT_E_NS1_11comp_targetILNS1_3genE9ELNS1_11target_archE1100ELNS1_3gpuE3ELNS1_3repE0EEENS1_30default_config_static_selectorELNS0_4arch9wavefront6targetE1EEEvT1_,"axG",@progbits,_ZN7rocprim17ROCPRIM_400000_NS6detail17trampoline_kernelINS0_14default_configENS1_35adjacent_difference_config_selectorILb0E14custom_numericEEZNS1_24adjacent_difference_implIS3_Lb0ELb0EPS5_S8_N6thrust23THRUST_200600_302600_NS5minusIS5_EEEE10hipError_tPvRmT2_T3_mT4_P12ihipStream_tbEUlT_E_NS1_11comp_targetILNS1_3genE9ELNS1_11target_archE1100ELNS1_3gpuE3ELNS1_3repE0EEENS1_30default_config_static_selectorELNS0_4arch9wavefront6targetE1EEEvT1_,comdat
.Lfunc_end215:
	.size	_ZN7rocprim17ROCPRIM_400000_NS6detail17trampoline_kernelINS0_14default_configENS1_35adjacent_difference_config_selectorILb0E14custom_numericEEZNS1_24adjacent_difference_implIS3_Lb0ELb0EPS5_S8_N6thrust23THRUST_200600_302600_NS5minusIS5_EEEE10hipError_tPvRmT2_T3_mT4_P12ihipStream_tbEUlT_E_NS1_11comp_targetILNS1_3genE9ELNS1_11target_archE1100ELNS1_3gpuE3ELNS1_3repE0EEENS1_30default_config_static_selectorELNS0_4arch9wavefront6targetE1EEEvT1_, .Lfunc_end215-_ZN7rocprim17ROCPRIM_400000_NS6detail17trampoline_kernelINS0_14default_configENS1_35adjacent_difference_config_selectorILb0E14custom_numericEEZNS1_24adjacent_difference_implIS3_Lb0ELb0EPS5_S8_N6thrust23THRUST_200600_302600_NS5minusIS5_EEEE10hipError_tPvRmT2_T3_mT4_P12ihipStream_tbEUlT_E_NS1_11comp_targetILNS1_3genE9ELNS1_11target_archE1100ELNS1_3gpuE3ELNS1_3repE0EEENS1_30default_config_static_selectorELNS0_4arch9wavefront6targetE1EEEvT1_
                                        ; -- End function
	.section	.AMDGPU.csdata,"",@progbits
; Kernel info:
; codeLenInByte = 0
; NumSgprs: 4
; NumVgprs: 0
; NumAgprs: 0
; TotalNumVgprs: 0
; ScratchSize: 0
; MemoryBound: 0
; FloatMode: 240
; IeeeMode: 1
; LDSByteSize: 0 bytes/workgroup (compile time only)
; SGPRBlocks: 0
; VGPRBlocks: 0
; NumSGPRsForWavesPerEU: 4
; NumVGPRsForWavesPerEU: 1
; AccumOffset: 4
; Occupancy: 8
; WaveLimiterHint : 0
; COMPUTE_PGM_RSRC2:SCRATCH_EN: 0
; COMPUTE_PGM_RSRC2:USER_SGPR: 6
; COMPUTE_PGM_RSRC2:TRAP_HANDLER: 0
; COMPUTE_PGM_RSRC2:TGID_X_EN: 1
; COMPUTE_PGM_RSRC2:TGID_Y_EN: 0
; COMPUTE_PGM_RSRC2:TGID_Z_EN: 0
; COMPUTE_PGM_RSRC2:TIDIG_COMP_CNT: 0
; COMPUTE_PGM_RSRC3_GFX90A:ACCUM_OFFSET: 0
; COMPUTE_PGM_RSRC3_GFX90A:TG_SPLIT: 0
	.section	.text._ZN7rocprim17ROCPRIM_400000_NS6detail17trampoline_kernelINS0_14default_configENS1_35adjacent_difference_config_selectorILb0E14custom_numericEEZNS1_24adjacent_difference_implIS3_Lb0ELb0EPS5_S8_N6thrust23THRUST_200600_302600_NS5minusIS5_EEEE10hipError_tPvRmT2_T3_mT4_P12ihipStream_tbEUlT_E_NS1_11comp_targetILNS1_3genE8ELNS1_11target_archE1030ELNS1_3gpuE2ELNS1_3repE0EEENS1_30default_config_static_selectorELNS0_4arch9wavefront6targetE1EEEvT1_,"axG",@progbits,_ZN7rocprim17ROCPRIM_400000_NS6detail17trampoline_kernelINS0_14default_configENS1_35adjacent_difference_config_selectorILb0E14custom_numericEEZNS1_24adjacent_difference_implIS3_Lb0ELb0EPS5_S8_N6thrust23THRUST_200600_302600_NS5minusIS5_EEEE10hipError_tPvRmT2_T3_mT4_P12ihipStream_tbEUlT_E_NS1_11comp_targetILNS1_3genE8ELNS1_11target_archE1030ELNS1_3gpuE2ELNS1_3repE0EEENS1_30default_config_static_selectorELNS0_4arch9wavefront6targetE1EEEvT1_,comdat
	.protected	_ZN7rocprim17ROCPRIM_400000_NS6detail17trampoline_kernelINS0_14default_configENS1_35adjacent_difference_config_selectorILb0E14custom_numericEEZNS1_24adjacent_difference_implIS3_Lb0ELb0EPS5_S8_N6thrust23THRUST_200600_302600_NS5minusIS5_EEEE10hipError_tPvRmT2_T3_mT4_P12ihipStream_tbEUlT_E_NS1_11comp_targetILNS1_3genE8ELNS1_11target_archE1030ELNS1_3gpuE2ELNS1_3repE0EEENS1_30default_config_static_selectorELNS0_4arch9wavefront6targetE1EEEvT1_ ; -- Begin function _ZN7rocprim17ROCPRIM_400000_NS6detail17trampoline_kernelINS0_14default_configENS1_35adjacent_difference_config_selectorILb0E14custom_numericEEZNS1_24adjacent_difference_implIS3_Lb0ELb0EPS5_S8_N6thrust23THRUST_200600_302600_NS5minusIS5_EEEE10hipError_tPvRmT2_T3_mT4_P12ihipStream_tbEUlT_E_NS1_11comp_targetILNS1_3genE8ELNS1_11target_archE1030ELNS1_3gpuE2ELNS1_3repE0EEENS1_30default_config_static_selectorELNS0_4arch9wavefront6targetE1EEEvT1_
	.globl	_ZN7rocprim17ROCPRIM_400000_NS6detail17trampoline_kernelINS0_14default_configENS1_35adjacent_difference_config_selectorILb0E14custom_numericEEZNS1_24adjacent_difference_implIS3_Lb0ELb0EPS5_S8_N6thrust23THRUST_200600_302600_NS5minusIS5_EEEE10hipError_tPvRmT2_T3_mT4_P12ihipStream_tbEUlT_E_NS1_11comp_targetILNS1_3genE8ELNS1_11target_archE1030ELNS1_3gpuE2ELNS1_3repE0EEENS1_30default_config_static_selectorELNS0_4arch9wavefront6targetE1EEEvT1_
	.p2align	8
	.type	_ZN7rocprim17ROCPRIM_400000_NS6detail17trampoline_kernelINS0_14default_configENS1_35adjacent_difference_config_selectorILb0E14custom_numericEEZNS1_24adjacent_difference_implIS3_Lb0ELb0EPS5_S8_N6thrust23THRUST_200600_302600_NS5minusIS5_EEEE10hipError_tPvRmT2_T3_mT4_P12ihipStream_tbEUlT_E_NS1_11comp_targetILNS1_3genE8ELNS1_11target_archE1030ELNS1_3gpuE2ELNS1_3repE0EEENS1_30default_config_static_selectorELNS0_4arch9wavefront6targetE1EEEvT1_,@function
_ZN7rocprim17ROCPRIM_400000_NS6detail17trampoline_kernelINS0_14default_configENS1_35adjacent_difference_config_selectorILb0E14custom_numericEEZNS1_24adjacent_difference_implIS3_Lb0ELb0EPS5_S8_N6thrust23THRUST_200600_302600_NS5minusIS5_EEEE10hipError_tPvRmT2_T3_mT4_P12ihipStream_tbEUlT_E_NS1_11comp_targetILNS1_3genE8ELNS1_11target_archE1030ELNS1_3gpuE2ELNS1_3repE0EEENS1_30default_config_static_selectorELNS0_4arch9wavefront6targetE1EEEvT1_: ; @_ZN7rocprim17ROCPRIM_400000_NS6detail17trampoline_kernelINS0_14default_configENS1_35adjacent_difference_config_selectorILb0E14custom_numericEEZNS1_24adjacent_difference_implIS3_Lb0ELb0EPS5_S8_N6thrust23THRUST_200600_302600_NS5minusIS5_EEEE10hipError_tPvRmT2_T3_mT4_P12ihipStream_tbEUlT_E_NS1_11comp_targetILNS1_3genE8ELNS1_11target_archE1030ELNS1_3gpuE2ELNS1_3repE0EEENS1_30default_config_static_selectorELNS0_4arch9wavefront6targetE1EEEvT1_
; %bb.0:
	.section	.rodata,"a",@progbits
	.p2align	6, 0x0
	.amdhsa_kernel _ZN7rocprim17ROCPRIM_400000_NS6detail17trampoline_kernelINS0_14default_configENS1_35adjacent_difference_config_selectorILb0E14custom_numericEEZNS1_24adjacent_difference_implIS3_Lb0ELb0EPS5_S8_N6thrust23THRUST_200600_302600_NS5minusIS5_EEEE10hipError_tPvRmT2_T3_mT4_P12ihipStream_tbEUlT_E_NS1_11comp_targetILNS1_3genE8ELNS1_11target_archE1030ELNS1_3gpuE2ELNS1_3repE0EEENS1_30default_config_static_selectorELNS0_4arch9wavefront6targetE1EEEvT1_
		.amdhsa_group_segment_fixed_size 0
		.amdhsa_private_segment_fixed_size 0
		.amdhsa_kernarg_size 56
		.amdhsa_user_sgpr_count 6
		.amdhsa_user_sgpr_private_segment_buffer 1
		.amdhsa_user_sgpr_dispatch_ptr 0
		.amdhsa_user_sgpr_queue_ptr 0
		.amdhsa_user_sgpr_kernarg_segment_ptr 1
		.amdhsa_user_sgpr_dispatch_id 0
		.amdhsa_user_sgpr_flat_scratch_init 0
		.amdhsa_user_sgpr_kernarg_preload_length 0
		.amdhsa_user_sgpr_kernarg_preload_offset 0
		.amdhsa_user_sgpr_private_segment_size 0
		.amdhsa_uses_dynamic_stack 0
		.amdhsa_system_sgpr_private_segment_wavefront_offset 0
		.amdhsa_system_sgpr_workgroup_id_x 1
		.amdhsa_system_sgpr_workgroup_id_y 0
		.amdhsa_system_sgpr_workgroup_id_z 0
		.amdhsa_system_sgpr_workgroup_info 0
		.amdhsa_system_vgpr_workitem_id 0
		.amdhsa_next_free_vgpr 1
		.amdhsa_next_free_sgpr 0
		.amdhsa_accum_offset 4
		.amdhsa_reserve_vcc 0
		.amdhsa_reserve_flat_scratch 0
		.amdhsa_float_round_mode_32 0
		.amdhsa_float_round_mode_16_64 0
		.amdhsa_float_denorm_mode_32 3
		.amdhsa_float_denorm_mode_16_64 3
		.amdhsa_dx10_clamp 1
		.amdhsa_ieee_mode 1
		.amdhsa_fp16_overflow 0
		.amdhsa_tg_split 0
		.amdhsa_exception_fp_ieee_invalid_op 0
		.amdhsa_exception_fp_denorm_src 0
		.amdhsa_exception_fp_ieee_div_zero 0
		.amdhsa_exception_fp_ieee_overflow 0
		.amdhsa_exception_fp_ieee_underflow 0
		.amdhsa_exception_fp_ieee_inexact 0
		.amdhsa_exception_int_div_zero 0
	.end_amdhsa_kernel
	.section	.text._ZN7rocprim17ROCPRIM_400000_NS6detail17trampoline_kernelINS0_14default_configENS1_35adjacent_difference_config_selectorILb0E14custom_numericEEZNS1_24adjacent_difference_implIS3_Lb0ELb0EPS5_S8_N6thrust23THRUST_200600_302600_NS5minusIS5_EEEE10hipError_tPvRmT2_T3_mT4_P12ihipStream_tbEUlT_E_NS1_11comp_targetILNS1_3genE8ELNS1_11target_archE1030ELNS1_3gpuE2ELNS1_3repE0EEENS1_30default_config_static_selectorELNS0_4arch9wavefront6targetE1EEEvT1_,"axG",@progbits,_ZN7rocprim17ROCPRIM_400000_NS6detail17trampoline_kernelINS0_14default_configENS1_35adjacent_difference_config_selectorILb0E14custom_numericEEZNS1_24adjacent_difference_implIS3_Lb0ELb0EPS5_S8_N6thrust23THRUST_200600_302600_NS5minusIS5_EEEE10hipError_tPvRmT2_T3_mT4_P12ihipStream_tbEUlT_E_NS1_11comp_targetILNS1_3genE8ELNS1_11target_archE1030ELNS1_3gpuE2ELNS1_3repE0EEENS1_30default_config_static_selectorELNS0_4arch9wavefront6targetE1EEEvT1_,comdat
.Lfunc_end216:
	.size	_ZN7rocprim17ROCPRIM_400000_NS6detail17trampoline_kernelINS0_14default_configENS1_35adjacent_difference_config_selectorILb0E14custom_numericEEZNS1_24adjacent_difference_implIS3_Lb0ELb0EPS5_S8_N6thrust23THRUST_200600_302600_NS5minusIS5_EEEE10hipError_tPvRmT2_T3_mT4_P12ihipStream_tbEUlT_E_NS1_11comp_targetILNS1_3genE8ELNS1_11target_archE1030ELNS1_3gpuE2ELNS1_3repE0EEENS1_30default_config_static_selectorELNS0_4arch9wavefront6targetE1EEEvT1_, .Lfunc_end216-_ZN7rocprim17ROCPRIM_400000_NS6detail17trampoline_kernelINS0_14default_configENS1_35adjacent_difference_config_selectorILb0E14custom_numericEEZNS1_24adjacent_difference_implIS3_Lb0ELb0EPS5_S8_N6thrust23THRUST_200600_302600_NS5minusIS5_EEEE10hipError_tPvRmT2_T3_mT4_P12ihipStream_tbEUlT_E_NS1_11comp_targetILNS1_3genE8ELNS1_11target_archE1030ELNS1_3gpuE2ELNS1_3repE0EEENS1_30default_config_static_selectorELNS0_4arch9wavefront6targetE1EEEvT1_
                                        ; -- End function
	.section	.AMDGPU.csdata,"",@progbits
; Kernel info:
; codeLenInByte = 0
; NumSgprs: 4
; NumVgprs: 0
; NumAgprs: 0
; TotalNumVgprs: 0
; ScratchSize: 0
; MemoryBound: 0
; FloatMode: 240
; IeeeMode: 1
; LDSByteSize: 0 bytes/workgroup (compile time only)
; SGPRBlocks: 0
; VGPRBlocks: 0
; NumSGPRsForWavesPerEU: 4
; NumVGPRsForWavesPerEU: 1
; AccumOffset: 4
; Occupancy: 8
; WaveLimiterHint : 0
; COMPUTE_PGM_RSRC2:SCRATCH_EN: 0
; COMPUTE_PGM_RSRC2:USER_SGPR: 6
; COMPUTE_PGM_RSRC2:TRAP_HANDLER: 0
; COMPUTE_PGM_RSRC2:TGID_X_EN: 1
; COMPUTE_PGM_RSRC2:TGID_Y_EN: 0
; COMPUTE_PGM_RSRC2:TGID_Z_EN: 0
; COMPUTE_PGM_RSRC2:TIDIG_COMP_CNT: 0
; COMPUTE_PGM_RSRC3_GFX90A:ACCUM_OFFSET: 0
; COMPUTE_PGM_RSRC3_GFX90A:TG_SPLIT: 0
	.section	.text._ZN7rocprim17ROCPRIM_400000_NS6detail17trampoline_kernelINS0_14default_configENS1_25transform_config_selectorI14custom_numericLb0EEEZNS1_14transform_implILb0ES3_S6_NS0_18transform_iteratorINS0_17counting_iteratorImlEEZNS1_24adjacent_difference_implIS3_Lb1ELb0EPS5_SC_N6thrust23THRUST_200600_302600_NS5minusIS5_EEEE10hipError_tPvRmT2_T3_mT4_P12ihipStream_tbEUlmE_S5_EESC_NS0_8identityIvEEEESH_SK_SL_mSM_SO_bEUlT_E_NS1_11comp_targetILNS1_3genE0ELNS1_11target_archE4294967295ELNS1_3gpuE0ELNS1_3repE0EEENS1_30default_config_static_selectorELNS0_4arch9wavefront6targetE1EEEvT1_,"axG",@progbits,_ZN7rocprim17ROCPRIM_400000_NS6detail17trampoline_kernelINS0_14default_configENS1_25transform_config_selectorI14custom_numericLb0EEEZNS1_14transform_implILb0ES3_S6_NS0_18transform_iteratorINS0_17counting_iteratorImlEEZNS1_24adjacent_difference_implIS3_Lb1ELb0EPS5_SC_N6thrust23THRUST_200600_302600_NS5minusIS5_EEEE10hipError_tPvRmT2_T3_mT4_P12ihipStream_tbEUlmE_S5_EESC_NS0_8identityIvEEEESH_SK_SL_mSM_SO_bEUlT_E_NS1_11comp_targetILNS1_3genE0ELNS1_11target_archE4294967295ELNS1_3gpuE0ELNS1_3repE0EEENS1_30default_config_static_selectorELNS0_4arch9wavefront6targetE1EEEvT1_,comdat
	.protected	_ZN7rocprim17ROCPRIM_400000_NS6detail17trampoline_kernelINS0_14default_configENS1_25transform_config_selectorI14custom_numericLb0EEEZNS1_14transform_implILb0ES3_S6_NS0_18transform_iteratorINS0_17counting_iteratorImlEEZNS1_24adjacent_difference_implIS3_Lb1ELb0EPS5_SC_N6thrust23THRUST_200600_302600_NS5minusIS5_EEEE10hipError_tPvRmT2_T3_mT4_P12ihipStream_tbEUlmE_S5_EESC_NS0_8identityIvEEEESH_SK_SL_mSM_SO_bEUlT_E_NS1_11comp_targetILNS1_3genE0ELNS1_11target_archE4294967295ELNS1_3gpuE0ELNS1_3repE0EEENS1_30default_config_static_selectorELNS0_4arch9wavefront6targetE1EEEvT1_ ; -- Begin function _ZN7rocprim17ROCPRIM_400000_NS6detail17trampoline_kernelINS0_14default_configENS1_25transform_config_selectorI14custom_numericLb0EEEZNS1_14transform_implILb0ES3_S6_NS0_18transform_iteratorINS0_17counting_iteratorImlEEZNS1_24adjacent_difference_implIS3_Lb1ELb0EPS5_SC_N6thrust23THRUST_200600_302600_NS5minusIS5_EEEE10hipError_tPvRmT2_T3_mT4_P12ihipStream_tbEUlmE_S5_EESC_NS0_8identityIvEEEESH_SK_SL_mSM_SO_bEUlT_E_NS1_11comp_targetILNS1_3genE0ELNS1_11target_archE4294967295ELNS1_3gpuE0ELNS1_3repE0EEENS1_30default_config_static_selectorELNS0_4arch9wavefront6targetE1EEEvT1_
	.globl	_ZN7rocprim17ROCPRIM_400000_NS6detail17trampoline_kernelINS0_14default_configENS1_25transform_config_selectorI14custom_numericLb0EEEZNS1_14transform_implILb0ES3_S6_NS0_18transform_iteratorINS0_17counting_iteratorImlEEZNS1_24adjacent_difference_implIS3_Lb1ELb0EPS5_SC_N6thrust23THRUST_200600_302600_NS5minusIS5_EEEE10hipError_tPvRmT2_T3_mT4_P12ihipStream_tbEUlmE_S5_EESC_NS0_8identityIvEEEESH_SK_SL_mSM_SO_bEUlT_E_NS1_11comp_targetILNS1_3genE0ELNS1_11target_archE4294967295ELNS1_3gpuE0ELNS1_3repE0EEENS1_30default_config_static_selectorELNS0_4arch9wavefront6targetE1EEEvT1_
	.p2align	8
	.type	_ZN7rocprim17ROCPRIM_400000_NS6detail17trampoline_kernelINS0_14default_configENS1_25transform_config_selectorI14custom_numericLb0EEEZNS1_14transform_implILb0ES3_S6_NS0_18transform_iteratorINS0_17counting_iteratorImlEEZNS1_24adjacent_difference_implIS3_Lb1ELb0EPS5_SC_N6thrust23THRUST_200600_302600_NS5minusIS5_EEEE10hipError_tPvRmT2_T3_mT4_P12ihipStream_tbEUlmE_S5_EESC_NS0_8identityIvEEEESH_SK_SL_mSM_SO_bEUlT_E_NS1_11comp_targetILNS1_3genE0ELNS1_11target_archE4294967295ELNS1_3gpuE0ELNS1_3repE0EEENS1_30default_config_static_selectorELNS0_4arch9wavefront6targetE1EEEvT1_,@function
_ZN7rocprim17ROCPRIM_400000_NS6detail17trampoline_kernelINS0_14default_configENS1_25transform_config_selectorI14custom_numericLb0EEEZNS1_14transform_implILb0ES3_S6_NS0_18transform_iteratorINS0_17counting_iteratorImlEEZNS1_24adjacent_difference_implIS3_Lb1ELb0EPS5_SC_N6thrust23THRUST_200600_302600_NS5minusIS5_EEEE10hipError_tPvRmT2_T3_mT4_P12ihipStream_tbEUlmE_S5_EESC_NS0_8identityIvEEEESH_SK_SL_mSM_SO_bEUlT_E_NS1_11comp_targetILNS1_3genE0ELNS1_11target_archE4294967295ELNS1_3gpuE0ELNS1_3repE0EEENS1_30default_config_static_selectorELNS0_4arch9wavefront6targetE1EEEvT1_: ; @_ZN7rocprim17ROCPRIM_400000_NS6detail17trampoline_kernelINS0_14default_configENS1_25transform_config_selectorI14custom_numericLb0EEEZNS1_14transform_implILb0ES3_S6_NS0_18transform_iteratorINS0_17counting_iteratorImlEEZNS1_24adjacent_difference_implIS3_Lb1ELb0EPS5_SC_N6thrust23THRUST_200600_302600_NS5minusIS5_EEEE10hipError_tPvRmT2_T3_mT4_P12ihipStream_tbEUlmE_S5_EESC_NS0_8identityIvEEEESH_SK_SL_mSM_SO_bEUlT_E_NS1_11comp_targetILNS1_3genE0ELNS1_11target_archE4294967295ELNS1_3gpuE0ELNS1_3repE0EEENS1_30default_config_static_selectorELNS0_4arch9wavefront6targetE1EEEvT1_
; %bb.0:
	.section	.rodata,"a",@progbits
	.p2align	6, 0x0
	.amdhsa_kernel _ZN7rocprim17ROCPRIM_400000_NS6detail17trampoline_kernelINS0_14default_configENS1_25transform_config_selectorI14custom_numericLb0EEEZNS1_14transform_implILb0ES3_S6_NS0_18transform_iteratorINS0_17counting_iteratorImlEEZNS1_24adjacent_difference_implIS3_Lb1ELb0EPS5_SC_N6thrust23THRUST_200600_302600_NS5minusIS5_EEEE10hipError_tPvRmT2_T3_mT4_P12ihipStream_tbEUlmE_S5_EESC_NS0_8identityIvEEEESH_SK_SL_mSM_SO_bEUlT_E_NS1_11comp_targetILNS1_3genE0ELNS1_11target_archE4294967295ELNS1_3gpuE0ELNS1_3repE0EEENS1_30default_config_static_selectorELNS0_4arch9wavefront6targetE1EEEvT1_
		.amdhsa_group_segment_fixed_size 0
		.amdhsa_private_segment_fixed_size 0
		.amdhsa_kernarg_size 56
		.amdhsa_user_sgpr_count 6
		.amdhsa_user_sgpr_private_segment_buffer 1
		.amdhsa_user_sgpr_dispatch_ptr 0
		.amdhsa_user_sgpr_queue_ptr 0
		.amdhsa_user_sgpr_kernarg_segment_ptr 1
		.amdhsa_user_sgpr_dispatch_id 0
		.amdhsa_user_sgpr_flat_scratch_init 0
		.amdhsa_user_sgpr_kernarg_preload_length 0
		.amdhsa_user_sgpr_kernarg_preload_offset 0
		.amdhsa_user_sgpr_private_segment_size 0
		.amdhsa_uses_dynamic_stack 0
		.amdhsa_system_sgpr_private_segment_wavefront_offset 0
		.amdhsa_system_sgpr_workgroup_id_x 1
		.amdhsa_system_sgpr_workgroup_id_y 0
		.amdhsa_system_sgpr_workgroup_id_z 0
		.amdhsa_system_sgpr_workgroup_info 0
		.amdhsa_system_vgpr_workitem_id 0
		.amdhsa_next_free_vgpr 1
		.amdhsa_next_free_sgpr 0
		.amdhsa_accum_offset 4
		.amdhsa_reserve_vcc 0
		.amdhsa_reserve_flat_scratch 0
		.amdhsa_float_round_mode_32 0
		.amdhsa_float_round_mode_16_64 0
		.amdhsa_float_denorm_mode_32 3
		.amdhsa_float_denorm_mode_16_64 3
		.amdhsa_dx10_clamp 1
		.amdhsa_ieee_mode 1
		.amdhsa_fp16_overflow 0
		.amdhsa_tg_split 0
		.amdhsa_exception_fp_ieee_invalid_op 0
		.amdhsa_exception_fp_denorm_src 0
		.amdhsa_exception_fp_ieee_div_zero 0
		.amdhsa_exception_fp_ieee_overflow 0
		.amdhsa_exception_fp_ieee_underflow 0
		.amdhsa_exception_fp_ieee_inexact 0
		.amdhsa_exception_int_div_zero 0
	.end_amdhsa_kernel
	.section	.text._ZN7rocprim17ROCPRIM_400000_NS6detail17trampoline_kernelINS0_14default_configENS1_25transform_config_selectorI14custom_numericLb0EEEZNS1_14transform_implILb0ES3_S6_NS0_18transform_iteratorINS0_17counting_iteratorImlEEZNS1_24adjacent_difference_implIS3_Lb1ELb0EPS5_SC_N6thrust23THRUST_200600_302600_NS5minusIS5_EEEE10hipError_tPvRmT2_T3_mT4_P12ihipStream_tbEUlmE_S5_EESC_NS0_8identityIvEEEESH_SK_SL_mSM_SO_bEUlT_E_NS1_11comp_targetILNS1_3genE0ELNS1_11target_archE4294967295ELNS1_3gpuE0ELNS1_3repE0EEENS1_30default_config_static_selectorELNS0_4arch9wavefront6targetE1EEEvT1_,"axG",@progbits,_ZN7rocprim17ROCPRIM_400000_NS6detail17trampoline_kernelINS0_14default_configENS1_25transform_config_selectorI14custom_numericLb0EEEZNS1_14transform_implILb0ES3_S6_NS0_18transform_iteratorINS0_17counting_iteratorImlEEZNS1_24adjacent_difference_implIS3_Lb1ELb0EPS5_SC_N6thrust23THRUST_200600_302600_NS5minusIS5_EEEE10hipError_tPvRmT2_T3_mT4_P12ihipStream_tbEUlmE_S5_EESC_NS0_8identityIvEEEESH_SK_SL_mSM_SO_bEUlT_E_NS1_11comp_targetILNS1_3genE0ELNS1_11target_archE4294967295ELNS1_3gpuE0ELNS1_3repE0EEENS1_30default_config_static_selectorELNS0_4arch9wavefront6targetE1EEEvT1_,comdat
.Lfunc_end217:
	.size	_ZN7rocprim17ROCPRIM_400000_NS6detail17trampoline_kernelINS0_14default_configENS1_25transform_config_selectorI14custom_numericLb0EEEZNS1_14transform_implILb0ES3_S6_NS0_18transform_iteratorINS0_17counting_iteratorImlEEZNS1_24adjacent_difference_implIS3_Lb1ELb0EPS5_SC_N6thrust23THRUST_200600_302600_NS5minusIS5_EEEE10hipError_tPvRmT2_T3_mT4_P12ihipStream_tbEUlmE_S5_EESC_NS0_8identityIvEEEESH_SK_SL_mSM_SO_bEUlT_E_NS1_11comp_targetILNS1_3genE0ELNS1_11target_archE4294967295ELNS1_3gpuE0ELNS1_3repE0EEENS1_30default_config_static_selectorELNS0_4arch9wavefront6targetE1EEEvT1_, .Lfunc_end217-_ZN7rocprim17ROCPRIM_400000_NS6detail17trampoline_kernelINS0_14default_configENS1_25transform_config_selectorI14custom_numericLb0EEEZNS1_14transform_implILb0ES3_S6_NS0_18transform_iteratorINS0_17counting_iteratorImlEEZNS1_24adjacent_difference_implIS3_Lb1ELb0EPS5_SC_N6thrust23THRUST_200600_302600_NS5minusIS5_EEEE10hipError_tPvRmT2_T3_mT4_P12ihipStream_tbEUlmE_S5_EESC_NS0_8identityIvEEEESH_SK_SL_mSM_SO_bEUlT_E_NS1_11comp_targetILNS1_3genE0ELNS1_11target_archE4294967295ELNS1_3gpuE0ELNS1_3repE0EEENS1_30default_config_static_selectorELNS0_4arch9wavefront6targetE1EEEvT1_
                                        ; -- End function
	.section	.AMDGPU.csdata,"",@progbits
; Kernel info:
; codeLenInByte = 0
; NumSgprs: 4
; NumVgprs: 0
; NumAgprs: 0
; TotalNumVgprs: 0
; ScratchSize: 0
; MemoryBound: 0
; FloatMode: 240
; IeeeMode: 1
; LDSByteSize: 0 bytes/workgroup (compile time only)
; SGPRBlocks: 0
; VGPRBlocks: 0
; NumSGPRsForWavesPerEU: 4
; NumVGPRsForWavesPerEU: 1
; AccumOffset: 4
; Occupancy: 8
; WaveLimiterHint : 0
; COMPUTE_PGM_RSRC2:SCRATCH_EN: 0
; COMPUTE_PGM_RSRC2:USER_SGPR: 6
; COMPUTE_PGM_RSRC2:TRAP_HANDLER: 0
; COMPUTE_PGM_RSRC2:TGID_X_EN: 1
; COMPUTE_PGM_RSRC2:TGID_Y_EN: 0
; COMPUTE_PGM_RSRC2:TGID_Z_EN: 0
; COMPUTE_PGM_RSRC2:TIDIG_COMP_CNT: 0
; COMPUTE_PGM_RSRC3_GFX90A:ACCUM_OFFSET: 0
; COMPUTE_PGM_RSRC3_GFX90A:TG_SPLIT: 0
	.section	.text._ZN7rocprim17ROCPRIM_400000_NS6detail17trampoline_kernelINS0_14default_configENS1_25transform_config_selectorI14custom_numericLb0EEEZNS1_14transform_implILb0ES3_S6_NS0_18transform_iteratorINS0_17counting_iteratorImlEEZNS1_24adjacent_difference_implIS3_Lb1ELb0EPS5_SC_N6thrust23THRUST_200600_302600_NS5minusIS5_EEEE10hipError_tPvRmT2_T3_mT4_P12ihipStream_tbEUlmE_S5_EESC_NS0_8identityIvEEEESH_SK_SL_mSM_SO_bEUlT_E_NS1_11comp_targetILNS1_3genE5ELNS1_11target_archE942ELNS1_3gpuE9ELNS1_3repE0EEENS1_30default_config_static_selectorELNS0_4arch9wavefront6targetE1EEEvT1_,"axG",@progbits,_ZN7rocprim17ROCPRIM_400000_NS6detail17trampoline_kernelINS0_14default_configENS1_25transform_config_selectorI14custom_numericLb0EEEZNS1_14transform_implILb0ES3_S6_NS0_18transform_iteratorINS0_17counting_iteratorImlEEZNS1_24adjacent_difference_implIS3_Lb1ELb0EPS5_SC_N6thrust23THRUST_200600_302600_NS5minusIS5_EEEE10hipError_tPvRmT2_T3_mT4_P12ihipStream_tbEUlmE_S5_EESC_NS0_8identityIvEEEESH_SK_SL_mSM_SO_bEUlT_E_NS1_11comp_targetILNS1_3genE5ELNS1_11target_archE942ELNS1_3gpuE9ELNS1_3repE0EEENS1_30default_config_static_selectorELNS0_4arch9wavefront6targetE1EEEvT1_,comdat
	.protected	_ZN7rocprim17ROCPRIM_400000_NS6detail17trampoline_kernelINS0_14default_configENS1_25transform_config_selectorI14custom_numericLb0EEEZNS1_14transform_implILb0ES3_S6_NS0_18transform_iteratorINS0_17counting_iteratorImlEEZNS1_24adjacent_difference_implIS3_Lb1ELb0EPS5_SC_N6thrust23THRUST_200600_302600_NS5minusIS5_EEEE10hipError_tPvRmT2_T3_mT4_P12ihipStream_tbEUlmE_S5_EESC_NS0_8identityIvEEEESH_SK_SL_mSM_SO_bEUlT_E_NS1_11comp_targetILNS1_3genE5ELNS1_11target_archE942ELNS1_3gpuE9ELNS1_3repE0EEENS1_30default_config_static_selectorELNS0_4arch9wavefront6targetE1EEEvT1_ ; -- Begin function _ZN7rocprim17ROCPRIM_400000_NS6detail17trampoline_kernelINS0_14default_configENS1_25transform_config_selectorI14custom_numericLb0EEEZNS1_14transform_implILb0ES3_S6_NS0_18transform_iteratorINS0_17counting_iteratorImlEEZNS1_24adjacent_difference_implIS3_Lb1ELb0EPS5_SC_N6thrust23THRUST_200600_302600_NS5minusIS5_EEEE10hipError_tPvRmT2_T3_mT4_P12ihipStream_tbEUlmE_S5_EESC_NS0_8identityIvEEEESH_SK_SL_mSM_SO_bEUlT_E_NS1_11comp_targetILNS1_3genE5ELNS1_11target_archE942ELNS1_3gpuE9ELNS1_3repE0EEENS1_30default_config_static_selectorELNS0_4arch9wavefront6targetE1EEEvT1_
	.globl	_ZN7rocprim17ROCPRIM_400000_NS6detail17trampoline_kernelINS0_14default_configENS1_25transform_config_selectorI14custom_numericLb0EEEZNS1_14transform_implILb0ES3_S6_NS0_18transform_iteratorINS0_17counting_iteratorImlEEZNS1_24adjacent_difference_implIS3_Lb1ELb0EPS5_SC_N6thrust23THRUST_200600_302600_NS5minusIS5_EEEE10hipError_tPvRmT2_T3_mT4_P12ihipStream_tbEUlmE_S5_EESC_NS0_8identityIvEEEESH_SK_SL_mSM_SO_bEUlT_E_NS1_11comp_targetILNS1_3genE5ELNS1_11target_archE942ELNS1_3gpuE9ELNS1_3repE0EEENS1_30default_config_static_selectorELNS0_4arch9wavefront6targetE1EEEvT1_
	.p2align	8
	.type	_ZN7rocprim17ROCPRIM_400000_NS6detail17trampoline_kernelINS0_14default_configENS1_25transform_config_selectorI14custom_numericLb0EEEZNS1_14transform_implILb0ES3_S6_NS0_18transform_iteratorINS0_17counting_iteratorImlEEZNS1_24adjacent_difference_implIS3_Lb1ELb0EPS5_SC_N6thrust23THRUST_200600_302600_NS5minusIS5_EEEE10hipError_tPvRmT2_T3_mT4_P12ihipStream_tbEUlmE_S5_EESC_NS0_8identityIvEEEESH_SK_SL_mSM_SO_bEUlT_E_NS1_11comp_targetILNS1_3genE5ELNS1_11target_archE942ELNS1_3gpuE9ELNS1_3repE0EEENS1_30default_config_static_selectorELNS0_4arch9wavefront6targetE1EEEvT1_,@function
_ZN7rocprim17ROCPRIM_400000_NS6detail17trampoline_kernelINS0_14default_configENS1_25transform_config_selectorI14custom_numericLb0EEEZNS1_14transform_implILb0ES3_S6_NS0_18transform_iteratorINS0_17counting_iteratorImlEEZNS1_24adjacent_difference_implIS3_Lb1ELb0EPS5_SC_N6thrust23THRUST_200600_302600_NS5minusIS5_EEEE10hipError_tPvRmT2_T3_mT4_P12ihipStream_tbEUlmE_S5_EESC_NS0_8identityIvEEEESH_SK_SL_mSM_SO_bEUlT_E_NS1_11comp_targetILNS1_3genE5ELNS1_11target_archE942ELNS1_3gpuE9ELNS1_3repE0EEENS1_30default_config_static_selectorELNS0_4arch9wavefront6targetE1EEEvT1_: ; @_ZN7rocprim17ROCPRIM_400000_NS6detail17trampoline_kernelINS0_14default_configENS1_25transform_config_selectorI14custom_numericLb0EEEZNS1_14transform_implILb0ES3_S6_NS0_18transform_iteratorINS0_17counting_iteratorImlEEZNS1_24adjacent_difference_implIS3_Lb1ELb0EPS5_SC_N6thrust23THRUST_200600_302600_NS5minusIS5_EEEE10hipError_tPvRmT2_T3_mT4_P12ihipStream_tbEUlmE_S5_EESC_NS0_8identityIvEEEESH_SK_SL_mSM_SO_bEUlT_E_NS1_11comp_targetILNS1_3genE5ELNS1_11target_archE942ELNS1_3gpuE9ELNS1_3repE0EEENS1_30default_config_static_selectorELNS0_4arch9wavefront6targetE1EEEvT1_
; %bb.0:
	.section	.rodata,"a",@progbits
	.p2align	6, 0x0
	.amdhsa_kernel _ZN7rocprim17ROCPRIM_400000_NS6detail17trampoline_kernelINS0_14default_configENS1_25transform_config_selectorI14custom_numericLb0EEEZNS1_14transform_implILb0ES3_S6_NS0_18transform_iteratorINS0_17counting_iteratorImlEEZNS1_24adjacent_difference_implIS3_Lb1ELb0EPS5_SC_N6thrust23THRUST_200600_302600_NS5minusIS5_EEEE10hipError_tPvRmT2_T3_mT4_P12ihipStream_tbEUlmE_S5_EESC_NS0_8identityIvEEEESH_SK_SL_mSM_SO_bEUlT_E_NS1_11comp_targetILNS1_3genE5ELNS1_11target_archE942ELNS1_3gpuE9ELNS1_3repE0EEENS1_30default_config_static_selectorELNS0_4arch9wavefront6targetE1EEEvT1_
		.amdhsa_group_segment_fixed_size 0
		.amdhsa_private_segment_fixed_size 0
		.amdhsa_kernarg_size 56
		.amdhsa_user_sgpr_count 6
		.amdhsa_user_sgpr_private_segment_buffer 1
		.amdhsa_user_sgpr_dispatch_ptr 0
		.amdhsa_user_sgpr_queue_ptr 0
		.amdhsa_user_sgpr_kernarg_segment_ptr 1
		.amdhsa_user_sgpr_dispatch_id 0
		.amdhsa_user_sgpr_flat_scratch_init 0
		.amdhsa_user_sgpr_kernarg_preload_length 0
		.amdhsa_user_sgpr_kernarg_preload_offset 0
		.amdhsa_user_sgpr_private_segment_size 0
		.amdhsa_uses_dynamic_stack 0
		.amdhsa_system_sgpr_private_segment_wavefront_offset 0
		.amdhsa_system_sgpr_workgroup_id_x 1
		.amdhsa_system_sgpr_workgroup_id_y 0
		.amdhsa_system_sgpr_workgroup_id_z 0
		.amdhsa_system_sgpr_workgroup_info 0
		.amdhsa_system_vgpr_workitem_id 0
		.amdhsa_next_free_vgpr 1
		.amdhsa_next_free_sgpr 0
		.amdhsa_accum_offset 4
		.amdhsa_reserve_vcc 0
		.amdhsa_reserve_flat_scratch 0
		.amdhsa_float_round_mode_32 0
		.amdhsa_float_round_mode_16_64 0
		.amdhsa_float_denorm_mode_32 3
		.amdhsa_float_denorm_mode_16_64 3
		.amdhsa_dx10_clamp 1
		.amdhsa_ieee_mode 1
		.amdhsa_fp16_overflow 0
		.amdhsa_tg_split 0
		.amdhsa_exception_fp_ieee_invalid_op 0
		.amdhsa_exception_fp_denorm_src 0
		.amdhsa_exception_fp_ieee_div_zero 0
		.amdhsa_exception_fp_ieee_overflow 0
		.amdhsa_exception_fp_ieee_underflow 0
		.amdhsa_exception_fp_ieee_inexact 0
		.amdhsa_exception_int_div_zero 0
	.end_amdhsa_kernel
	.section	.text._ZN7rocprim17ROCPRIM_400000_NS6detail17trampoline_kernelINS0_14default_configENS1_25transform_config_selectorI14custom_numericLb0EEEZNS1_14transform_implILb0ES3_S6_NS0_18transform_iteratorINS0_17counting_iteratorImlEEZNS1_24adjacent_difference_implIS3_Lb1ELb0EPS5_SC_N6thrust23THRUST_200600_302600_NS5minusIS5_EEEE10hipError_tPvRmT2_T3_mT4_P12ihipStream_tbEUlmE_S5_EESC_NS0_8identityIvEEEESH_SK_SL_mSM_SO_bEUlT_E_NS1_11comp_targetILNS1_3genE5ELNS1_11target_archE942ELNS1_3gpuE9ELNS1_3repE0EEENS1_30default_config_static_selectorELNS0_4arch9wavefront6targetE1EEEvT1_,"axG",@progbits,_ZN7rocprim17ROCPRIM_400000_NS6detail17trampoline_kernelINS0_14default_configENS1_25transform_config_selectorI14custom_numericLb0EEEZNS1_14transform_implILb0ES3_S6_NS0_18transform_iteratorINS0_17counting_iteratorImlEEZNS1_24adjacent_difference_implIS3_Lb1ELb0EPS5_SC_N6thrust23THRUST_200600_302600_NS5minusIS5_EEEE10hipError_tPvRmT2_T3_mT4_P12ihipStream_tbEUlmE_S5_EESC_NS0_8identityIvEEEESH_SK_SL_mSM_SO_bEUlT_E_NS1_11comp_targetILNS1_3genE5ELNS1_11target_archE942ELNS1_3gpuE9ELNS1_3repE0EEENS1_30default_config_static_selectorELNS0_4arch9wavefront6targetE1EEEvT1_,comdat
.Lfunc_end218:
	.size	_ZN7rocprim17ROCPRIM_400000_NS6detail17trampoline_kernelINS0_14default_configENS1_25transform_config_selectorI14custom_numericLb0EEEZNS1_14transform_implILb0ES3_S6_NS0_18transform_iteratorINS0_17counting_iteratorImlEEZNS1_24adjacent_difference_implIS3_Lb1ELb0EPS5_SC_N6thrust23THRUST_200600_302600_NS5minusIS5_EEEE10hipError_tPvRmT2_T3_mT4_P12ihipStream_tbEUlmE_S5_EESC_NS0_8identityIvEEEESH_SK_SL_mSM_SO_bEUlT_E_NS1_11comp_targetILNS1_3genE5ELNS1_11target_archE942ELNS1_3gpuE9ELNS1_3repE0EEENS1_30default_config_static_selectorELNS0_4arch9wavefront6targetE1EEEvT1_, .Lfunc_end218-_ZN7rocprim17ROCPRIM_400000_NS6detail17trampoline_kernelINS0_14default_configENS1_25transform_config_selectorI14custom_numericLb0EEEZNS1_14transform_implILb0ES3_S6_NS0_18transform_iteratorINS0_17counting_iteratorImlEEZNS1_24adjacent_difference_implIS3_Lb1ELb0EPS5_SC_N6thrust23THRUST_200600_302600_NS5minusIS5_EEEE10hipError_tPvRmT2_T3_mT4_P12ihipStream_tbEUlmE_S5_EESC_NS0_8identityIvEEEESH_SK_SL_mSM_SO_bEUlT_E_NS1_11comp_targetILNS1_3genE5ELNS1_11target_archE942ELNS1_3gpuE9ELNS1_3repE0EEENS1_30default_config_static_selectorELNS0_4arch9wavefront6targetE1EEEvT1_
                                        ; -- End function
	.section	.AMDGPU.csdata,"",@progbits
; Kernel info:
; codeLenInByte = 0
; NumSgprs: 4
; NumVgprs: 0
; NumAgprs: 0
; TotalNumVgprs: 0
; ScratchSize: 0
; MemoryBound: 0
; FloatMode: 240
; IeeeMode: 1
; LDSByteSize: 0 bytes/workgroup (compile time only)
; SGPRBlocks: 0
; VGPRBlocks: 0
; NumSGPRsForWavesPerEU: 4
; NumVGPRsForWavesPerEU: 1
; AccumOffset: 4
; Occupancy: 8
; WaveLimiterHint : 0
; COMPUTE_PGM_RSRC2:SCRATCH_EN: 0
; COMPUTE_PGM_RSRC2:USER_SGPR: 6
; COMPUTE_PGM_RSRC2:TRAP_HANDLER: 0
; COMPUTE_PGM_RSRC2:TGID_X_EN: 1
; COMPUTE_PGM_RSRC2:TGID_Y_EN: 0
; COMPUTE_PGM_RSRC2:TGID_Z_EN: 0
; COMPUTE_PGM_RSRC2:TIDIG_COMP_CNT: 0
; COMPUTE_PGM_RSRC3_GFX90A:ACCUM_OFFSET: 0
; COMPUTE_PGM_RSRC3_GFX90A:TG_SPLIT: 0
	.section	.text._ZN7rocprim17ROCPRIM_400000_NS6detail17trampoline_kernelINS0_14default_configENS1_25transform_config_selectorI14custom_numericLb0EEEZNS1_14transform_implILb0ES3_S6_NS0_18transform_iteratorINS0_17counting_iteratorImlEEZNS1_24adjacent_difference_implIS3_Lb1ELb0EPS5_SC_N6thrust23THRUST_200600_302600_NS5minusIS5_EEEE10hipError_tPvRmT2_T3_mT4_P12ihipStream_tbEUlmE_S5_EESC_NS0_8identityIvEEEESH_SK_SL_mSM_SO_bEUlT_E_NS1_11comp_targetILNS1_3genE4ELNS1_11target_archE910ELNS1_3gpuE8ELNS1_3repE0EEENS1_30default_config_static_selectorELNS0_4arch9wavefront6targetE1EEEvT1_,"axG",@progbits,_ZN7rocprim17ROCPRIM_400000_NS6detail17trampoline_kernelINS0_14default_configENS1_25transform_config_selectorI14custom_numericLb0EEEZNS1_14transform_implILb0ES3_S6_NS0_18transform_iteratorINS0_17counting_iteratorImlEEZNS1_24adjacent_difference_implIS3_Lb1ELb0EPS5_SC_N6thrust23THRUST_200600_302600_NS5minusIS5_EEEE10hipError_tPvRmT2_T3_mT4_P12ihipStream_tbEUlmE_S5_EESC_NS0_8identityIvEEEESH_SK_SL_mSM_SO_bEUlT_E_NS1_11comp_targetILNS1_3genE4ELNS1_11target_archE910ELNS1_3gpuE8ELNS1_3repE0EEENS1_30default_config_static_selectorELNS0_4arch9wavefront6targetE1EEEvT1_,comdat
	.protected	_ZN7rocprim17ROCPRIM_400000_NS6detail17trampoline_kernelINS0_14default_configENS1_25transform_config_selectorI14custom_numericLb0EEEZNS1_14transform_implILb0ES3_S6_NS0_18transform_iteratorINS0_17counting_iteratorImlEEZNS1_24adjacent_difference_implIS3_Lb1ELb0EPS5_SC_N6thrust23THRUST_200600_302600_NS5minusIS5_EEEE10hipError_tPvRmT2_T3_mT4_P12ihipStream_tbEUlmE_S5_EESC_NS0_8identityIvEEEESH_SK_SL_mSM_SO_bEUlT_E_NS1_11comp_targetILNS1_3genE4ELNS1_11target_archE910ELNS1_3gpuE8ELNS1_3repE0EEENS1_30default_config_static_selectorELNS0_4arch9wavefront6targetE1EEEvT1_ ; -- Begin function _ZN7rocprim17ROCPRIM_400000_NS6detail17trampoline_kernelINS0_14default_configENS1_25transform_config_selectorI14custom_numericLb0EEEZNS1_14transform_implILb0ES3_S6_NS0_18transform_iteratorINS0_17counting_iteratorImlEEZNS1_24adjacent_difference_implIS3_Lb1ELb0EPS5_SC_N6thrust23THRUST_200600_302600_NS5minusIS5_EEEE10hipError_tPvRmT2_T3_mT4_P12ihipStream_tbEUlmE_S5_EESC_NS0_8identityIvEEEESH_SK_SL_mSM_SO_bEUlT_E_NS1_11comp_targetILNS1_3genE4ELNS1_11target_archE910ELNS1_3gpuE8ELNS1_3repE0EEENS1_30default_config_static_selectorELNS0_4arch9wavefront6targetE1EEEvT1_
	.globl	_ZN7rocprim17ROCPRIM_400000_NS6detail17trampoline_kernelINS0_14default_configENS1_25transform_config_selectorI14custom_numericLb0EEEZNS1_14transform_implILb0ES3_S6_NS0_18transform_iteratorINS0_17counting_iteratorImlEEZNS1_24adjacent_difference_implIS3_Lb1ELb0EPS5_SC_N6thrust23THRUST_200600_302600_NS5minusIS5_EEEE10hipError_tPvRmT2_T3_mT4_P12ihipStream_tbEUlmE_S5_EESC_NS0_8identityIvEEEESH_SK_SL_mSM_SO_bEUlT_E_NS1_11comp_targetILNS1_3genE4ELNS1_11target_archE910ELNS1_3gpuE8ELNS1_3repE0EEENS1_30default_config_static_selectorELNS0_4arch9wavefront6targetE1EEEvT1_
	.p2align	8
	.type	_ZN7rocprim17ROCPRIM_400000_NS6detail17trampoline_kernelINS0_14default_configENS1_25transform_config_selectorI14custom_numericLb0EEEZNS1_14transform_implILb0ES3_S6_NS0_18transform_iteratorINS0_17counting_iteratorImlEEZNS1_24adjacent_difference_implIS3_Lb1ELb0EPS5_SC_N6thrust23THRUST_200600_302600_NS5minusIS5_EEEE10hipError_tPvRmT2_T3_mT4_P12ihipStream_tbEUlmE_S5_EESC_NS0_8identityIvEEEESH_SK_SL_mSM_SO_bEUlT_E_NS1_11comp_targetILNS1_3genE4ELNS1_11target_archE910ELNS1_3gpuE8ELNS1_3repE0EEENS1_30default_config_static_selectorELNS0_4arch9wavefront6targetE1EEEvT1_,@function
_ZN7rocprim17ROCPRIM_400000_NS6detail17trampoline_kernelINS0_14default_configENS1_25transform_config_selectorI14custom_numericLb0EEEZNS1_14transform_implILb0ES3_S6_NS0_18transform_iteratorINS0_17counting_iteratorImlEEZNS1_24adjacent_difference_implIS3_Lb1ELb0EPS5_SC_N6thrust23THRUST_200600_302600_NS5minusIS5_EEEE10hipError_tPvRmT2_T3_mT4_P12ihipStream_tbEUlmE_S5_EESC_NS0_8identityIvEEEESH_SK_SL_mSM_SO_bEUlT_E_NS1_11comp_targetILNS1_3genE4ELNS1_11target_archE910ELNS1_3gpuE8ELNS1_3repE0EEENS1_30default_config_static_selectorELNS0_4arch9wavefront6targetE1EEEvT1_: ; @_ZN7rocprim17ROCPRIM_400000_NS6detail17trampoline_kernelINS0_14default_configENS1_25transform_config_selectorI14custom_numericLb0EEEZNS1_14transform_implILb0ES3_S6_NS0_18transform_iteratorINS0_17counting_iteratorImlEEZNS1_24adjacent_difference_implIS3_Lb1ELb0EPS5_SC_N6thrust23THRUST_200600_302600_NS5minusIS5_EEEE10hipError_tPvRmT2_T3_mT4_P12ihipStream_tbEUlmE_S5_EESC_NS0_8identityIvEEEESH_SK_SL_mSM_SO_bEUlT_E_NS1_11comp_targetILNS1_3genE4ELNS1_11target_archE910ELNS1_3gpuE8ELNS1_3repE0EEENS1_30default_config_static_selectorELNS0_4arch9wavefront6targetE1EEEvT1_
; %bb.0:
	s_load_dwordx4 s[0:3], s[4:5], 0x18
	s_load_dwordx4 s[8:11], s[4:5], 0x0
	s_load_dword s12, s[4:5], 0x10
	s_load_dwordx2 s[14:15], s[4:5], 0x28
	s_load_dword s7, s[4:5], 0x38
	s_waitcnt lgkmcnt(0)
	s_mul_i32 s3, s1, 20
	s_mul_hi_u32 s4, s0, 20
	s_add_i32 s4, s4, s3
	s_mul_i32 s3, s0, 20
	s_add_u32 s13, s14, s3
	s_addc_u32 s14, s15, s4
	s_mul_i32 s3, s6, 0x300
	s_add_i32 s7, s7, -1
	s_add_u32 s4, s8, s3
	s_addc_u32 s5, s9, 0
	s_add_u32 s15, s4, s0
	s_addc_u32 s16, s5, s1
	s_cmp_lg_u32 s6, s7
	s_mul_hi_u32 s8, s3, 20
	s_mul_i32 s9, s3, 20
	s_cbranch_scc0 .LBB219_2
; %bb.1:
	v_add_co_u32_e32 v2, vcc, s15, v0
	v_mov_b32_e32 v1, s16
	v_mad_u64_u32 v[2:3], s[0:1], v2, s12, 0
	v_addc_co_u32_e32 v1, vcc, 0, v1, vcc
	v_mov_b32_e32 v4, v3
	v_mad_u64_u32 v[2:3], s[0:1], v2, 20, s[10:11]
	v_mad_u64_u32 v[4:5], s[0:1], v1, s12, v[4:5]
	v_mov_b32_e32 v6, v3
	v_mad_u64_u32 v[4:5], s[0:1], v4, 20, v[6:7]
	v_mov_b32_e32 v3, v4
	s_lshl_b32 s4, s12, 8
	global_load_dword v4, v[2:3], off
	v_mad_u64_u32 v[2:3], s[0:1], s4, 20, v[2:3]
	s_lshr_b32 s0, s12, 24
	s_mul_i32 s5, s0, 20
	v_add_u32_e32 v3, s5, v3
	global_load_dword v12, v[2:3], off
	v_mad_u64_u32 v[2:3], s[0:1], s4, 20, v[2:3]
	v_add_u32_e32 v3, s5, v3
	global_load_dword v2, v[2:3], off
	s_add_u32 s4, s13, s9
	s_addc_u32 s5, s14, s8
	v_mad_u64_u32 v[10:11], s[4:5], v0, 20, s[4:5]
	v_add_co_u32_e32 v8, vcc, 0x1000, v10
	v_addc_co_u32_e32 v9, vcc, 0, v11, vcc
	s_mov_b64 s[4:5], -1
	s_waitcnt vmcnt(2)
	v_mov_b32_e32 v5, v4
	v_mov_b32_e32 v6, v4
	;; [unrolled: 1-line block ×3, first 2 shown]
	global_store_dword v[10:11], v4, off offset:16
	global_store_dwordx4 v[10:11], v[4:7], off
	s_waitcnt vmcnt(3)
	v_mov_b32_e32 v13, v12
	v_mov_b32_e32 v14, v12
	;; [unrolled: 1-line block ×3, first 2 shown]
	global_store_dword v[8:9], v12, off offset:1040
	global_store_dwordx4 v[8:9], v[12:15], off offset:1024
	s_cbranch_execz .LBB219_3
	s_branch .LBB219_14
.LBB219_2:
	s_mov_b64 s[4:5], 0
                                        ; implicit-def: $vgpr2
                                        ; implicit-def: $vgpr10_vgpr11
.LBB219_3:
	s_sub_i32 s6, s2, s3
	v_cmp_gt_u32_e32 vcc, s6, v0
	v_mov_b32_e32 v4, 0
	v_mov_b32_e32 v6, 0
	s_and_saveexec_b64 s[2:3], vcc
	s_cbranch_execz .LBB219_5
; %bb.4:
	v_mov_b32_e32 v1, s16
	s_waitcnt vmcnt(4)
	v_add_co_u32_e64 v2, s[0:1], s15, v0
	v_addc_co_u32_e64 v1, s[0:1], 0, v1, s[0:1]
	v_mad_u64_u32 v[2:3], s[0:1], v2, s12, 0
	v_mov_b32_e32 v6, v3
	v_mad_u64_u32 v[2:3], s[0:1], v2, 20, s[10:11]
	v_mad_u64_u32 v[6:7], s[0:1], v1, s12, v[6:7]
	v_mov_b32_e32 v8, v3
	v_mad_u64_u32 v[6:7], s[0:1], v6, 20, v[8:9]
	v_mov_b32_e32 v3, v6
	global_load_dword v6, v[2:3], off
.LBB219_5:
	s_or_b64 exec, exec, s[2:3]
	v_or_b32_e32 v1, 0x100, v0
	v_cmp_gt_u32_e64 s[0:1], s6, v1
	s_and_saveexec_b64 s[4:5], s[0:1]
	s_cbranch_execz .LBB219_7
; %bb.6:
	s_waitcnt vmcnt(4)
	v_mov_b32_e32 v2, s16
	v_add_co_u32_e64 v1, s[2:3], s15, v1
	v_addc_co_u32_e64 v5, s[2:3], 0, v2, s[2:3]
	v_mad_u64_u32 v[2:3], s[2:3], v1, s12, 0
	v_mov_b32_e32 v4, v3
	v_mad_u64_u32 v[2:3], s[2:3], v2, 20, s[10:11]
	v_mad_u64_u32 v[4:5], s[2:3], v5, s12, v[4:5]
	v_mov_b32_e32 v8, v3
	v_mad_u64_u32 v[4:5], s[2:3], v4, 20, v[8:9]
	v_mov_b32_e32 v3, v4
	global_load_dword v4, v[2:3], off
.LBB219_7:
	s_or_b64 exec, exec, s[4:5]
	v_or_b32_e32 v1, 0x200, v0
	v_cmp_gt_u32_e64 s[4:5], s6, v1
	s_waitcnt vmcnt(4)
	v_mov_b32_e32 v2, 0
	s_and_saveexec_b64 s[6:7], s[4:5]
	s_cbranch_execz .LBB219_9
; %bb.8:
	v_mov_b32_e32 v2, s16
	v_add_co_u32_e64 v1, s[2:3], s15, v1
	v_addc_co_u32_e64 v5, s[2:3], 0, v2, s[2:3]
	v_mad_u64_u32 v[2:3], s[2:3], v1, s12, 0
	v_mov_b32_e32 v8, v3
	v_mad_u64_u32 v[2:3], s[2:3], v2, 20, s[10:11]
	v_mad_u64_u32 v[8:9], s[2:3], v5, s12, v[8:9]
	v_mov_b32_e32 v10, v3
	v_mad_u64_u32 v[8:9], s[2:3], v8, 20, v[10:11]
	v_mov_b32_e32 v3, v8
	global_load_dword v2, v[2:3], off
.LBB219_9:
	s_or_b64 exec, exec, s[6:7]
	s_add_u32 s2, s13, s9
	s_addc_u32 s3, s14, s8
	v_mad_u64_u32 v[10:11], s[2:3], v0, 20, s[2:3]
	s_and_saveexec_b64 s[2:3], vcc
	s_cbranch_execz .LBB219_11
; %bb.10:
	s_waitcnt vmcnt(0)
	v_mov_b32_e32 v7, v6
	v_mov_b32_e32 v8, v6
	v_mov_b32_e32 v9, v6
	global_store_dwordx4 v[10:11], v[6:9], off
	global_store_dword v[10:11], v6, off offset:16
.LBB219_11:
	s_or_b64 exec, exec, s[2:3]
	s_and_saveexec_b64 s[2:3], s[0:1]
	s_cbranch_execz .LBB219_13
; %bb.12:
	v_add_co_u32_e32 v0, vcc, 0x1000, v10
	s_waitcnt vmcnt(0)
	v_mov_b32_e32 v5, v4
	v_mov_b32_e32 v6, v4
	;; [unrolled: 1-line block ×3, first 2 shown]
	v_addc_co_u32_e32 v1, vcc, 0, v11, vcc
	global_store_dwordx4 v[0:1], v[4:7], off offset:1024
	global_store_dword v[0:1], v4, off offset:1040
.LBB219_13:
	s_or_b64 exec, exec, s[2:3]
.LBB219_14:
	s_and_saveexec_b64 s[0:1], s[4:5]
	s_cbranch_execnz .LBB219_16
; %bb.15:
	s_endpgm
.LBB219_16:
	v_add_co_u32_e32 v0, vcc, 0x2000, v10
	s_waitcnt vmcnt(0)
	v_mov_b32_e32 v3, v2
	v_mov_b32_e32 v4, v2
	;; [unrolled: 1-line block ×3, first 2 shown]
	v_addc_co_u32_e32 v1, vcc, 0, v11, vcc
	global_store_dwordx4 v[0:1], v[2:5], off offset:2048
	global_store_dword v[0:1], v2, off offset:2064
	s_endpgm
	.section	.rodata,"a",@progbits
	.p2align	6, 0x0
	.amdhsa_kernel _ZN7rocprim17ROCPRIM_400000_NS6detail17trampoline_kernelINS0_14default_configENS1_25transform_config_selectorI14custom_numericLb0EEEZNS1_14transform_implILb0ES3_S6_NS0_18transform_iteratorINS0_17counting_iteratorImlEEZNS1_24adjacent_difference_implIS3_Lb1ELb0EPS5_SC_N6thrust23THRUST_200600_302600_NS5minusIS5_EEEE10hipError_tPvRmT2_T3_mT4_P12ihipStream_tbEUlmE_S5_EESC_NS0_8identityIvEEEESH_SK_SL_mSM_SO_bEUlT_E_NS1_11comp_targetILNS1_3genE4ELNS1_11target_archE910ELNS1_3gpuE8ELNS1_3repE0EEENS1_30default_config_static_selectorELNS0_4arch9wavefront6targetE1EEEvT1_
		.amdhsa_group_segment_fixed_size 0
		.amdhsa_private_segment_fixed_size 0
		.amdhsa_kernarg_size 312
		.amdhsa_user_sgpr_count 6
		.amdhsa_user_sgpr_private_segment_buffer 1
		.amdhsa_user_sgpr_dispatch_ptr 0
		.amdhsa_user_sgpr_queue_ptr 0
		.amdhsa_user_sgpr_kernarg_segment_ptr 1
		.amdhsa_user_sgpr_dispatch_id 0
		.amdhsa_user_sgpr_flat_scratch_init 0
		.amdhsa_user_sgpr_kernarg_preload_length 0
		.amdhsa_user_sgpr_kernarg_preload_offset 0
		.amdhsa_user_sgpr_private_segment_size 0
		.amdhsa_uses_dynamic_stack 0
		.amdhsa_system_sgpr_private_segment_wavefront_offset 0
		.amdhsa_system_sgpr_workgroup_id_x 1
		.amdhsa_system_sgpr_workgroup_id_y 0
		.amdhsa_system_sgpr_workgroup_id_z 0
		.amdhsa_system_sgpr_workgroup_info 0
		.amdhsa_system_vgpr_workitem_id 0
		.amdhsa_next_free_vgpr 16
		.amdhsa_next_free_sgpr 17
		.amdhsa_accum_offset 16
		.amdhsa_reserve_vcc 1
		.amdhsa_reserve_flat_scratch 0
		.amdhsa_float_round_mode_32 0
		.amdhsa_float_round_mode_16_64 0
		.amdhsa_float_denorm_mode_32 3
		.amdhsa_float_denorm_mode_16_64 3
		.amdhsa_dx10_clamp 1
		.amdhsa_ieee_mode 1
		.amdhsa_fp16_overflow 0
		.amdhsa_tg_split 0
		.amdhsa_exception_fp_ieee_invalid_op 0
		.amdhsa_exception_fp_denorm_src 0
		.amdhsa_exception_fp_ieee_div_zero 0
		.amdhsa_exception_fp_ieee_overflow 0
		.amdhsa_exception_fp_ieee_underflow 0
		.amdhsa_exception_fp_ieee_inexact 0
		.amdhsa_exception_int_div_zero 0
	.end_amdhsa_kernel
	.section	.text._ZN7rocprim17ROCPRIM_400000_NS6detail17trampoline_kernelINS0_14default_configENS1_25transform_config_selectorI14custom_numericLb0EEEZNS1_14transform_implILb0ES3_S6_NS0_18transform_iteratorINS0_17counting_iteratorImlEEZNS1_24adjacent_difference_implIS3_Lb1ELb0EPS5_SC_N6thrust23THRUST_200600_302600_NS5minusIS5_EEEE10hipError_tPvRmT2_T3_mT4_P12ihipStream_tbEUlmE_S5_EESC_NS0_8identityIvEEEESH_SK_SL_mSM_SO_bEUlT_E_NS1_11comp_targetILNS1_3genE4ELNS1_11target_archE910ELNS1_3gpuE8ELNS1_3repE0EEENS1_30default_config_static_selectorELNS0_4arch9wavefront6targetE1EEEvT1_,"axG",@progbits,_ZN7rocprim17ROCPRIM_400000_NS6detail17trampoline_kernelINS0_14default_configENS1_25transform_config_selectorI14custom_numericLb0EEEZNS1_14transform_implILb0ES3_S6_NS0_18transform_iteratorINS0_17counting_iteratorImlEEZNS1_24adjacent_difference_implIS3_Lb1ELb0EPS5_SC_N6thrust23THRUST_200600_302600_NS5minusIS5_EEEE10hipError_tPvRmT2_T3_mT4_P12ihipStream_tbEUlmE_S5_EESC_NS0_8identityIvEEEESH_SK_SL_mSM_SO_bEUlT_E_NS1_11comp_targetILNS1_3genE4ELNS1_11target_archE910ELNS1_3gpuE8ELNS1_3repE0EEENS1_30default_config_static_selectorELNS0_4arch9wavefront6targetE1EEEvT1_,comdat
.Lfunc_end219:
	.size	_ZN7rocprim17ROCPRIM_400000_NS6detail17trampoline_kernelINS0_14default_configENS1_25transform_config_selectorI14custom_numericLb0EEEZNS1_14transform_implILb0ES3_S6_NS0_18transform_iteratorINS0_17counting_iteratorImlEEZNS1_24adjacent_difference_implIS3_Lb1ELb0EPS5_SC_N6thrust23THRUST_200600_302600_NS5minusIS5_EEEE10hipError_tPvRmT2_T3_mT4_P12ihipStream_tbEUlmE_S5_EESC_NS0_8identityIvEEEESH_SK_SL_mSM_SO_bEUlT_E_NS1_11comp_targetILNS1_3genE4ELNS1_11target_archE910ELNS1_3gpuE8ELNS1_3repE0EEENS1_30default_config_static_selectorELNS0_4arch9wavefront6targetE1EEEvT1_, .Lfunc_end219-_ZN7rocprim17ROCPRIM_400000_NS6detail17trampoline_kernelINS0_14default_configENS1_25transform_config_selectorI14custom_numericLb0EEEZNS1_14transform_implILb0ES3_S6_NS0_18transform_iteratorINS0_17counting_iteratorImlEEZNS1_24adjacent_difference_implIS3_Lb1ELb0EPS5_SC_N6thrust23THRUST_200600_302600_NS5minusIS5_EEEE10hipError_tPvRmT2_T3_mT4_P12ihipStream_tbEUlmE_S5_EESC_NS0_8identityIvEEEESH_SK_SL_mSM_SO_bEUlT_E_NS1_11comp_targetILNS1_3genE4ELNS1_11target_archE910ELNS1_3gpuE8ELNS1_3repE0EEENS1_30default_config_static_selectorELNS0_4arch9wavefront6targetE1EEEvT1_
                                        ; -- End function
	.section	.AMDGPU.csdata,"",@progbits
; Kernel info:
; codeLenInByte = 828
; NumSgprs: 21
; NumVgprs: 16
; NumAgprs: 0
; TotalNumVgprs: 16
; ScratchSize: 0
; MemoryBound: 0
; FloatMode: 240
; IeeeMode: 1
; LDSByteSize: 0 bytes/workgroup (compile time only)
; SGPRBlocks: 2
; VGPRBlocks: 1
; NumSGPRsForWavesPerEU: 21
; NumVGPRsForWavesPerEU: 16
; AccumOffset: 16
; Occupancy: 8
; WaveLimiterHint : 1
; COMPUTE_PGM_RSRC2:SCRATCH_EN: 0
; COMPUTE_PGM_RSRC2:USER_SGPR: 6
; COMPUTE_PGM_RSRC2:TRAP_HANDLER: 0
; COMPUTE_PGM_RSRC2:TGID_X_EN: 1
; COMPUTE_PGM_RSRC2:TGID_Y_EN: 0
; COMPUTE_PGM_RSRC2:TGID_Z_EN: 0
; COMPUTE_PGM_RSRC2:TIDIG_COMP_CNT: 0
; COMPUTE_PGM_RSRC3_GFX90A:ACCUM_OFFSET: 3
; COMPUTE_PGM_RSRC3_GFX90A:TG_SPLIT: 0
	.section	.text._ZN7rocprim17ROCPRIM_400000_NS6detail17trampoline_kernelINS0_14default_configENS1_25transform_config_selectorI14custom_numericLb0EEEZNS1_14transform_implILb0ES3_S6_NS0_18transform_iteratorINS0_17counting_iteratorImlEEZNS1_24adjacent_difference_implIS3_Lb1ELb0EPS5_SC_N6thrust23THRUST_200600_302600_NS5minusIS5_EEEE10hipError_tPvRmT2_T3_mT4_P12ihipStream_tbEUlmE_S5_EESC_NS0_8identityIvEEEESH_SK_SL_mSM_SO_bEUlT_E_NS1_11comp_targetILNS1_3genE3ELNS1_11target_archE908ELNS1_3gpuE7ELNS1_3repE0EEENS1_30default_config_static_selectorELNS0_4arch9wavefront6targetE1EEEvT1_,"axG",@progbits,_ZN7rocprim17ROCPRIM_400000_NS6detail17trampoline_kernelINS0_14default_configENS1_25transform_config_selectorI14custom_numericLb0EEEZNS1_14transform_implILb0ES3_S6_NS0_18transform_iteratorINS0_17counting_iteratorImlEEZNS1_24adjacent_difference_implIS3_Lb1ELb0EPS5_SC_N6thrust23THRUST_200600_302600_NS5minusIS5_EEEE10hipError_tPvRmT2_T3_mT4_P12ihipStream_tbEUlmE_S5_EESC_NS0_8identityIvEEEESH_SK_SL_mSM_SO_bEUlT_E_NS1_11comp_targetILNS1_3genE3ELNS1_11target_archE908ELNS1_3gpuE7ELNS1_3repE0EEENS1_30default_config_static_selectorELNS0_4arch9wavefront6targetE1EEEvT1_,comdat
	.protected	_ZN7rocprim17ROCPRIM_400000_NS6detail17trampoline_kernelINS0_14default_configENS1_25transform_config_selectorI14custom_numericLb0EEEZNS1_14transform_implILb0ES3_S6_NS0_18transform_iteratorINS0_17counting_iteratorImlEEZNS1_24adjacent_difference_implIS3_Lb1ELb0EPS5_SC_N6thrust23THRUST_200600_302600_NS5minusIS5_EEEE10hipError_tPvRmT2_T3_mT4_P12ihipStream_tbEUlmE_S5_EESC_NS0_8identityIvEEEESH_SK_SL_mSM_SO_bEUlT_E_NS1_11comp_targetILNS1_3genE3ELNS1_11target_archE908ELNS1_3gpuE7ELNS1_3repE0EEENS1_30default_config_static_selectorELNS0_4arch9wavefront6targetE1EEEvT1_ ; -- Begin function _ZN7rocprim17ROCPRIM_400000_NS6detail17trampoline_kernelINS0_14default_configENS1_25transform_config_selectorI14custom_numericLb0EEEZNS1_14transform_implILb0ES3_S6_NS0_18transform_iteratorINS0_17counting_iteratorImlEEZNS1_24adjacent_difference_implIS3_Lb1ELb0EPS5_SC_N6thrust23THRUST_200600_302600_NS5minusIS5_EEEE10hipError_tPvRmT2_T3_mT4_P12ihipStream_tbEUlmE_S5_EESC_NS0_8identityIvEEEESH_SK_SL_mSM_SO_bEUlT_E_NS1_11comp_targetILNS1_3genE3ELNS1_11target_archE908ELNS1_3gpuE7ELNS1_3repE0EEENS1_30default_config_static_selectorELNS0_4arch9wavefront6targetE1EEEvT1_
	.globl	_ZN7rocprim17ROCPRIM_400000_NS6detail17trampoline_kernelINS0_14default_configENS1_25transform_config_selectorI14custom_numericLb0EEEZNS1_14transform_implILb0ES3_S6_NS0_18transform_iteratorINS0_17counting_iteratorImlEEZNS1_24adjacent_difference_implIS3_Lb1ELb0EPS5_SC_N6thrust23THRUST_200600_302600_NS5minusIS5_EEEE10hipError_tPvRmT2_T3_mT4_P12ihipStream_tbEUlmE_S5_EESC_NS0_8identityIvEEEESH_SK_SL_mSM_SO_bEUlT_E_NS1_11comp_targetILNS1_3genE3ELNS1_11target_archE908ELNS1_3gpuE7ELNS1_3repE0EEENS1_30default_config_static_selectorELNS0_4arch9wavefront6targetE1EEEvT1_
	.p2align	8
	.type	_ZN7rocprim17ROCPRIM_400000_NS6detail17trampoline_kernelINS0_14default_configENS1_25transform_config_selectorI14custom_numericLb0EEEZNS1_14transform_implILb0ES3_S6_NS0_18transform_iteratorINS0_17counting_iteratorImlEEZNS1_24adjacent_difference_implIS3_Lb1ELb0EPS5_SC_N6thrust23THRUST_200600_302600_NS5minusIS5_EEEE10hipError_tPvRmT2_T3_mT4_P12ihipStream_tbEUlmE_S5_EESC_NS0_8identityIvEEEESH_SK_SL_mSM_SO_bEUlT_E_NS1_11comp_targetILNS1_3genE3ELNS1_11target_archE908ELNS1_3gpuE7ELNS1_3repE0EEENS1_30default_config_static_selectorELNS0_4arch9wavefront6targetE1EEEvT1_,@function
_ZN7rocprim17ROCPRIM_400000_NS6detail17trampoline_kernelINS0_14default_configENS1_25transform_config_selectorI14custom_numericLb0EEEZNS1_14transform_implILb0ES3_S6_NS0_18transform_iteratorINS0_17counting_iteratorImlEEZNS1_24adjacent_difference_implIS3_Lb1ELb0EPS5_SC_N6thrust23THRUST_200600_302600_NS5minusIS5_EEEE10hipError_tPvRmT2_T3_mT4_P12ihipStream_tbEUlmE_S5_EESC_NS0_8identityIvEEEESH_SK_SL_mSM_SO_bEUlT_E_NS1_11comp_targetILNS1_3genE3ELNS1_11target_archE908ELNS1_3gpuE7ELNS1_3repE0EEENS1_30default_config_static_selectorELNS0_4arch9wavefront6targetE1EEEvT1_: ; @_ZN7rocprim17ROCPRIM_400000_NS6detail17trampoline_kernelINS0_14default_configENS1_25transform_config_selectorI14custom_numericLb0EEEZNS1_14transform_implILb0ES3_S6_NS0_18transform_iteratorINS0_17counting_iteratorImlEEZNS1_24adjacent_difference_implIS3_Lb1ELb0EPS5_SC_N6thrust23THRUST_200600_302600_NS5minusIS5_EEEE10hipError_tPvRmT2_T3_mT4_P12ihipStream_tbEUlmE_S5_EESC_NS0_8identityIvEEEESH_SK_SL_mSM_SO_bEUlT_E_NS1_11comp_targetILNS1_3genE3ELNS1_11target_archE908ELNS1_3gpuE7ELNS1_3repE0EEENS1_30default_config_static_selectorELNS0_4arch9wavefront6targetE1EEEvT1_
; %bb.0:
	.section	.rodata,"a",@progbits
	.p2align	6, 0x0
	.amdhsa_kernel _ZN7rocprim17ROCPRIM_400000_NS6detail17trampoline_kernelINS0_14default_configENS1_25transform_config_selectorI14custom_numericLb0EEEZNS1_14transform_implILb0ES3_S6_NS0_18transform_iteratorINS0_17counting_iteratorImlEEZNS1_24adjacent_difference_implIS3_Lb1ELb0EPS5_SC_N6thrust23THRUST_200600_302600_NS5minusIS5_EEEE10hipError_tPvRmT2_T3_mT4_P12ihipStream_tbEUlmE_S5_EESC_NS0_8identityIvEEEESH_SK_SL_mSM_SO_bEUlT_E_NS1_11comp_targetILNS1_3genE3ELNS1_11target_archE908ELNS1_3gpuE7ELNS1_3repE0EEENS1_30default_config_static_selectorELNS0_4arch9wavefront6targetE1EEEvT1_
		.amdhsa_group_segment_fixed_size 0
		.amdhsa_private_segment_fixed_size 0
		.amdhsa_kernarg_size 56
		.amdhsa_user_sgpr_count 6
		.amdhsa_user_sgpr_private_segment_buffer 1
		.amdhsa_user_sgpr_dispatch_ptr 0
		.amdhsa_user_sgpr_queue_ptr 0
		.amdhsa_user_sgpr_kernarg_segment_ptr 1
		.amdhsa_user_sgpr_dispatch_id 0
		.amdhsa_user_sgpr_flat_scratch_init 0
		.amdhsa_user_sgpr_kernarg_preload_length 0
		.amdhsa_user_sgpr_kernarg_preload_offset 0
		.amdhsa_user_sgpr_private_segment_size 0
		.amdhsa_uses_dynamic_stack 0
		.amdhsa_system_sgpr_private_segment_wavefront_offset 0
		.amdhsa_system_sgpr_workgroup_id_x 1
		.amdhsa_system_sgpr_workgroup_id_y 0
		.amdhsa_system_sgpr_workgroup_id_z 0
		.amdhsa_system_sgpr_workgroup_info 0
		.amdhsa_system_vgpr_workitem_id 0
		.amdhsa_next_free_vgpr 1
		.amdhsa_next_free_sgpr 0
		.amdhsa_accum_offset 4
		.amdhsa_reserve_vcc 0
		.amdhsa_reserve_flat_scratch 0
		.amdhsa_float_round_mode_32 0
		.amdhsa_float_round_mode_16_64 0
		.amdhsa_float_denorm_mode_32 3
		.amdhsa_float_denorm_mode_16_64 3
		.amdhsa_dx10_clamp 1
		.amdhsa_ieee_mode 1
		.amdhsa_fp16_overflow 0
		.amdhsa_tg_split 0
		.amdhsa_exception_fp_ieee_invalid_op 0
		.amdhsa_exception_fp_denorm_src 0
		.amdhsa_exception_fp_ieee_div_zero 0
		.amdhsa_exception_fp_ieee_overflow 0
		.amdhsa_exception_fp_ieee_underflow 0
		.amdhsa_exception_fp_ieee_inexact 0
		.amdhsa_exception_int_div_zero 0
	.end_amdhsa_kernel
	.section	.text._ZN7rocprim17ROCPRIM_400000_NS6detail17trampoline_kernelINS0_14default_configENS1_25transform_config_selectorI14custom_numericLb0EEEZNS1_14transform_implILb0ES3_S6_NS0_18transform_iteratorINS0_17counting_iteratorImlEEZNS1_24adjacent_difference_implIS3_Lb1ELb0EPS5_SC_N6thrust23THRUST_200600_302600_NS5minusIS5_EEEE10hipError_tPvRmT2_T3_mT4_P12ihipStream_tbEUlmE_S5_EESC_NS0_8identityIvEEEESH_SK_SL_mSM_SO_bEUlT_E_NS1_11comp_targetILNS1_3genE3ELNS1_11target_archE908ELNS1_3gpuE7ELNS1_3repE0EEENS1_30default_config_static_selectorELNS0_4arch9wavefront6targetE1EEEvT1_,"axG",@progbits,_ZN7rocprim17ROCPRIM_400000_NS6detail17trampoline_kernelINS0_14default_configENS1_25transform_config_selectorI14custom_numericLb0EEEZNS1_14transform_implILb0ES3_S6_NS0_18transform_iteratorINS0_17counting_iteratorImlEEZNS1_24adjacent_difference_implIS3_Lb1ELb0EPS5_SC_N6thrust23THRUST_200600_302600_NS5minusIS5_EEEE10hipError_tPvRmT2_T3_mT4_P12ihipStream_tbEUlmE_S5_EESC_NS0_8identityIvEEEESH_SK_SL_mSM_SO_bEUlT_E_NS1_11comp_targetILNS1_3genE3ELNS1_11target_archE908ELNS1_3gpuE7ELNS1_3repE0EEENS1_30default_config_static_selectorELNS0_4arch9wavefront6targetE1EEEvT1_,comdat
.Lfunc_end220:
	.size	_ZN7rocprim17ROCPRIM_400000_NS6detail17trampoline_kernelINS0_14default_configENS1_25transform_config_selectorI14custom_numericLb0EEEZNS1_14transform_implILb0ES3_S6_NS0_18transform_iteratorINS0_17counting_iteratorImlEEZNS1_24adjacent_difference_implIS3_Lb1ELb0EPS5_SC_N6thrust23THRUST_200600_302600_NS5minusIS5_EEEE10hipError_tPvRmT2_T3_mT4_P12ihipStream_tbEUlmE_S5_EESC_NS0_8identityIvEEEESH_SK_SL_mSM_SO_bEUlT_E_NS1_11comp_targetILNS1_3genE3ELNS1_11target_archE908ELNS1_3gpuE7ELNS1_3repE0EEENS1_30default_config_static_selectorELNS0_4arch9wavefront6targetE1EEEvT1_, .Lfunc_end220-_ZN7rocprim17ROCPRIM_400000_NS6detail17trampoline_kernelINS0_14default_configENS1_25transform_config_selectorI14custom_numericLb0EEEZNS1_14transform_implILb0ES3_S6_NS0_18transform_iteratorINS0_17counting_iteratorImlEEZNS1_24adjacent_difference_implIS3_Lb1ELb0EPS5_SC_N6thrust23THRUST_200600_302600_NS5minusIS5_EEEE10hipError_tPvRmT2_T3_mT4_P12ihipStream_tbEUlmE_S5_EESC_NS0_8identityIvEEEESH_SK_SL_mSM_SO_bEUlT_E_NS1_11comp_targetILNS1_3genE3ELNS1_11target_archE908ELNS1_3gpuE7ELNS1_3repE0EEENS1_30default_config_static_selectorELNS0_4arch9wavefront6targetE1EEEvT1_
                                        ; -- End function
	.section	.AMDGPU.csdata,"",@progbits
; Kernel info:
; codeLenInByte = 0
; NumSgprs: 4
; NumVgprs: 0
; NumAgprs: 0
; TotalNumVgprs: 0
; ScratchSize: 0
; MemoryBound: 0
; FloatMode: 240
; IeeeMode: 1
; LDSByteSize: 0 bytes/workgroup (compile time only)
; SGPRBlocks: 0
; VGPRBlocks: 0
; NumSGPRsForWavesPerEU: 4
; NumVGPRsForWavesPerEU: 1
; AccumOffset: 4
; Occupancy: 8
; WaveLimiterHint : 0
; COMPUTE_PGM_RSRC2:SCRATCH_EN: 0
; COMPUTE_PGM_RSRC2:USER_SGPR: 6
; COMPUTE_PGM_RSRC2:TRAP_HANDLER: 0
; COMPUTE_PGM_RSRC2:TGID_X_EN: 1
; COMPUTE_PGM_RSRC2:TGID_Y_EN: 0
; COMPUTE_PGM_RSRC2:TGID_Z_EN: 0
; COMPUTE_PGM_RSRC2:TIDIG_COMP_CNT: 0
; COMPUTE_PGM_RSRC3_GFX90A:ACCUM_OFFSET: 0
; COMPUTE_PGM_RSRC3_GFX90A:TG_SPLIT: 0
	.section	.text._ZN7rocprim17ROCPRIM_400000_NS6detail17trampoline_kernelINS0_14default_configENS1_25transform_config_selectorI14custom_numericLb0EEEZNS1_14transform_implILb0ES3_S6_NS0_18transform_iteratorINS0_17counting_iteratorImlEEZNS1_24adjacent_difference_implIS3_Lb1ELb0EPS5_SC_N6thrust23THRUST_200600_302600_NS5minusIS5_EEEE10hipError_tPvRmT2_T3_mT4_P12ihipStream_tbEUlmE_S5_EESC_NS0_8identityIvEEEESH_SK_SL_mSM_SO_bEUlT_E_NS1_11comp_targetILNS1_3genE2ELNS1_11target_archE906ELNS1_3gpuE6ELNS1_3repE0EEENS1_30default_config_static_selectorELNS0_4arch9wavefront6targetE1EEEvT1_,"axG",@progbits,_ZN7rocprim17ROCPRIM_400000_NS6detail17trampoline_kernelINS0_14default_configENS1_25transform_config_selectorI14custom_numericLb0EEEZNS1_14transform_implILb0ES3_S6_NS0_18transform_iteratorINS0_17counting_iteratorImlEEZNS1_24adjacent_difference_implIS3_Lb1ELb0EPS5_SC_N6thrust23THRUST_200600_302600_NS5minusIS5_EEEE10hipError_tPvRmT2_T3_mT4_P12ihipStream_tbEUlmE_S5_EESC_NS0_8identityIvEEEESH_SK_SL_mSM_SO_bEUlT_E_NS1_11comp_targetILNS1_3genE2ELNS1_11target_archE906ELNS1_3gpuE6ELNS1_3repE0EEENS1_30default_config_static_selectorELNS0_4arch9wavefront6targetE1EEEvT1_,comdat
	.protected	_ZN7rocprim17ROCPRIM_400000_NS6detail17trampoline_kernelINS0_14default_configENS1_25transform_config_selectorI14custom_numericLb0EEEZNS1_14transform_implILb0ES3_S6_NS0_18transform_iteratorINS0_17counting_iteratorImlEEZNS1_24adjacent_difference_implIS3_Lb1ELb0EPS5_SC_N6thrust23THRUST_200600_302600_NS5minusIS5_EEEE10hipError_tPvRmT2_T3_mT4_P12ihipStream_tbEUlmE_S5_EESC_NS0_8identityIvEEEESH_SK_SL_mSM_SO_bEUlT_E_NS1_11comp_targetILNS1_3genE2ELNS1_11target_archE906ELNS1_3gpuE6ELNS1_3repE0EEENS1_30default_config_static_selectorELNS0_4arch9wavefront6targetE1EEEvT1_ ; -- Begin function _ZN7rocprim17ROCPRIM_400000_NS6detail17trampoline_kernelINS0_14default_configENS1_25transform_config_selectorI14custom_numericLb0EEEZNS1_14transform_implILb0ES3_S6_NS0_18transform_iteratorINS0_17counting_iteratorImlEEZNS1_24adjacent_difference_implIS3_Lb1ELb0EPS5_SC_N6thrust23THRUST_200600_302600_NS5minusIS5_EEEE10hipError_tPvRmT2_T3_mT4_P12ihipStream_tbEUlmE_S5_EESC_NS0_8identityIvEEEESH_SK_SL_mSM_SO_bEUlT_E_NS1_11comp_targetILNS1_3genE2ELNS1_11target_archE906ELNS1_3gpuE6ELNS1_3repE0EEENS1_30default_config_static_selectorELNS0_4arch9wavefront6targetE1EEEvT1_
	.globl	_ZN7rocprim17ROCPRIM_400000_NS6detail17trampoline_kernelINS0_14default_configENS1_25transform_config_selectorI14custom_numericLb0EEEZNS1_14transform_implILb0ES3_S6_NS0_18transform_iteratorINS0_17counting_iteratorImlEEZNS1_24adjacent_difference_implIS3_Lb1ELb0EPS5_SC_N6thrust23THRUST_200600_302600_NS5minusIS5_EEEE10hipError_tPvRmT2_T3_mT4_P12ihipStream_tbEUlmE_S5_EESC_NS0_8identityIvEEEESH_SK_SL_mSM_SO_bEUlT_E_NS1_11comp_targetILNS1_3genE2ELNS1_11target_archE906ELNS1_3gpuE6ELNS1_3repE0EEENS1_30default_config_static_selectorELNS0_4arch9wavefront6targetE1EEEvT1_
	.p2align	8
	.type	_ZN7rocprim17ROCPRIM_400000_NS6detail17trampoline_kernelINS0_14default_configENS1_25transform_config_selectorI14custom_numericLb0EEEZNS1_14transform_implILb0ES3_S6_NS0_18transform_iteratorINS0_17counting_iteratorImlEEZNS1_24adjacent_difference_implIS3_Lb1ELb0EPS5_SC_N6thrust23THRUST_200600_302600_NS5minusIS5_EEEE10hipError_tPvRmT2_T3_mT4_P12ihipStream_tbEUlmE_S5_EESC_NS0_8identityIvEEEESH_SK_SL_mSM_SO_bEUlT_E_NS1_11comp_targetILNS1_3genE2ELNS1_11target_archE906ELNS1_3gpuE6ELNS1_3repE0EEENS1_30default_config_static_selectorELNS0_4arch9wavefront6targetE1EEEvT1_,@function
_ZN7rocprim17ROCPRIM_400000_NS6detail17trampoline_kernelINS0_14default_configENS1_25transform_config_selectorI14custom_numericLb0EEEZNS1_14transform_implILb0ES3_S6_NS0_18transform_iteratorINS0_17counting_iteratorImlEEZNS1_24adjacent_difference_implIS3_Lb1ELb0EPS5_SC_N6thrust23THRUST_200600_302600_NS5minusIS5_EEEE10hipError_tPvRmT2_T3_mT4_P12ihipStream_tbEUlmE_S5_EESC_NS0_8identityIvEEEESH_SK_SL_mSM_SO_bEUlT_E_NS1_11comp_targetILNS1_3genE2ELNS1_11target_archE906ELNS1_3gpuE6ELNS1_3repE0EEENS1_30default_config_static_selectorELNS0_4arch9wavefront6targetE1EEEvT1_: ; @_ZN7rocprim17ROCPRIM_400000_NS6detail17trampoline_kernelINS0_14default_configENS1_25transform_config_selectorI14custom_numericLb0EEEZNS1_14transform_implILb0ES3_S6_NS0_18transform_iteratorINS0_17counting_iteratorImlEEZNS1_24adjacent_difference_implIS3_Lb1ELb0EPS5_SC_N6thrust23THRUST_200600_302600_NS5minusIS5_EEEE10hipError_tPvRmT2_T3_mT4_P12ihipStream_tbEUlmE_S5_EESC_NS0_8identityIvEEEESH_SK_SL_mSM_SO_bEUlT_E_NS1_11comp_targetILNS1_3genE2ELNS1_11target_archE906ELNS1_3gpuE6ELNS1_3repE0EEENS1_30default_config_static_selectorELNS0_4arch9wavefront6targetE1EEEvT1_
; %bb.0:
	.section	.rodata,"a",@progbits
	.p2align	6, 0x0
	.amdhsa_kernel _ZN7rocprim17ROCPRIM_400000_NS6detail17trampoline_kernelINS0_14default_configENS1_25transform_config_selectorI14custom_numericLb0EEEZNS1_14transform_implILb0ES3_S6_NS0_18transform_iteratorINS0_17counting_iteratorImlEEZNS1_24adjacent_difference_implIS3_Lb1ELb0EPS5_SC_N6thrust23THRUST_200600_302600_NS5minusIS5_EEEE10hipError_tPvRmT2_T3_mT4_P12ihipStream_tbEUlmE_S5_EESC_NS0_8identityIvEEEESH_SK_SL_mSM_SO_bEUlT_E_NS1_11comp_targetILNS1_3genE2ELNS1_11target_archE906ELNS1_3gpuE6ELNS1_3repE0EEENS1_30default_config_static_selectorELNS0_4arch9wavefront6targetE1EEEvT1_
		.amdhsa_group_segment_fixed_size 0
		.amdhsa_private_segment_fixed_size 0
		.amdhsa_kernarg_size 56
		.amdhsa_user_sgpr_count 6
		.amdhsa_user_sgpr_private_segment_buffer 1
		.amdhsa_user_sgpr_dispatch_ptr 0
		.amdhsa_user_sgpr_queue_ptr 0
		.amdhsa_user_sgpr_kernarg_segment_ptr 1
		.amdhsa_user_sgpr_dispatch_id 0
		.amdhsa_user_sgpr_flat_scratch_init 0
		.amdhsa_user_sgpr_kernarg_preload_length 0
		.amdhsa_user_sgpr_kernarg_preload_offset 0
		.amdhsa_user_sgpr_private_segment_size 0
		.amdhsa_uses_dynamic_stack 0
		.amdhsa_system_sgpr_private_segment_wavefront_offset 0
		.amdhsa_system_sgpr_workgroup_id_x 1
		.amdhsa_system_sgpr_workgroup_id_y 0
		.amdhsa_system_sgpr_workgroup_id_z 0
		.amdhsa_system_sgpr_workgroup_info 0
		.amdhsa_system_vgpr_workitem_id 0
		.amdhsa_next_free_vgpr 1
		.amdhsa_next_free_sgpr 0
		.amdhsa_accum_offset 4
		.amdhsa_reserve_vcc 0
		.amdhsa_reserve_flat_scratch 0
		.amdhsa_float_round_mode_32 0
		.amdhsa_float_round_mode_16_64 0
		.amdhsa_float_denorm_mode_32 3
		.amdhsa_float_denorm_mode_16_64 3
		.amdhsa_dx10_clamp 1
		.amdhsa_ieee_mode 1
		.amdhsa_fp16_overflow 0
		.amdhsa_tg_split 0
		.amdhsa_exception_fp_ieee_invalid_op 0
		.amdhsa_exception_fp_denorm_src 0
		.amdhsa_exception_fp_ieee_div_zero 0
		.amdhsa_exception_fp_ieee_overflow 0
		.amdhsa_exception_fp_ieee_underflow 0
		.amdhsa_exception_fp_ieee_inexact 0
		.amdhsa_exception_int_div_zero 0
	.end_amdhsa_kernel
	.section	.text._ZN7rocprim17ROCPRIM_400000_NS6detail17trampoline_kernelINS0_14default_configENS1_25transform_config_selectorI14custom_numericLb0EEEZNS1_14transform_implILb0ES3_S6_NS0_18transform_iteratorINS0_17counting_iteratorImlEEZNS1_24adjacent_difference_implIS3_Lb1ELb0EPS5_SC_N6thrust23THRUST_200600_302600_NS5minusIS5_EEEE10hipError_tPvRmT2_T3_mT4_P12ihipStream_tbEUlmE_S5_EESC_NS0_8identityIvEEEESH_SK_SL_mSM_SO_bEUlT_E_NS1_11comp_targetILNS1_3genE2ELNS1_11target_archE906ELNS1_3gpuE6ELNS1_3repE0EEENS1_30default_config_static_selectorELNS0_4arch9wavefront6targetE1EEEvT1_,"axG",@progbits,_ZN7rocprim17ROCPRIM_400000_NS6detail17trampoline_kernelINS0_14default_configENS1_25transform_config_selectorI14custom_numericLb0EEEZNS1_14transform_implILb0ES3_S6_NS0_18transform_iteratorINS0_17counting_iteratorImlEEZNS1_24adjacent_difference_implIS3_Lb1ELb0EPS5_SC_N6thrust23THRUST_200600_302600_NS5minusIS5_EEEE10hipError_tPvRmT2_T3_mT4_P12ihipStream_tbEUlmE_S5_EESC_NS0_8identityIvEEEESH_SK_SL_mSM_SO_bEUlT_E_NS1_11comp_targetILNS1_3genE2ELNS1_11target_archE906ELNS1_3gpuE6ELNS1_3repE0EEENS1_30default_config_static_selectorELNS0_4arch9wavefront6targetE1EEEvT1_,comdat
.Lfunc_end221:
	.size	_ZN7rocprim17ROCPRIM_400000_NS6detail17trampoline_kernelINS0_14default_configENS1_25transform_config_selectorI14custom_numericLb0EEEZNS1_14transform_implILb0ES3_S6_NS0_18transform_iteratorINS0_17counting_iteratorImlEEZNS1_24adjacent_difference_implIS3_Lb1ELb0EPS5_SC_N6thrust23THRUST_200600_302600_NS5minusIS5_EEEE10hipError_tPvRmT2_T3_mT4_P12ihipStream_tbEUlmE_S5_EESC_NS0_8identityIvEEEESH_SK_SL_mSM_SO_bEUlT_E_NS1_11comp_targetILNS1_3genE2ELNS1_11target_archE906ELNS1_3gpuE6ELNS1_3repE0EEENS1_30default_config_static_selectorELNS0_4arch9wavefront6targetE1EEEvT1_, .Lfunc_end221-_ZN7rocprim17ROCPRIM_400000_NS6detail17trampoline_kernelINS0_14default_configENS1_25transform_config_selectorI14custom_numericLb0EEEZNS1_14transform_implILb0ES3_S6_NS0_18transform_iteratorINS0_17counting_iteratorImlEEZNS1_24adjacent_difference_implIS3_Lb1ELb0EPS5_SC_N6thrust23THRUST_200600_302600_NS5minusIS5_EEEE10hipError_tPvRmT2_T3_mT4_P12ihipStream_tbEUlmE_S5_EESC_NS0_8identityIvEEEESH_SK_SL_mSM_SO_bEUlT_E_NS1_11comp_targetILNS1_3genE2ELNS1_11target_archE906ELNS1_3gpuE6ELNS1_3repE0EEENS1_30default_config_static_selectorELNS0_4arch9wavefront6targetE1EEEvT1_
                                        ; -- End function
	.section	.AMDGPU.csdata,"",@progbits
; Kernel info:
; codeLenInByte = 0
; NumSgprs: 4
; NumVgprs: 0
; NumAgprs: 0
; TotalNumVgprs: 0
; ScratchSize: 0
; MemoryBound: 0
; FloatMode: 240
; IeeeMode: 1
; LDSByteSize: 0 bytes/workgroup (compile time only)
; SGPRBlocks: 0
; VGPRBlocks: 0
; NumSGPRsForWavesPerEU: 4
; NumVGPRsForWavesPerEU: 1
; AccumOffset: 4
; Occupancy: 8
; WaveLimiterHint : 0
; COMPUTE_PGM_RSRC2:SCRATCH_EN: 0
; COMPUTE_PGM_RSRC2:USER_SGPR: 6
; COMPUTE_PGM_RSRC2:TRAP_HANDLER: 0
; COMPUTE_PGM_RSRC2:TGID_X_EN: 1
; COMPUTE_PGM_RSRC2:TGID_Y_EN: 0
; COMPUTE_PGM_RSRC2:TGID_Z_EN: 0
; COMPUTE_PGM_RSRC2:TIDIG_COMP_CNT: 0
; COMPUTE_PGM_RSRC3_GFX90A:ACCUM_OFFSET: 0
; COMPUTE_PGM_RSRC3_GFX90A:TG_SPLIT: 0
	.section	.text._ZN7rocprim17ROCPRIM_400000_NS6detail17trampoline_kernelINS0_14default_configENS1_25transform_config_selectorI14custom_numericLb0EEEZNS1_14transform_implILb0ES3_S6_NS0_18transform_iteratorINS0_17counting_iteratorImlEEZNS1_24adjacent_difference_implIS3_Lb1ELb0EPS5_SC_N6thrust23THRUST_200600_302600_NS5minusIS5_EEEE10hipError_tPvRmT2_T3_mT4_P12ihipStream_tbEUlmE_S5_EESC_NS0_8identityIvEEEESH_SK_SL_mSM_SO_bEUlT_E_NS1_11comp_targetILNS1_3genE10ELNS1_11target_archE1201ELNS1_3gpuE5ELNS1_3repE0EEENS1_30default_config_static_selectorELNS0_4arch9wavefront6targetE1EEEvT1_,"axG",@progbits,_ZN7rocprim17ROCPRIM_400000_NS6detail17trampoline_kernelINS0_14default_configENS1_25transform_config_selectorI14custom_numericLb0EEEZNS1_14transform_implILb0ES3_S6_NS0_18transform_iteratorINS0_17counting_iteratorImlEEZNS1_24adjacent_difference_implIS3_Lb1ELb0EPS5_SC_N6thrust23THRUST_200600_302600_NS5minusIS5_EEEE10hipError_tPvRmT2_T3_mT4_P12ihipStream_tbEUlmE_S5_EESC_NS0_8identityIvEEEESH_SK_SL_mSM_SO_bEUlT_E_NS1_11comp_targetILNS1_3genE10ELNS1_11target_archE1201ELNS1_3gpuE5ELNS1_3repE0EEENS1_30default_config_static_selectorELNS0_4arch9wavefront6targetE1EEEvT1_,comdat
	.protected	_ZN7rocprim17ROCPRIM_400000_NS6detail17trampoline_kernelINS0_14default_configENS1_25transform_config_selectorI14custom_numericLb0EEEZNS1_14transform_implILb0ES3_S6_NS0_18transform_iteratorINS0_17counting_iteratorImlEEZNS1_24adjacent_difference_implIS3_Lb1ELb0EPS5_SC_N6thrust23THRUST_200600_302600_NS5minusIS5_EEEE10hipError_tPvRmT2_T3_mT4_P12ihipStream_tbEUlmE_S5_EESC_NS0_8identityIvEEEESH_SK_SL_mSM_SO_bEUlT_E_NS1_11comp_targetILNS1_3genE10ELNS1_11target_archE1201ELNS1_3gpuE5ELNS1_3repE0EEENS1_30default_config_static_selectorELNS0_4arch9wavefront6targetE1EEEvT1_ ; -- Begin function _ZN7rocprim17ROCPRIM_400000_NS6detail17trampoline_kernelINS0_14default_configENS1_25transform_config_selectorI14custom_numericLb0EEEZNS1_14transform_implILb0ES3_S6_NS0_18transform_iteratorINS0_17counting_iteratorImlEEZNS1_24adjacent_difference_implIS3_Lb1ELb0EPS5_SC_N6thrust23THRUST_200600_302600_NS5minusIS5_EEEE10hipError_tPvRmT2_T3_mT4_P12ihipStream_tbEUlmE_S5_EESC_NS0_8identityIvEEEESH_SK_SL_mSM_SO_bEUlT_E_NS1_11comp_targetILNS1_3genE10ELNS1_11target_archE1201ELNS1_3gpuE5ELNS1_3repE0EEENS1_30default_config_static_selectorELNS0_4arch9wavefront6targetE1EEEvT1_
	.globl	_ZN7rocprim17ROCPRIM_400000_NS6detail17trampoline_kernelINS0_14default_configENS1_25transform_config_selectorI14custom_numericLb0EEEZNS1_14transform_implILb0ES3_S6_NS0_18transform_iteratorINS0_17counting_iteratorImlEEZNS1_24adjacent_difference_implIS3_Lb1ELb0EPS5_SC_N6thrust23THRUST_200600_302600_NS5minusIS5_EEEE10hipError_tPvRmT2_T3_mT4_P12ihipStream_tbEUlmE_S5_EESC_NS0_8identityIvEEEESH_SK_SL_mSM_SO_bEUlT_E_NS1_11comp_targetILNS1_3genE10ELNS1_11target_archE1201ELNS1_3gpuE5ELNS1_3repE0EEENS1_30default_config_static_selectorELNS0_4arch9wavefront6targetE1EEEvT1_
	.p2align	8
	.type	_ZN7rocprim17ROCPRIM_400000_NS6detail17trampoline_kernelINS0_14default_configENS1_25transform_config_selectorI14custom_numericLb0EEEZNS1_14transform_implILb0ES3_S6_NS0_18transform_iteratorINS0_17counting_iteratorImlEEZNS1_24adjacent_difference_implIS3_Lb1ELb0EPS5_SC_N6thrust23THRUST_200600_302600_NS5minusIS5_EEEE10hipError_tPvRmT2_T3_mT4_P12ihipStream_tbEUlmE_S5_EESC_NS0_8identityIvEEEESH_SK_SL_mSM_SO_bEUlT_E_NS1_11comp_targetILNS1_3genE10ELNS1_11target_archE1201ELNS1_3gpuE5ELNS1_3repE0EEENS1_30default_config_static_selectorELNS0_4arch9wavefront6targetE1EEEvT1_,@function
_ZN7rocprim17ROCPRIM_400000_NS6detail17trampoline_kernelINS0_14default_configENS1_25transform_config_selectorI14custom_numericLb0EEEZNS1_14transform_implILb0ES3_S6_NS0_18transform_iteratorINS0_17counting_iteratorImlEEZNS1_24adjacent_difference_implIS3_Lb1ELb0EPS5_SC_N6thrust23THRUST_200600_302600_NS5minusIS5_EEEE10hipError_tPvRmT2_T3_mT4_P12ihipStream_tbEUlmE_S5_EESC_NS0_8identityIvEEEESH_SK_SL_mSM_SO_bEUlT_E_NS1_11comp_targetILNS1_3genE10ELNS1_11target_archE1201ELNS1_3gpuE5ELNS1_3repE0EEENS1_30default_config_static_selectorELNS0_4arch9wavefront6targetE1EEEvT1_: ; @_ZN7rocprim17ROCPRIM_400000_NS6detail17trampoline_kernelINS0_14default_configENS1_25transform_config_selectorI14custom_numericLb0EEEZNS1_14transform_implILb0ES3_S6_NS0_18transform_iteratorINS0_17counting_iteratorImlEEZNS1_24adjacent_difference_implIS3_Lb1ELb0EPS5_SC_N6thrust23THRUST_200600_302600_NS5minusIS5_EEEE10hipError_tPvRmT2_T3_mT4_P12ihipStream_tbEUlmE_S5_EESC_NS0_8identityIvEEEESH_SK_SL_mSM_SO_bEUlT_E_NS1_11comp_targetILNS1_3genE10ELNS1_11target_archE1201ELNS1_3gpuE5ELNS1_3repE0EEENS1_30default_config_static_selectorELNS0_4arch9wavefront6targetE1EEEvT1_
; %bb.0:
	.section	.rodata,"a",@progbits
	.p2align	6, 0x0
	.amdhsa_kernel _ZN7rocprim17ROCPRIM_400000_NS6detail17trampoline_kernelINS0_14default_configENS1_25transform_config_selectorI14custom_numericLb0EEEZNS1_14transform_implILb0ES3_S6_NS0_18transform_iteratorINS0_17counting_iteratorImlEEZNS1_24adjacent_difference_implIS3_Lb1ELb0EPS5_SC_N6thrust23THRUST_200600_302600_NS5minusIS5_EEEE10hipError_tPvRmT2_T3_mT4_P12ihipStream_tbEUlmE_S5_EESC_NS0_8identityIvEEEESH_SK_SL_mSM_SO_bEUlT_E_NS1_11comp_targetILNS1_3genE10ELNS1_11target_archE1201ELNS1_3gpuE5ELNS1_3repE0EEENS1_30default_config_static_selectorELNS0_4arch9wavefront6targetE1EEEvT1_
		.amdhsa_group_segment_fixed_size 0
		.amdhsa_private_segment_fixed_size 0
		.amdhsa_kernarg_size 56
		.amdhsa_user_sgpr_count 6
		.amdhsa_user_sgpr_private_segment_buffer 1
		.amdhsa_user_sgpr_dispatch_ptr 0
		.amdhsa_user_sgpr_queue_ptr 0
		.amdhsa_user_sgpr_kernarg_segment_ptr 1
		.amdhsa_user_sgpr_dispatch_id 0
		.amdhsa_user_sgpr_flat_scratch_init 0
		.amdhsa_user_sgpr_kernarg_preload_length 0
		.amdhsa_user_sgpr_kernarg_preload_offset 0
		.amdhsa_user_sgpr_private_segment_size 0
		.amdhsa_uses_dynamic_stack 0
		.amdhsa_system_sgpr_private_segment_wavefront_offset 0
		.amdhsa_system_sgpr_workgroup_id_x 1
		.amdhsa_system_sgpr_workgroup_id_y 0
		.amdhsa_system_sgpr_workgroup_id_z 0
		.amdhsa_system_sgpr_workgroup_info 0
		.amdhsa_system_vgpr_workitem_id 0
		.amdhsa_next_free_vgpr 1
		.amdhsa_next_free_sgpr 0
		.amdhsa_accum_offset 4
		.amdhsa_reserve_vcc 0
		.amdhsa_reserve_flat_scratch 0
		.amdhsa_float_round_mode_32 0
		.amdhsa_float_round_mode_16_64 0
		.amdhsa_float_denorm_mode_32 3
		.amdhsa_float_denorm_mode_16_64 3
		.amdhsa_dx10_clamp 1
		.amdhsa_ieee_mode 1
		.amdhsa_fp16_overflow 0
		.amdhsa_tg_split 0
		.amdhsa_exception_fp_ieee_invalid_op 0
		.amdhsa_exception_fp_denorm_src 0
		.amdhsa_exception_fp_ieee_div_zero 0
		.amdhsa_exception_fp_ieee_overflow 0
		.amdhsa_exception_fp_ieee_underflow 0
		.amdhsa_exception_fp_ieee_inexact 0
		.amdhsa_exception_int_div_zero 0
	.end_amdhsa_kernel
	.section	.text._ZN7rocprim17ROCPRIM_400000_NS6detail17trampoline_kernelINS0_14default_configENS1_25transform_config_selectorI14custom_numericLb0EEEZNS1_14transform_implILb0ES3_S6_NS0_18transform_iteratorINS0_17counting_iteratorImlEEZNS1_24adjacent_difference_implIS3_Lb1ELb0EPS5_SC_N6thrust23THRUST_200600_302600_NS5minusIS5_EEEE10hipError_tPvRmT2_T3_mT4_P12ihipStream_tbEUlmE_S5_EESC_NS0_8identityIvEEEESH_SK_SL_mSM_SO_bEUlT_E_NS1_11comp_targetILNS1_3genE10ELNS1_11target_archE1201ELNS1_3gpuE5ELNS1_3repE0EEENS1_30default_config_static_selectorELNS0_4arch9wavefront6targetE1EEEvT1_,"axG",@progbits,_ZN7rocprim17ROCPRIM_400000_NS6detail17trampoline_kernelINS0_14default_configENS1_25transform_config_selectorI14custom_numericLb0EEEZNS1_14transform_implILb0ES3_S6_NS0_18transform_iteratorINS0_17counting_iteratorImlEEZNS1_24adjacent_difference_implIS3_Lb1ELb0EPS5_SC_N6thrust23THRUST_200600_302600_NS5minusIS5_EEEE10hipError_tPvRmT2_T3_mT4_P12ihipStream_tbEUlmE_S5_EESC_NS0_8identityIvEEEESH_SK_SL_mSM_SO_bEUlT_E_NS1_11comp_targetILNS1_3genE10ELNS1_11target_archE1201ELNS1_3gpuE5ELNS1_3repE0EEENS1_30default_config_static_selectorELNS0_4arch9wavefront6targetE1EEEvT1_,comdat
.Lfunc_end222:
	.size	_ZN7rocprim17ROCPRIM_400000_NS6detail17trampoline_kernelINS0_14default_configENS1_25transform_config_selectorI14custom_numericLb0EEEZNS1_14transform_implILb0ES3_S6_NS0_18transform_iteratorINS0_17counting_iteratorImlEEZNS1_24adjacent_difference_implIS3_Lb1ELb0EPS5_SC_N6thrust23THRUST_200600_302600_NS5minusIS5_EEEE10hipError_tPvRmT2_T3_mT4_P12ihipStream_tbEUlmE_S5_EESC_NS0_8identityIvEEEESH_SK_SL_mSM_SO_bEUlT_E_NS1_11comp_targetILNS1_3genE10ELNS1_11target_archE1201ELNS1_3gpuE5ELNS1_3repE0EEENS1_30default_config_static_selectorELNS0_4arch9wavefront6targetE1EEEvT1_, .Lfunc_end222-_ZN7rocprim17ROCPRIM_400000_NS6detail17trampoline_kernelINS0_14default_configENS1_25transform_config_selectorI14custom_numericLb0EEEZNS1_14transform_implILb0ES3_S6_NS0_18transform_iteratorINS0_17counting_iteratorImlEEZNS1_24adjacent_difference_implIS3_Lb1ELb0EPS5_SC_N6thrust23THRUST_200600_302600_NS5minusIS5_EEEE10hipError_tPvRmT2_T3_mT4_P12ihipStream_tbEUlmE_S5_EESC_NS0_8identityIvEEEESH_SK_SL_mSM_SO_bEUlT_E_NS1_11comp_targetILNS1_3genE10ELNS1_11target_archE1201ELNS1_3gpuE5ELNS1_3repE0EEENS1_30default_config_static_selectorELNS0_4arch9wavefront6targetE1EEEvT1_
                                        ; -- End function
	.section	.AMDGPU.csdata,"",@progbits
; Kernel info:
; codeLenInByte = 0
; NumSgprs: 4
; NumVgprs: 0
; NumAgprs: 0
; TotalNumVgprs: 0
; ScratchSize: 0
; MemoryBound: 0
; FloatMode: 240
; IeeeMode: 1
; LDSByteSize: 0 bytes/workgroup (compile time only)
; SGPRBlocks: 0
; VGPRBlocks: 0
; NumSGPRsForWavesPerEU: 4
; NumVGPRsForWavesPerEU: 1
; AccumOffset: 4
; Occupancy: 8
; WaveLimiterHint : 0
; COMPUTE_PGM_RSRC2:SCRATCH_EN: 0
; COMPUTE_PGM_RSRC2:USER_SGPR: 6
; COMPUTE_PGM_RSRC2:TRAP_HANDLER: 0
; COMPUTE_PGM_RSRC2:TGID_X_EN: 1
; COMPUTE_PGM_RSRC2:TGID_Y_EN: 0
; COMPUTE_PGM_RSRC2:TGID_Z_EN: 0
; COMPUTE_PGM_RSRC2:TIDIG_COMP_CNT: 0
; COMPUTE_PGM_RSRC3_GFX90A:ACCUM_OFFSET: 0
; COMPUTE_PGM_RSRC3_GFX90A:TG_SPLIT: 0
	.section	.text._ZN7rocprim17ROCPRIM_400000_NS6detail17trampoline_kernelINS0_14default_configENS1_25transform_config_selectorI14custom_numericLb0EEEZNS1_14transform_implILb0ES3_S6_NS0_18transform_iteratorINS0_17counting_iteratorImlEEZNS1_24adjacent_difference_implIS3_Lb1ELb0EPS5_SC_N6thrust23THRUST_200600_302600_NS5minusIS5_EEEE10hipError_tPvRmT2_T3_mT4_P12ihipStream_tbEUlmE_S5_EESC_NS0_8identityIvEEEESH_SK_SL_mSM_SO_bEUlT_E_NS1_11comp_targetILNS1_3genE10ELNS1_11target_archE1200ELNS1_3gpuE4ELNS1_3repE0EEENS1_30default_config_static_selectorELNS0_4arch9wavefront6targetE1EEEvT1_,"axG",@progbits,_ZN7rocprim17ROCPRIM_400000_NS6detail17trampoline_kernelINS0_14default_configENS1_25transform_config_selectorI14custom_numericLb0EEEZNS1_14transform_implILb0ES3_S6_NS0_18transform_iteratorINS0_17counting_iteratorImlEEZNS1_24adjacent_difference_implIS3_Lb1ELb0EPS5_SC_N6thrust23THRUST_200600_302600_NS5minusIS5_EEEE10hipError_tPvRmT2_T3_mT4_P12ihipStream_tbEUlmE_S5_EESC_NS0_8identityIvEEEESH_SK_SL_mSM_SO_bEUlT_E_NS1_11comp_targetILNS1_3genE10ELNS1_11target_archE1200ELNS1_3gpuE4ELNS1_3repE0EEENS1_30default_config_static_selectorELNS0_4arch9wavefront6targetE1EEEvT1_,comdat
	.protected	_ZN7rocprim17ROCPRIM_400000_NS6detail17trampoline_kernelINS0_14default_configENS1_25transform_config_selectorI14custom_numericLb0EEEZNS1_14transform_implILb0ES3_S6_NS0_18transform_iteratorINS0_17counting_iteratorImlEEZNS1_24adjacent_difference_implIS3_Lb1ELb0EPS5_SC_N6thrust23THRUST_200600_302600_NS5minusIS5_EEEE10hipError_tPvRmT2_T3_mT4_P12ihipStream_tbEUlmE_S5_EESC_NS0_8identityIvEEEESH_SK_SL_mSM_SO_bEUlT_E_NS1_11comp_targetILNS1_3genE10ELNS1_11target_archE1200ELNS1_3gpuE4ELNS1_3repE0EEENS1_30default_config_static_selectorELNS0_4arch9wavefront6targetE1EEEvT1_ ; -- Begin function _ZN7rocprim17ROCPRIM_400000_NS6detail17trampoline_kernelINS0_14default_configENS1_25transform_config_selectorI14custom_numericLb0EEEZNS1_14transform_implILb0ES3_S6_NS0_18transform_iteratorINS0_17counting_iteratorImlEEZNS1_24adjacent_difference_implIS3_Lb1ELb0EPS5_SC_N6thrust23THRUST_200600_302600_NS5minusIS5_EEEE10hipError_tPvRmT2_T3_mT4_P12ihipStream_tbEUlmE_S5_EESC_NS0_8identityIvEEEESH_SK_SL_mSM_SO_bEUlT_E_NS1_11comp_targetILNS1_3genE10ELNS1_11target_archE1200ELNS1_3gpuE4ELNS1_3repE0EEENS1_30default_config_static_selectorELNS0_4arch9wavefront6targetE1EEEvT1_
	.globl	_ZN7rocprim17ROCPRIM_400000_NS6detail17trampoline_kernelINS0_14default_configENS1_25transform_config_selectorI14custom_numericLb0EEEZNS1_14transform_implILb0ES3_S6_NS0_18transform_iteratorINS0_17counting_iteratorImlEEZNS1_24adjacent_difference_implIS3_Lb1ELb0EPS5_SC_N6thrust23THRUST_200600_302600_NS5minusIS5_EEEE10hipError_tPvRmT2_T3_mT4_P12ihipStream_tbEUlmE_S5_EESC_NS0_8identityIvEEEESH_SK_SL_mSM_SO_bEUlT_E_NS1_11comp_targetILNS1_3genE10ELNS1_11target_archE1200ELNS1_3gpuE4ELNS1_3repE0EEENS1_30default_config_static_selectorELNS0_4arch9wavefront6targetE1EEEvT1_
	.p2align	8
	.type	_ZN7rocprim17ROCPRIM_400000_NS6detail17trampoline_kernelINS0_14default_configENS1_25transform_config_selectorI14custom_numericLb0EEEZNS1_14transform_implILb0ES3_S6_NS0_18transform_iteratorINS0_17counting_iteratorImlEEZNS1_24adjacent_difference_implIS3_Lb1ELb0EPS5_SC_N6thrust23THRUST_200600_302600_NS5minusIS5_EEEE10hipError_tPvRmT2_T3_mT4_P12ihipStream_tbEUlmE_S5_EESC_NS0_8identityIvEEEESH_SK_SL_mSM_SO_bEUlT_E_NS1_11comp_targetILNS1_3genE10ELNS1_11target_archE1200ELNS1_3gpuE4ELNS1_3repE0EEENS1_30default_config_static_selectorELNS0_4arch9wavefront6targetE1EEEvT1_,@function
_ZN7rocprim17ROCPRIM_400000_NS6detail17trampoline_kernelINS0_14default_configENS1_25transform_config_selectorI14custom_numericLb0EEEZNS1_14transform_implILb0ES3_S6_NS0_18transform_iteratorINS0_17counting_iteratorImlEEZNS1_24adjacent_difference_implIS3_Lb1ELb0EPS5_SC_N6thrust23THRUST_200600_302600_NS5minusIS5_EEEE10hipError_tPvRmT2_T3_mT4_P12ihipStream_tbEUlmE_S5_EESC_NS0_8identityIvEEEESH_SK_SL_mSM_SO_bEUlT_E_NS1_11comp_targetILNS1_3genE10ELNS1_11target_archE1200ELNS1_3gpuE4ELNS1_3repE0EEENS1_30default_config_static_selectorELNS0_4arch9wavefront6targetE1EEEvT1_: ; @_ZN7rocprim17ROCPRIM_400000_NS6detail17trampoline_kernelINS0_14default_configENS1_25transform_config_selectorI14custom_numericLb0EEEZNS1_14transform_implILb0ES3_S6_NS0_18transform_iteratorINS0_17counting_iteratorImlEEZNS1_24adjacent_difference_implIS3_Lb1ELb0EPS5_SC_N6thrust23THRUST_200600_302600_NS5minusIS5_EEEE10hipError_tPvRmT2_T3_mT4_P12ihipStream_tbEUlmE_S5_EESC_NS0_8identityIvEEEESH_SK_SL_mSM_SO_bEUlT_E_NS1_11comp_targetILNS1_3genE10ELNS1_11target_archE1200ELNS1_3gpuE4ELNS1_3repE0EEENS1_30default_config_static_selectorELNS0_4arch9wavefront6targetE1EEEvT1_
; %bb.0:
	.section	.rodata,"a",@progbits
	.p2align	6, 0x0
	.amdhsa_kernel _ZN7rocprim17ROCPRIM_400000_NS6detail17trampoline_kernelINS0_14default_configENS1_25transform_config_selectorI14custom_numericLb0EEEZNS1_14transform_implILb0ES3_S6_NS0_18transform_iteratorINS0_17counting_iteratorImlEEZNS1_24adjacent_difference_implIS3_Lb1ELb0EPS5_SC_N6thrust23THRUST_200600_302600_NS5minusIS5_EEEE10hipError_tPvRmT2_T3_mT4_P12ihipStream_tbEUlmE_S5_EESC_NS0_8identityIvEEEESH_SK_SL_mSM_SO_bEUlT_E_NS1_11comp_targetILNS1_3genE10ELNS1_11target_archE1200ELNS1_3gpuE4ELNS1_3repE0EEENS1_30default_config_static_selectorELNS0_4arch9wavefront6targetE1EEEvT1_
		.amdhsa_group_segment_fixed_size 0
		.amdhsa_private_segment_fixed_size 0
		.amdhsa_kernarg_size 56
		.amdhsa_user_sgpr_count 6
		.amdhsa_user_sgpr_private_segment_buffer 1
		.amdhsa_user_sgpr_dispatch_ptr 0
		.amdhsa_user_sgpr_queue_ptr 0
		.amdhsa_user_sgpr_kernarg_segment_ptr 1
		.amdhsa_user_sgpr_dispatch_id 0
		.amdhsa_user_sgpr_flat_scratch_init 0
		.amdhsa_user_sgpr_kernarg_preload_length 0
		.amdhsa_user_sgpr_kernarg_preload_offset 0
		.amdhsa_user_sgpr_private_segment_size 0
		.amdhsa_uses_dynamic_stack 0
		.amdhsa_system_sgpr_private_segment_wavefront_offset 0
		.amdhsa_system_sgpr_workgroup_id_x 1
		.amdhsa_system_sgpr_workgroup_id_y 0
		.amdhsa_system_sgpr_workgroup_id_z 0
		.amdhsa_system_sgpr_workgroup_info 0
		.amdhsa_system_vgpr_workitem_id 0
		.amdhsa_next_free_vgpr 1
		.amdhsa_next_free_sgpr 0
		.amdhsa_accum_offset 4
		.amdhsa_reserve_vcc 0
		.amdhsa_reserve_flat_scratch 0
		.amdhsa_float_round_mode_32 0
		.amdhsa_float_round_mode_16_64 0
		.amdhsa_float_denorm_mode_32 3
		.amdhsa_float_denorm_mode_16_64 3
		.amdhsa_dx10_clamp 1
		.amdhsa_ieee_mode 1
		.amdhsa_fp16_overflow 0
		.amdhsa_tg_split 0
		.amdhsa_exception_fp_ieee_invalid_op 0
		.amdhsa_exception_fp_denorm_src 0
		.amdhsa_exception_fp_ieee_div_zero 0
		.amdhsa_exception_fp_ieee_overflow 0
		.amdhsa_exception_fp_ieee_underflow 0
		.amdhsa_exception_fp_ieee_inexact 0
		.amdhsa_exception_int_div_zero 0
	.end_amdhsa_kernel
	.section	.text._ZN7rocprim17ROCPRIM_400000_NS6detail17trampoline_kernelINS0_14default_configENS1_25transform_config_selectorI14custom_numericLb0EEEZNS1_14transform_implILb0ES3_S6_NS0_18transform_iteratorINS0_17counting_iteratorImlEEZNS1_24adjacent_difference_implIS3_Lb1ELb0EPS5_SC_N6thrust23THRUST_200600_302600_NS5minusIS5_EEEE10hipError_tPvRmT2_T3_mT4_P12ihipStream_tbEUlmE_S5_EESC_NS0_8identityIvEEEESH_SK_SL_mSM_SO_bEUlT_E_NS1_11comp_targetILNS1_3genE10ELNS1_11target_archE1200ELNS1_3gpuE4ELNS1_3repE0EEENS1_30default_config_static_selectorELNS0_4arch9wavefront6targetE1EEEvT1_,"axG",@progbits,_ZN7rocprim17ROCPRIM_400000_NS6detail17trampoline_kernelINS0_14default_configENS1_25transform_config_selectorI14custom_numericLb0EEEZNS1_14transform_implILb0ES3_S6_NS0_18transform_iteratorINS0_17counting_iteratorImlEEZNS1_24adjacent_difference_implIS3_Lb1ELb0EPS5_SC_N6thrust23THRUST_200600_302600_NS5minusIS5_EEEE10hipError_tPvRmT2_T3_mT4_P12ihipStream_tbEUlmE_S5_EESC_NS0_8identityIvEEEESH_SK_SL_mSM_SO_bEUlT_E_NS1_11comp_targetILNS1_3genE10ELNS1_11target_archE1200ELNS1_3gpuE4ELNS1_3repE0EEENS1_30default_config_static_selectorELNS0_4arch9wavefront6targetE1EEEvT1_,comdat
.Lfunc_end223:
	.size	_ZN7rocprim17ROCPRIM_400000_NS6detail17trampoline_kernelINS0_14default_configENS1_25transform_config_selectorI14custom_numericLb0EEEZNS1_14transform_implILb0ES3_S6_NS0_18transform_iteratorINS0_17counting_iteratorImlEEZNS1_24adjacent_difference_implIS3_Lb1ELb0EPS5_SC_N6thrust23THRUST_200600_302600_NS5minusIS5_EEEE10hipError_tPvRmT2_T3_mT4_P12ihipStream_tbEUlmE_S5_EESC_NS0_8identityIvEEEESH_SK_SL_mSM_SO_bEUlT_E_NS1_11comp_targetILNS1_3genE10ELNS1_11target_archE1200ELNS1_3gpuE4ELNS1_3repE0EEENS1_30default_config_static_selectorELNS0_4arch9wavefront6targetE1EEEvT1_, .Lfunc_end223-_ZN7rocprim17ROCPRIM_400000_NS6detail17trampoline_kernelINS0_14default_configENS1_25transform_config_selectorI14custom_numericLb0EEEZNS1_14transform_implILb0ES3_S6_NS0_18transform_iteratorINS0_17counting_iteratorImlEEZNS1_24adjacent_difference_implIS3_Lb1ELb0EPS5_SC_N6thrust23THRUST_200600_302600_NS5minusIS5_EEEE10hipError_tPvRmT2_T3_mT4_P12ihipStream_tbEUlmE_S5_EESC_NS0_8identityIvEEEESH_SK_SL_mSM_SO_bEUlT_E_NS1_11comp_targetILNS1_3genE10ELNS1_11target_archE1200ELNS1_3gpuE4ELNS1_3repE0EEENS1_30default_config_static_selectorELNS0_4arch9wavefront6targetE1EEEvT1_
                                        ; -- End function
	.section	.AMDGPU.csdata,"",@progbits
; Kernel info:
; codeLenInByte = 0
; NumSgprs: 4
; NumVgprs: 0
; NumAgprs: 0
; TotalNumVgprs: 0
; ScratchSize: 0
; MemoryBound: 0
; FloatMode: 240
; IeeeMode: 1
; LDSByteSize: 0 bytes/workgroup (compile time only)
; SGPRBlocks: 0
; VGPRBlocks: 0
; NumSGPRsForWavesPerEU: 4
; NumVGPRsForWavesPerEU: 1
; AccumOffset: 4
; Occupancy: 8
; WaveLimiterHint : 0
; COMPUTE_PGM_RSRC2:SCRATCH_EN: 0
; COMPUTE_PGM_RSRC2:USER_SGPR: 6
; COMPUTE_PGM_RSRC2:TRAP_HANDLER: 0
; COMPUTE_PGM_RSRC2:TGID_X_EN: 1
; COMPUTE_PGM_RSRC2:TGID_Y_EN: 0
; COMPUTE_PGM_RSRC2:TGID_Z_EN: 0
; COMPUTE_PGM_RSRC2:TIDIG_COMP_CNT: 0
; COMPUTE_PGM_RSRC3_GFX90A:ACCUM_OFFSET: 0
; COMPUTE_PGM_RSRC3_GFX90A:TG_SPLIT: 0
	.section	.text._ZN7rocprim17ROCPRIM_400000_NS6detail17trampoline_kernelINS0_14default_configENS1_25transform_config_selectorI14custom_numericLb0EEEZNS1_14transform_implILb0ES3_S6_NS0_18transform_iteratorINS0_17counting_iteratorImlEEZNS1_24adjacent_difference_implIS3_Lb1ELb0EPS5_SC_N6thrust23THRUST_200600_302600_NS5minusIS5_EEEE10hipError_tPvRmT2_T3_mT4_P12ihipStream_tbEUlmE_S5_EESC_NS0_8identityIvEEEESH_SK_SL_mSM_SO_bEUlT_E_NS1_11comp_targetILNS1_3genE9ELNS1_11target_archE1100ELNS1_3gpuE3ELNS1_3repE0EEENS1_30default_config_static_selectorELNS0_4arch9wavefront6targetE1EEEvT1_,"axG",@progbits,_ZN7rocprim17ROCPRIM_400000_NS6detail17trampoline_kernelINS0_14default_configENS1_25transform_config_selectorI14custom_numericLb0EEEZNS1_14transform_implILb0ES3_S6_NS0_18transform_iteratorINS0_17counting_iteratorImlEEZNS1_24adjacent_difference_implIS3_Lb1ELb0EPS5_SC_N6thrust23THRUST_200600_302600_NS5minusIS5_EEEE10hipError_tPvRmT2_T3_mT4_P12ihipStream_tbEUlmE_S5_EESC_NS0_8identityIvEEEESH_SK_SL_mSM_SO_bEUlT_E_NS1_11comp_targetILNS1_3genE9ELNS1_11target_archE1100ELNS1_3gpuE3ELNS1_3repE0EEENS1_30default_config_static_selectorELNS0_4arch9wavefront6targetE1EEEvT1_,comdat
	.protected	_ZN7rocprim17ROCPRIM_400000_NS6detail17trampoline_kernelINS0_14default_configENS1_25transform_config_selectorI14custom_numericLb0EEEZNS1_14transform_implILb0ES3_S6_NS0_18transform_iteratorINS0_17counting_iteratorImlEEZNS1_24adjacent_difference_implIS3_Lb1ELb0EPS5_SC_N6thrust23THRUST_200600_302600_NS5minusIS5_EEEE10hipError_tPvRmT2_T3_mT4_P12ihipStream_tbEUlmE_S5_EESC_NS0_8identityIvEEEESH_SK_SL_mSM_SO_bEUlT_E_NS1_11comp_targetILNS1_3genE9ELNS1_11target_archE1100ELNS1_3gpuE3ELNS1_3repE0EEENS1_30default_config_static_selectorELNS0_4arch9wavefront6targetE1EEEvT1_ ; -- Begin function _ZN7rocprim17ROCPRIM_400000_NS6detail17trampoline_kernelINS0_14default_configENS1_25transform_config_selectorI14custom_numericLb0EEEZNS1_14transform_implILb0ES3_S6_NS0_18transform_iteratorINS0_17counting_iteratorImlEEZNS1_24adjacent_difference_implIS3_Lb1ELb0EPS5_SC_N6thrust23THRUST_200600_302600_NS5minusIS5_EEEE10hipError_tPvRmT2_T3_mT4_P12ihipStream_tbEUlmE_S5_EESC_NS0_8identityIvEEEESH_SK_SL_mSM_SO_bEUlT_E_NS1_11comp_targetILNS1_3genE9ELNS1_11target_archE1100ELNS1_3gpuE3ELNS1_3repE0EEENS1_30default_config_static_selectorELNS0_4arch9wavefront6targetE1EEEvT1_
	.globl	_ZN7rocprim17ROCPRIM_400000_NS6detail17trampoline_kernelINS0_14default_configENS1_25transform_config_selectorI14custom_numericLb0EEEZNS1_14transform_implILb0ES3_S6_NS0_18transform_iteratorINS0_17counting_iteratorImlEEZNS1_24adjacent_difference_implIS3_Lb1ELb0EPS5_SC_N6thrust23THRUST_200600_302600_NS5minusIS5_EEEE10hipError_tPvRmT2_T3_mT4_P12ihipStream_tbEUlmE_S5_EESC_NS0_8identityIvEEEESH_SK_SL_mSM_SO_bEUlT_E_NS1_11comp_targetILNS1_3genE9ELNS1_11target_archE1100ELNS1_3gpuE3ELNS1_3repE0EEENS1_30default_config_static_selectorELNS0_4arch9wavefront6targetE1EEEvT1_
	.p2align	8
	.type	_ZN7rocprim17ROCPRIM_400000_NS6detail17trampoline_kernelINS0_14default_configENS1_25transform_config_selectorI14custom_numericLb0EEEZNS1_14transform_implILb0ES3_S6_NS0_18transform_iteratorINS0_17counting_iteratorImlEEZNS1_24adjacent_difference_implIS3_Lb1ELb0EPS5_SC_N6thrust23THRUST_200600_302600_NS5minusIS5_EEEE10hipError_tPvRmT2_T3_mT4_P12ihipStream_tbEUlmE_S5_EESC_NS0_8identityIvEEEESH_SK_SL_mSM_SO_bEUlT_E_NS1_11comp_targetILNS1_3genE9ELNS1_11target_archE1100ELNS1_3gpuE3ELNS1_3repE0EEENS1_30default_config_static_selectorELNS0_4arch9wavefront6targetE1EEEvT1_,@function
_ZN7rocprim17ROCPRIM_400000_NS6detail17trampoline_kernelINS0_14default_configENS1_25transform_config_selectorI14custom_numericLb0EEEZNS1_14transform_implILb0ES3_S6_NS0_18transform_iteratorINS0_17counting_iteratorImlEEZNS1_24adjacent_difference_implIS3_Lb1ELb0EPS5_SC_N6thrust23THRUST_200600_302600_NS5minusIS5_EEEE10hipError_tPvRmT2_T3_mT4_P12ihipStream_tbEUlmE_S5_EESC_NS0_8identityIvEEEESH_SK_SL_mSM_SO_bEUlT_E_NS1_11comp_targetILNS1_3genE9ELNS1_11target_archE1100ELNS1_3gpuE3ELNS1_3repE0EEENS1_30default_config_static_selectorELNS0_4arch9wavefront6targetE1EEEvT1_: ; @_ZN7rocprim17ROCPRIM_400000_NS6detail17trampoline_kernelINS0_14default_configENS1_25transform_config_selectorI14custom_numericLb0EEEZNS1_14transform_implILb0ES3_S6_NS0_18transform_iteratorINS0_17counting_iteratorImlEEZNS1_24adjacent_difference_implIS3_Lb1ELb0EPS5_SC_N6thrust23THRUST_200600_302600_NS5minusIS5_EEEE10hipError_tPvRmT2_T3_mT4_P12ihipStream_tbEUlmE_S5_EESC_NS0_8identityIvEEEESH_SK_SL_mSM_SO_bEUlT_E_NS1_11comp_targetILNS1_3genE9ELNS1_11target_archE1100ELNS1_3gpuE3ELNS1_3repE0EEENS1_30default_config_static_selectorELNS0_4arch9wavefront6targetE1EEEvT1_
; %bb.0:
	.section	.rodata,"a",@progbits
	.p2align	6, 0x0
	.amdhsa_kernel _ZN7rocprim17ROCPRIM_400000_NS6detail17trampoline_kernelINS0_14default_configENS1_25transform_config_selectorI14custom_numericLb0EEEZNS1_14transform_implILb0ES3_S6_NS0_18transform_iteratorINS0_17counting_iteratorImlEEZNS1_24adjacent_difference_implIS3_Lb1ELb0EPS5_SC_N6thrust23THRUST_200600_302600_NS5minusIS5_EEEE10hipError_tPvRmT2_T3_mT4_P12ihipStream_tbEUlmE_S5_EESC_NS0_8identityIvEEEESH_SK_SL_mSM_SO_bEUlT_E_NS1_11comp_targetILNS1_3genE9ELNS1_11target_archE1100ELNS1_3gpuE3ELNS1_3repE0EEENS1_30default_config_static_selectorELNS0_4arch9wavefront6targetE1EEEvT1_
		.amdhsa_group_segment_fixed_size 0
		.amdhsa_private_segment_fixed_size 0
		.amdhsa_kernarg_size 56
		.amdhsa_user_sgpr_count 6
		.amdhsa_user_sgpr_private_segment_buffer 1
		.amdhsa_user_sgpr_dispatch_ptr 0
		.amdhsa_user_sgpr_queue_ptr 0
		.amdhsa_user_sgpr_kernarg_segment_ptr 1
		.amdhsa_user_sgpr_dispatch_id 0
		.amdhsa_user_sgpr_flat_scratch_init 0
		.amdhsa_user_sgpr_kernarg_preload_length 0
		.amdhsa_user_sgpr_kernarg_preload_offset 0
		.amdhsa_user_sgpr_private_segment_size 0
		.amdhsa_uses_dynamic_stack 0
		.amdhsa_system_sgpr_private_segment_wavefront_offset 0
		.amdhsa_system_sgpr_workgroup_id_x 1
		.amdhsa_system_sgpr_workgroup_id_y 0
		.amdhsa_system_sgpr_workgroup_id_z 0
		.amdhsa_system_sgpr_workgroup_info 0
		.amdhsa_system_vgpr_workitem_id 0
		.amdhsa_next_free_vgpr 1
		.amdhsa_next_free_sgpr 0
		.amdhsa_accum_offset 4
		.amdhsa_reserve_vcc 0
		.amdhsa_reserve_flat_scratch 0
		.amdhsa_float_round_mode_32 0
		.amdhsa_float_round_mode_16_64 0
		.amdhsa_float_denorm_mode_32 3
		.amdhsa_float_denorm_mode_16_64 3
		.amdhsa_dx10_clamp 1
		.amdhsa_ieee_mode 1
		.amdhsa_fp16_overflow 0
		.amdhsa_tg_split 0
		.amdhsa_exception_fp_ieee_invalid_op 0
		.amdhsa_exception_fp_denorm_src 0
		.amdhsa_exception_fp_ieee_div_zero 0
		.amdhsa_exception_fp_ieee_overflow 0
		.amdhsa_exception_fp_ieee_underflow 0
		.amdhsa_exception_fp_ieee_inexact 0
		.amdhsa_exception_int_div_zero 0
	.end_amdhsa_kernel
	.section	.text._ZN7rocprim17ROCPRIM_400000_NS6detail17trampoline_kernelINS0_14default_configENS1_25transform_config_selectorI14custom_numericLb0EEEZNS1_14transform_implILb0ES3_S6_NS0_18transform_iteratorINS0_17counting_iteratorImlEEZNS1_24adjacent_difference_implIS3_Lb1ELb0EPS5_SC_N6thrust23THRUST_200600_302600_NS5minusIS5_EEEE10hipError_tPvRmT2_T3_mT4_P12ihipStream_tbEUlmE_S5_EESC_NS0_8identityIvEEEESH_SK_SL_mSM_SO_bEUlT_E_NS1_11comp_targetILNS1_3genE9ELNS1_11target_archE1100ELNS1_3gpuE3ELNS1_3repE0EEENS1_30default_config_static_selectorELNS0_4arch9wavefront6targetE1EEEvT1_,"axG",@progbits,_ZN7rocprim17ROCPRIM_400000_NS6detail17trampoline_kernelINS0_14default_configENS1_25transform_config_selectorI14custom_numericLb0EEEZNS1_14transform_implILb0ES3_S6_NS0_18transform_iteratorINS0_17counting_iteratorImlEEZNS1_24adjacent_difference_implIS3_Lb1ELb0EPS5_SC_N6thrust23THRUST_200600_302600_NS5minusIS5_EEEE10hipError_tPvRmT2_T3_mT4_P12ihipStream_tbEUlmE_S5_EESC_NS0_8identityIvEEEESH_SK_SL_mSM_SO_bEUlT_E_NS1_11comp_targetILNS1_3genE9ELNS1_11target_archE1100ELNS1_3gpuE3ELNS1_3repE0EEENS1_30default_config_static_selectorELNS0_4arch9wavefront6targetE1EEEvT1_,comdat
.Lfunc_end224:
	.size	_ZN7rocprim17ROCPRIM_400000_NS6detail17trampoline_kernelINS0_14default_configENS1_25transform_config_selectorI14custom_numericLb0EEEZNS1_14transform_implILb0ES3_S6_NS0_18transform_iteratorINS0_17counting_iteratorImlEEZNS1_24adjacent_difference_implIS3_Lb1ELb0EPS5_SC_N6thrust23THRUST_200600_302600_NS5minusIS5_EEEE10hipError_tPvRmT2_T3_mT4_P12ihipStream_tbEUlmE_S5_EESC_NS0_8identityIvEEEESH_SK_SL_mSM_SO_bEUlT_E_NS1_11comp_targetILNS1_3genE9ELNS1_11target_archE1100ELNS1_3gpuE3ELNS1_3repE0EEENS1_30default_config_static_selectorELNS0_4arch9wavefront6targetE1EEEvT1_, .Lfunc_end224-_ZN7rocprim17ROCPRIM_400000_NS6detail17trampoline_kernelINS0_14default_configENS1_25transform_config_selectorI14custom_numericLb0EEEZNS1_14transform_implILb0ES3_S6_NS0_18transform_iteratorINS0_17counting_iteratorImlEEZNS1_24adjacent_difference_implIS3_Lb1ELb0EPS5_SC_N6thrust23THRUST_200600_302600_NS5minusIS5_EEEE10hipError_tPvRmT2_T3_mT4_P12ihipStream_tbEUlmE_S5_EESC_NS0_8identityIvEEEESH_SK_SL_mSM_SO_bEUlT_E_NS1_11comp_targetILNS1_3genE9ELNS1_11target_archE1100ELNS1_3gpuE3ELNS1_3repE0EEENS1_30default_config_static_selectorELNS0_4arch9wavefront6targetE1EEEvT1_
                                        ; -- End function
	.section	.AMDGPU.csdata,"",@progbits
; Kernel info:
; codeLenInByte = 0
; NumSgprs: 4
; NumVgprs: 0
; NumAgprs: 0
; TotalNumVgprs: 0
; ScratchSize: 0
; MemoryBound: 0
; FloatMode: 240
; IeeeMode: 1
; LDSByteSize: 0 bytes/workgroup (compile time only)
; SGPRBlocks: 0
; VGPRBlocks: 0
; NumSGPRsForWavesPerEU: 4
; NumVGPRsForWavesPerEU: 1
; AccumOffset: 4
; Occupancy: 8
; WaveLimiterHint : 0
; COMPUTE_PGM_RSRC2:SCRATCH_EN: 0
; COMPUTE_PGM_RSRC2:USER_SGPR: 6
; COMPUTE_PGM_RSRC2:TRAP_HANDLER: 0
; COMPUTE_PGM_RSRC2:TGID_X_EN: 1
; COMPUTE_PGM_RSRC2:TGID_Y_EN: 0
; COMPUTE_PGM_RSRC2:TGID_Z_EN: 0
; COMPUTE_PGM_RSRC2:TIDIG_COMP_CNT: 0
; COMPUTE_PGM_RSRC3_GFX90A:ACCUM_OFFSET: 0
; COMPUTE_PGM_RSRC3_GFX90A:TG_SPLIT: 0
	.section	.text._ZN7rocprim17ROCPRIM_400000_NS6detail17trampoline_kernelINS0_14default_configENS1_25transform_config_selectorI14custom_numericLb0EEEZNS1_14transform_implILb0ES3_S6_NS0_18transform_iteratorINS0_17counting_iteratorImlEEZNS1_24adjacent_difference_implIS3_Lb1ELb0EPS5_SC_N6thrust23THRUST_200600_302600_NS5minusIS5_EEEE10hipError_tPvRmT2_T3_mT4_P12ihipStream_tbEUlmE_S5_EESC_NS0_8identityIvEEEESH_SK_SL_mSM_SO_bEUlT_E_NS1_11comp_targetILNS1_3genE8ELNS1_11target_archE1030ELNS1_3gpuE2ELNS1_3repE0EEENS1_30default_config_static_selectorELNS0_4arch9wavefront6targetE1EEEvT1_,"axG",@progbits,_ZN7rocprim17ROCPRIM_400000_NS6detail17trampoline_kernelINS0_14default_configENS1_25transform_config_selectorI14custom_numericLb0EEEZNS1_14transform_implILb0ES3_S6_NS0_18transform_iteratorINS0_17counting_iteratorImlEEZNS1_24adjacent_difference_implIS3_Lb1ELb0EPS5_SC_N6thrust23THRUST_200600_302600_NS5minusIS5_EEEE10hipError_tPvRmT2_T3_mT4_P12ihipStream_tbEUlmE_S5_EESC_NS0_8identityIvEEEESH_SK_SL_mSM_SO_bEUlT_E_NS1_11comp_targetILNS1_3genE8ELNS1_11target_archE1030ELNS1_3gpuE2ELNS1_3repE0EEENS1_30default_config_static_selectorELNS0_4arch9wavefront6targetE1EEEvT1_,comdat
	.protected	_ZN7rocprim17ROCPRIM_400000_NS6detail17trampoline_kernelINS0_14default_configENS1_25transform_config_selectorI14custom_numericLb0EEEZNS1_14transform_implILb0ES3_S6_NS0_18transform_iteratorINS0_17counting_iteratorImlEEZNS1_24adjacent_difference_implIS3_Lb1ELb0EPS5_SC_N6thrust23THRUST_200600_302600_NS5minusIS5_EEEE10hipError_tPvRmT2_T3_mT4_P12ihipStream_tbEUlmE_S5_EESC_NS0_8identityIvEEEESH_SK_SL_mSM_SO_bEUlT_E_NS1_11comp_targetILNS1_3genE8ELNS1_11target_archE1030ELNS1_3gpuE2ELNS1_3repE0EEENS1_30default_config_static_selectorELNS0_4arch9wavefront6targetE1EEEvT1_ ; -- Begin function _ZN7rocprim17ROCPRIM_400000_NS6detail17trampoline_kernelINS0_14default_configENS1_25transform_config_selectorI14custom_numericLb0EEEZNS1_14transform_implILb0ES3_S6_NS0_18transform_iteratorINS0_17counting_iteratorImlEEZNS1_24adjacent_difference_implIS3_Lb1ELb0EPS5_SC_N6thrust23THRUST_200600_302600_NS5minusIS5_EEEE10hipError_tPvRmT2_T3_mT4_P12ihipStream_tbEUlmE_S5_EESC_NS0_8identityIvEEEESH_SK_SL_mSM_SO_bEUlT_E_NS1_11comp_targetILNS1_3genE8ELNS1_11target_archE1030ELNS1_3gpuE2ELNS1_3repE0EEENS1_30default_config_static_selectorELNS0_4arch9wavefront6targetE1EEEvT1_
	.globl	_ZN7rocprim17ROCPRIM_400000_NS6detail17trampoline_kernelINS0_14default_configENS1_25transform_config_selectorI14custom_numericLb0EEEZNS1_14transform_implILb0ES3_S6_NS0_18transform_iteratorINS0_17counting_iteratorImlEEZNS1_24adjacent_difference_implIS3_Lb1ELb0EPS5_SC_N6thrust23THRUST_200600_302600_NS5minusIS5_EEEE10hipError_tPvRmT2_T3_mT4_P12ihipStream_tbEUlmE_S5_EESC_NS0_8identityIvEEEESH_SK_SL_mSM_SO_bEUlT_E_NS1_11comp_targetILNS1_3genE8ELNS1_11target_archE1030ELNS1_3gpuE2ELNS1_3repE0EEENS1_30default_config_static_selectorELNS0_4arch9wavefront6targetE1EEEvT1_
	.p2align	8
	.type	_ZN7rocprim17ROCPRIM_400000_NS6detail17trampoline_kernelINS0_14default_configENS1_25transform_config_selectorI14custom_numericLb0EEEZNS1_14transform_implILb0ES3_S6_NS0_18transform_iteratorINS0_17counting_iteratorImlEEZNS1_24adjacent_difference_implIS3_Lb1ELb0EPS5_SC_N6thrust23THRUST_200600_302600_NS5minusIS5_EEEE10hipError_tPvRmT2_T3_mT4_P12ihipStream_tbEUlmE_S5_EESC_NS0_8identityIvEEEESH_SK_SL_mSM_SO_bEUlT_E_NS1_11comp_targetILNS1_3genE8ELNS1_11target_archE1030ELNS1_3gpuE2ELNS1_3repE0EEENS1_30default_config_static_selectorELNS0_4arch9wavefront6targetE1EEEvT1_,@function
_ZN7rocprim17ROCPRIM_400000_NS6detail17trampoline_kernelINS0_14default_configENS1_25transform_config_selectorI14custom_numericLb0EEEZNS1_14transform_implILb0ES3_S6_NS0_18transform_iteratorINS0_17counting_iteratorImlEEZNS1_24adjacent_difference_implIS3_Lb1ELb0EPS5_SC_N6thrust23THRUST_200600_302600_NS5minusIS5_EEEE10hipError_tPvRmT2_T3_mT4_P12ihipStream_tbEUlmE_S5_EESC_NS0_8identityIvEEEESH_SK_SL_mSM_SO_bEUlT_E_NS1_11comp_targetILNS1_3genE8ELNS1_11target_archE1030ELNS1_3gpuE2ELNS1_3repE0EEENS1_30default_config_static_selectorELNS0_4arch9wavefront6targetE1EEEvT1_: ; @_ZN7rocprim17ROCPRIM_400000_NS6detail17trampoline_kernelINS0_14default_configENS1_25transform_config_selectorI14custom_numericLb0EEEZNS1_14transform_implILb0ES3_S6_NS0_18transform_iteratorINS0_17counting_iteratorImlEEZNS1_24adjacent_difference_implIS3_Lb1ELb0EPS5_SC_N6thrust23THRUST_200600_302600_NS5minusIS5_EEEE10hipError_tPvRmT2_T3_mT4_P12ihipStream_tbEUlmE_S5_EESC_NS0_8identityIvEEEESH_SK_SL_mSM_SO_bEUlT_E_NS1_11comp_targetILNS1_3genE8ELNS1_11target_archE1030ELNS1_3gpuE2ELNS1_3repE0EEENS1_30default_config_static_selectorELNS0_4arch9wavefront6targetE1EEEvT1_
; %bb.0:
	.section	.rodata,"a",@progbits
	.p2align	6, 0x0
	.amdhsa_kernel _ZN7rocprim17ROCPRIM_400000_NS6detail17trampoline_kernelINS0_14default_configENS1_25transform_config_selectorI14custom_numericLb0EEEZNS1_14transform_implILb0ES3_S6_NS0_18transform_iteratorINS0_17counting_iteratorImlEEZNS1_24adjacent_difference_implIS3_Lb1ELb0EPS5_SC_N6thrust23THRUST_200600_302600_NS5minusIS5_EEEE10hipError_tPvRmT2_T3_mT4_P12ihipStream_tbEUlmE_S5_EESC_NS0_8identityIvEEEESH_SK_SL_mSM_SO_bEUlT_E_NS1_11comp_targetILNS1_3genE8ELNS1_11target_archE1030ELNS1_3gpuE2ELNS1_3repE0EEENS1_30default_config_static_selectorELNS0_4arch9wavefront6targetE1EEEvT1_
		.amdhsa_group_segment_fixed_size 0
		.amdhsa_private_segment_fixed_size 0
		.amdhsa_kernarg_size 56
		.amdhsa_user_sgpr_count 6
		.amdhsa_user_sgpr_private_segment_buffer 1
		.amdhsa_user_sgpr_dispatch_ptr 0
		.amdhsa_user_sgpr_queue_ptr 0
		.amdhsa_user_sgpr_kernarg_segment_ptr 1
		.amdhsa_user_sgpr_dispatch_id 0
		.amdhsa_user_sgpr_flat_scratch_init 0
		.amdhsa_user_sgpr_kernarg_preload_length 0
		.amdhsa_user_sgpr_kernarg_preload_offset 0
		.amdhsa_user_sgpr_private_segment_size 0
		.amdhsa_uses_dynamic_stack 0
		.amdhsa_system_sgpr_private_segment_wavefront_offset 0
		.amdhsa_system_sgpr_workgroup_id_x 1
		.amdhsa_system_sgpr_workgroup_id_y 0
		.amdhsa_system_sgpr_workgroup_id_z 0
		.amdhsa_system_sgpr_workgroup_info 0
		.amdhsa_system_vgpr_workitem_id 0
		.amdhsa_next_free_vgpr 1
		.amdhsa_next_free_sgpr 0
		.amdhsa_accum_offset 4
		.amdhsa_reserve_vcc 0
		.amdhsa_reserve_flat_scratch 0
		.amdhsa_float_round_mode_32 0
		.amdhsa_float_round_mode_16_64 0
		.amdhsa_float_denorm_mode_32 3
		.amdhsa_float_denorm_mode_16_64 3
		.amdhsa_dx10_clamp 1
		.amdhsa_ieee_mode 1
		.amdhsa_fp16_overflow 0
		.amdhsa_tg_split 0
		.amdhsa_exception_fp_ieee_invalid_op 0
		.amdhsa_exception_fp_denorm_src 0
		.amdhsa_exception_fp_ieee_div_zero 0
		.amdhsa_exception_fp_ieee_overflow 0
		.amdhsa_exception_fp_ieee_underflow 0
		.amdhsa_exception_fp_ieee_inexact 0
		.amdhsa_exception_int_div_zero 0
	.end_amdhsa_kernel
	.section	.text._ZN7rocprim17ROCPRIM_400000_NS6detail17trampoline_kernelINS0_14default_configENS1_25transform_config_selectorI14custom_numericLb0EEEZNS1_14transform_implILb0ES3_S6_NS0_18transform_iteratorINS0_17counting_iteratorImlEEZNS1_24adjacent_difference_implIS3_Lb1ELb0EPS5_SC_N6thrust23THRUST_200600_302600_NS5minusIS5_EEEE10hipError_tPvRmT2_T3_mT4_P12ihipStream_tbEUlmE_S5_EESC_NS0_8identityIvEEEESH_SK_SL_mSM_SO_bEUlT_E_NS1_11comp_targetILNS1_3genE8ELNS1_11target_archE1030ELNS1_3gpuE2ELNS1_3repE0EEENS1_30default_config_static_selectorELNS0_4arch9wavefront6targetE1EEEvT1_,"axG",@progbits,_ZN7rocprim17ROCPRIM_400000_NS6detail17trampoline_kernelINS0_14default_configENS1_25transform_config_selectorI14custom_numericLb0EEEZNS1_14transform_implILb0ES3_S6_NS0_18transform_iteratorINS0_17counting_iteratorImlEEZNS1_24adjacent_difference_implIS3_Lb1ELb0EPS5_SC_N6thrust23THRUST_200600_302600_NS5minusIS5_EEEE10hipError_tPvRmT2_T3_mT4_P12ihipStream_tbEUlmE_S5_EESC_NS0_8identityIvEEEESH_SK_SL_mSM_SO_bEUlT_E_NS1_11comp_targetILNS1_3genE8ELNS1_11target_archE1030ELNS1_3gpuE2ELNS1_3repE0EEENS1_30default_config_static_selectorELNS0_4arch9wavefront6targetE1EEEvT1_,comdat
.Lfunc_end225:
	.size	_ZN7rocprim17ROCPRIM_400000_NS6detail17trampoline_kernelINS0_14default_configENS1_25transform_config_selectorI14custom_numericLb0EEEZNS1_14transform_implILb0ES3_S6_NS0_18transform_iteratorINS0_17counting_iteratorImlEEZNS1_24adjacent_difference_implIS3_Lb1ELb0EPS5_SC_N6thrust23THRUST_200600_302600_NS5minusIS5_EEEE10hipError_tPvRmT2_T3_mT4_P12ihipStream_tbEUlmE_S5_EESC_NS0_8identityIvEEEESH_SK_SL_mSM_SO_bEUlT_E_NS1_11comp_targetILNS1_3genE8ELNS1_11target_archE1030ELNS1_3gpuE2ELNS1_3repE0EEENS1_30default_config_static_selectorELNS0_4arch9wavefront6targetE1EEEvT1_, .Lfunc_end225-_ZN7rocprim17ROCPRIM_400000_NS6detail17trampoline_kernelINS0_14default_configENS1_25transform_config_selectorI14custom_numericLb0EEEZNS1_14transform_implILb0ES3_S6_NS0_18transform_iteratorINS0_17counting_iteratorImlEEZNS1_24adjacent_difference_implIS3_Lb1ELb0EPS5_SC_N6thrust23THRUST_200600_302600_NS5minusIS5_EEEE10hipError_tPvRmT2_T3_mT4_P12ihipStream_tbEUlmE_S5_EESC_NS0_8identityIvEEEESH_SK_SL_mSM_SO_bEUlT_E_NS1_11comp_targetILNS1_3genE8ELNS1_11target_archE1030ELNS1_3gpuE2ELNS1_3repE0EEENS1_30default_config_static_selectorELNS0_4arch9wavefront6targetE1EEEvT1_
                                        ; -- End function
	.section	.AMDGPU.csdata,"",@progbits
; Kernel info:
; codeLenInByte = 0
; NumSgprs: 4
; NumVgprs: 0
; NumAgprs: 0
; TotalNumVgprs: 0
; ScratchSize: 0
; MemoryBound: 0
; FloatMode: 240
; IeeeMode: 1
; LDSByteSize: 0 bytes/workgroup (compile time only)
; SGPRBlocks: 0
; VGPRBlocks: 0
; NumSGPRsForWavesPerEU: 4
; NumVGPRsForWavesPerEU: 1
; AccumOffset: 4
; Occupancy: 8
; WaveLimiterHint : 0
; COMPUTE_PGM_RSRC2:SCRATCH_EN: 0
; COMPUTE_PGM_RSRC2:USER_SGPR: 6
; COMPUTE_PGM_RSRC2:TRAP_HANDLER: 0
; COMPUTE_PGM_RSRC2:TGID_X_EN: 1
; COMPUTE_PGM_RSRC2:TGID_Y_EN: 0
; COMPUTE_PGM_RSRC2:TGID_Z_EN: 0
; COMPUTE_PGM_RSRC2:TIDIG_COMP_CNT: 0
; COMPUTE_PGM_RSRC3_GFX90A:ACCUM_OFFSET: 0
; COMPUTE_PGM_RSRC3_GFX90A:TG_SPLIT: 0
	.section	.text._ZN7rocprim17ROCPRIM_400000_NS6detail17trampoline_kernelINS0_14default_configENS1_35adjacent_difference_config_selectorILb1E14custom_numericEEZNS1_24adjacent_difference_implIS3_Lb1ELb0EPS5_S8_N6thrust23THRUST_200600_302600_NS5minusIS5_EEEE10hipError_tPvRmT2_T3_mT4_P12ihipStream_tbEUlT_E_NS1_11comp_targetILNS1_3genE0ELNS1_11target_archE4294967295ELNS1_3gpuE0ELNS1_3repE0EEENS1_30default_config_static_selectorELNS0_4arch9wavefront6targetE1EEEvT1_,"axG",@progbits,_ZN7rocprim17ROCPRIM_400000_NS6detail17trampoline_kernelINS0_14default_configENS1_35adjacent_difference_config_selectorILb1E14custom_numericEEZNS1_24adjacent_difference_implIS3_Lb1ELb0EPS5_S8_N6thrust23THRUST_200600_302600_NS5minusIS5_EEEE10hipError_tPvRmT2_T3_mT4_P12ihipStream_tbEUlT_E_NS1_11comp_targetILNS1_3genE0ELNS1_11target_archE4294967295ELNS1_3gpuE0ELNS1_3repE0EEENS1_30default_config_static_selectorELNS0_4arch9wavefront6targetE1EEEvT1_,comdat
	.protected	_ZN7rocprim17ROCPRIM_400000_NS6detail17trampoline_kernelINS0_14default_configENS1_35adjacent_difference_config_selectorILb1E14custom_numericEEZNS1_24adjacent_difference_implIS3_Lb1ELb0EPS5_S8_N6thrust23THRUST_200600_302600_NS5minusIS5_EEEE10hipError_tPvRmT2_T3_mT4_P12ihipStream_tbEUlT_E_NS1_11comp_targetILNS1_3genE0ELNS1_11target_archE4294967295ELNS1_3gpuE0ELNS1_3repE0EEENS1_30default_config_static_selectorELNS0_4arch9wavefront6targetE1EEEvT1_ ; -- Begin function _ZN7rocprim17ROCPRIM_400000_NS6detail17trampoline_kernelINS0_14default_configENS1_35adjacent_difference_config_selectorILb1E14custom_numericEEZNS1_24adjacent_difference_implIS3_Lb1ELb0EPS5_S8_N6thrust23THRUST_200600_302600_NS5minusIS5_EEEE10hipError_tPvRmT2_T3_mT4_P12ihipStream_tbEUlT_E_NS1_11comp_targetILNS1_3genE0ELNS1_11target_archE4294967295ELNS1_3gpuE0ELNS1_3repE0EEENS1_30default_config_static_selectorELNS0_4arch9wavefront6targetE1EEEvT1_
	.globl	_ZN7rocprim17ROCPRIM_400000_NS6detail17trampoline_kernelINS0_14default_configENS1_35adjacent_difference_config_selectorILb1E14custom_numericEEZNS1_24adjacent_difference_implIS3_Lb1ELb0EPS5_S8_N6thrust23THRUST_200600_302600_NS5minusIS5_EEEE10hipError_tPvRmT2_T3_mT4_P12ihipStream_tbEUlT_E_NS1_11comp_targetILNS1_3genE0ELNS1_11target_archE4294967295ELNS1_3gpuE0ELNS1_3repE0EEENS1_30default_config_static_selectorELNS0_4arch9wavefront6targetE1EEEvT1_
	.p2align	8
	.type	_ZN7rocprim17ROCPRIM_400000_NS6detail17trampoline_kernelINS0_14default_configENS1_35adjacent_difference_config_selectorILb1E14custom_numericEEZNS1_24adjacent_difference_implIS3_Lb1ELb0EPS5_S8_N6thrust23THRUST_200600_302600_NS5minusIS5_EEEE10hipError_tPvRmT2_T3_mT4_P12ihipStream_tbEUlT_E_NS1_11comp_targetILNS1_3genE0ELNS1_11target_archE4294967295ELNS1_3gpuE0ELNS1_3repE0EEENS1_30default_config_static_selectorELNS0_4arch9wavefront6targetE1EEEvT1_,@function
_ZN7rocprim17ROCPRIM_400000_NS6detail17trampoline_kernelINS0_14default_configENS1_35adjacent_difference_config_selectorILb1E14custom_numericEEZNS1_24adjacent_difference_implIS3_Lb1ELb0EPS5_S8_N6thrust23THRUST_200600_302600_NS5minusIS5_EEEE10hipError_tPvRmT2_T3_mT4_P12ihipStream_tbEUlT_E_NS1_11comp_targetILNS1_3genE0ELNS1_11target_archE4294967295ELNS1_3gpuE0ELNS1_3repE0EEENS1_30default_config_static_selectorELNS0_4arch9wavefront6targetE1EEEvT1_: ; @_ZN7rocprim17ROCPRIM_400000_NS6detail17trampoline_kernelINS0_14default_configENS1_35adjacent_difference_config_selectorILb1E14custom_numericEEZNS1_24adjacent_difference_implIS3_Lb1ELb0EPS5_S8_N6thrust23THRUST_200600_302600_NS5minusIS5_EEEE10hipError_tPvRmT2_T3_mT4_P12ihipStream_tbEUlT_E_NS1_11comp_targetILNS1_3genE0ELNS1_11target_archE4294967295ELNS1_3gpuE0ELNS1_3repE0EEENS1_30default_config_static_selectorELNS0_4arch9wavefront6targetE1EEEvT1_
; %bb.0:
	.section	.rodata,"a",@progbits
	.p2align	6, 0x0
	.amdhsa_kernel _ZN7rocprim17ROCPRIM_400000_NS6detail17trampoline_kernelINS0_14default_configENS1_35adjacent_difference_config_selectorILb1E14custom_numericEEZNS1_24adjacent_difference_implIS3_Lb1ELb0EPS5_S8_N6thrust23THRUST_200600_302600_NS5minusIS5_EEEE10hipError_tPvRmT2_T3_mT4_P12ihipStream_tbEUlT_E_NS1_11comp_targetILNS1_3genE0ELNS1_11target_archE4294967295ELNS1_3gpuE0ELNS1_3repE0EEENS1_30default_config_static_selectorELNS0_4arch9wavefront6targetE1EEEvT1_
		.amdhsa_group_segment_fixed_size 0
		.amdhsa_private_segment_fixed_size 0
		.amdhsa_kernarg_size 56
		.amdhsa_user_sgpr_count 6
		.amdhsa_user_sgpr_private_segment_buffer 1
		.amdhsa_user_sgpr_dispatch_ptr 0
		.amdhsa_user_sgpr_queue_ptr 0
		.amdhsa_user_sgpr_kernarg_segment_ptr 1
		.amdhsa_user_sgpr_dispatch_id 0
		.amdhsa_user_sgpr_flat_scratch_init 0
		.amdhsa_user_sgpr_kernarg_preload_length 0
		.amdhsa_user_sgpr_kernarg_preload_offset 0
		.amdhsa_user_sgpr_private_segment_size 0
		.amdhsa_uses_dynamic_stack 0
		.amdhsa_system_sgpr_private_segment_wavefront_offset 0
		.amdhsa_system_sgpr_workgroup_id_x 1
		.amdhsa_system_sgpr_workgroup_id_y 0
		.amdhsa_system_sgpr_workgroup_id_z 0
		.amdhsa_system_sgpr_workgroup_info 0
		.amdhsa_system_vgpr_workitem_id 0
		.amdhsa_next_free_vgpr 1
		.amdhsa_next_free_sgpr 0
		.amdhsa_accum_offset 4
		.amdhsa_reserve_vcc 0
		.amdhsa_reserve_flat_scratch 0
		.amdhsa_float_round_mode_32 0
		.amdhsa_float_round_mode_16_64 0
		.amdhsa_float_denorm_mode_32 3
		.amdhsa_float_denorm_mode_16_64 3
		.amdhsa_dx10_clamp 1
		.amdhsa_ieee_mode 1
		.amdhsa_fp16_overflow 0
		.amdhsa_tg_split 0
		.amdhsa_exception_fp_ieee_invalid_op 0
		.amdhsa_exception_fp_denorm_src 0
		.amdhsa_exception_fp_ieee_div_zero 0
		.amdhsa_exception_fp_ieee_overflow 0
		.amdhsa_exception_fp_ieee_underflow 0
		.amdhsa_exception_fp_ieee_inexact 0
		.amdhsa_exception_int_div_zero 0
	.end_amdhsa_kernel
	.section	.text._ZN7rocprim17ROCPRIM_400000_NS6detail17trampoline_kernelINS0_14default_configENS1_35adjacent_difference_config_selectorILb1E14custom_numericEEZNS1_24adjacent_difference_implIS3_Lb1ELb0EPS5_S8_N6thrust23THRUST_200600_302600_NS5minusIS5_EEEE10hipError_tPvRmT2_T3_mT4_P12ihipStream_tbEUlT_E_NS1_11comp_targetILNS1_3genE0ELNS1_11target_archE4294967295ELNS1_3gpuE0ELNS1_3repE0EEENS1_30default_config_static_selectorELNS0_4arch9wavefront6targetE1EEEvT1_,"axG",@progbits,_ZN7rocprim17ROCPRIM_400000_NS6detail17trampoline_kernelINS0_14default_configENS1_35adjacent_difference_config_selectorILb1E14custom_numericEEZNS1_24adjacent_difference_implIS3_Lb1ELb0EPS5_S8_N6thrust23THRUST_200600_302600_NS5minusIS5_EEEE10hipError_tPvRmT2_T3_mT4_P12ihipStream_tbEUlT_E_NS1_11comp_targetILNS1_3genE0ELNS1_11target_archE4294967295ELNS1_3gpuE0ELNS1_3repE0EEENS1_30default_config_static_selectorELNS0_4arch9wavefront6targetE1EEEvT1_,comdat
.Lfunc_end226:
	.size	_ZN7rocprim17ROCPRIM_400000_NS6detail17trampoline_kernelINS0_14default_configENS1_35adjacent_difference_config_selectorILb1E14custom_numericEEZNS1_24adjacent_difference_implIS3_Lb1ELb0EPS5_S8_N6thrust23THRUST_200600_302600_NS5minusIS5_EEEE10hipError_tPvRmT2_T3_mT4_P12ihipStream_tbEUlT_E_NS1_11comp_targetILNS1_3genE0ELNS1_11target_archE4294967295ELNS1_3gpuE0ELNS1_3repE0EEENS1_30default_config_static_selectorELNS0_4arch9wavefront6targetE1EEEvT1_, .Lfunc_end226-_ZN7rocprim17ROCPRIM_400000_NS6detail17trampoline_kernelINS0_14default_configENS1_35adjacent_difference_config_selectorILb1E14custom_numericEEZNS1_24adjacent_difference_implIS3_Lb1ELb0EPS5_S8_N6thrust23THRUST_200600_302600_NS5minusIS5_EEEE10hipError_tPvRmT2_T3_mT4_P12ihipStream_tbEUlT_E_NS1_11comp_targetILNS1_3genE0ELNS1_11target_archE4294967295ELNS1_3gpuE0ELNS1_3repE0EEENS1_30default_config_static_selectorELNS0_4arch9wavefront6targetE1EEEvT1_
                                        ; -- End function
	.section	.AMDGPU.csdata,"",@progbits
; Kernel info:
; codeLenInByte = 0
; NumSgprs: 4
; NumVgprs: 0
; NumAgprs: 0
; TotalNumVgprs: 0
; ScratchSize: 0
; MemoryBound: 0
; FloatMode: 240
; IeeeMode: 1
; LDSByteSize: 0 bytes/workgroup (compile time only)
; SGPRBlocks: 0
; VGPRBlocks: 0
; NumSGPRsForWavesPerEU: 4
; NumVGPRsForWavesPerEU: 1
; AccumOffset: 4
; Occupancy: 8
; WaveLimiterHint : 0
; COMPUTE_PGM_RSRC2:SCRATCH_EN: 0
; COMPUTE_PGM_RSRC2:USER_SGPR: 6
; COMPUTE_PGM_RSRC2:TRAP_HANDLER: 0
; COMPUTE_PGM_RSRC2:TGID_X_EN: 1
; COMPUTE_PGM_RSRC2:TGID_Y_EN: 0
; COMPUTE_PGM_RSRC2:TGID_Z_EN: 0
; COMPUTE_PGM_RSRC2:TIDIG_COMP_CNT: 0
; COMPUTE_PGM_RSRC3_GFX90A:ACCUM_OFFSET: 0
; COMPUTE_PGM_RSRC3_GFX90A:TG_SPLIT: 0
	.section	.text._ZN7rocprim17ROCPRIM_400000_NS6detail17trampoline_kernelINS0_14default_configENS1_35adjacent_difference_config_selectorILb1E14custom_numericEEZNS1_24adjacent_difference_implIS3_Lb1ELb0EPS5_S8_N6thrust23THRUST_200600_302600_NS5minusIS5_EEEE10hipError_tPvRmT2_T3_mT4_P12ihipStream_tbEUlT_E_NS1_11comp_targetILNS1_3genE10ELNS1_11target_archE1201ELNS1_3gpuE5ELNS1_3repE0EEENS1_30default_config_static_selectorELNS0_4arch9wavefront6targetE1EEEvT1_,"axG",@progbits,_ZN7rocprim17ROCPRIM_400000_NS6detail17trampoline_kernelINS0_14default_configENS1_35adjacent_difference_config_selectorILb1E14custom_numericEEZNS1_24adjacent_difference_implIS3_Lb1ELb0EPS5_S8_N6thrust23THRUST_200600_302600_NS5minusIS5_EEEE10hipError_tPvRmT2_T3_mT4_P12ihipStream_tbEUlT_E_NS1_11comp_targetILNS1_3genE10ELNS1_11target_archE1201ELNS1_3gpuE5ELNS1_3repE0EEENS1_30default_config_static_selectorELNS0_4arch9wavefront6targetE1EEEvT1_,comdat
	.protected	_ZN7rocprim17ROCPRIM_400000_NS6detail17trampoline_kernelINS0_14default_configENS1_35adjacent_difference_config_selectorILb1E14custom_numericEEZNS1_24adjacent_difference_implIS3_Lb1ELb0EPS5_S8_N6thrust23THRUST_200600_302600_NS5minusIS5_EEEE10hipError_tPvRmT2_T3_mT4_P12ihipStream_tbEUlT_E_NS1_11comp_targetILNS1_3genE10ELNS1_11target_archE1201ELNS1_3gpuE5ELNS1_3repE0EEENS1_30default_config_static_selectorELNS0_4arch9wavefront6targetE1EEEvT1_ ; -- Begin function _ZN7rocprim17ROCPRIM_400000_NS6detail17trampoline_kernelINS0_14default_configENS1_35adjacent_difference_config_selectorILb1E14custom_numericEEZNS1_24adjacent_difference_implIS3_Lb1ELb0EPS5_S8_N6thrust23THRUST_200600_302600_NS5minusIS5_EEEE10hipError_tPvRmT2_T3_mT4_P12ihipStream_tbEUlT_E_NS1_11comp_targetILNS1_3genE10ELNS1_11target_archE1201ELNS1_3gpuE5ELNS1_3repE0EEENS1_30default_config_static_selectorELNS0_4arch9wavefront6targetE1EEEvT1_
	.globl	_ZN7rocprim17ROCPRIM_400000_NS6detail17trampoline_kernelINS0_14default_configENS1_35adjacent_difference_config_selectorILb1E14custom_numericEEZNS1_24adjacent_difference_implIS3_Lb1ELb0EPS5_S8_N6thrust23THRUST_200600_302600_NS5minusIS5_EEEE10hipError_tPvRmT2_T3_mT4_P12ihipStream_tbEUlT_E_NS1_11comp_targetILNS1_3genE10ELNS1_11target_archE1201ELNS1_3gpuE5ELNS1_3repE0EEENS1_30default_config_static_selectorELNS0_4arch9wavefront6targetE1EEEvT1_
	.p2align	8
	.type	_ZN7rocprim17ROCPRIM_400000_NS6detail17trampoline_kernelINS0_14default_configENS1_35adjacent_difference_config_selectorILb1E14custom_numericEEZNS1_24adjacent_difference_implIS3_Lb1ELb0EPS5_S8_N6thrust23THRUST_200600_302600_NS5minusIS5_EEEE10hipError_tPvRmT2_T3_mT4_P12ihipStream_tbEUlT_E_NS1_11comp_targetILNS1_3genE10ELNS1_11target_archE1201ELNS1_3gpuE5ELNS1_3repE0EEENS1_30default_config_static_selectorELNS0_4arch9wavefront6targetE1EEEvT1_,@function
_ZN7rocprim17ROCPRIM_400000_NS6detail17trampoline_kernelINS0_14default_configENS1_35adjacent_difference_config_selectorILb1E14custom_numericEEZNS1_24adjacent_difference_implIS3_Lb1ELb0EPS5_S8_N6thrust23THRUST_200600_302600_NS5minusIS5_EEEE10hipError_tPvRmT2_T3_mT4_P12ihipStream_tbEUlT_E_NS1_11comp_targetILNS1_3genE10ELNS1_11target_archE1201ELNS1_3gpuE5ELNS1_3repE0EEENS1_30default_config_static_selectorELNS0_4arch9wavefront6targetE1EEEvT1_: ; @_ZN7rocprim17ROCPRIM_400000_NS6detail17trampoline_kernelINS0_14default_configENS1_35adjacent_difference_config_selectorILb1E14custom_numericEEZNS1_24adjacent_difference_implIS3_Lb1ELb0EPS5_S8_N6thrust23THRUST_200600_302600_NS5minusIS5_EEEE10hipError_tPvRmT2_T3_mT4_P12ihipStream_tbEUlT_E_NS1_11comp_targetILNS1_3genE10ELNS1_11target_archE1201ELNS1_3gpuE5ELNS1_3repE0EEENS1_30default_config_static_selectorELNS0_4arch9wavefront6targetE1EEEvT1_
; %bb.0:
	.section	.rodata,"a",@progbits
	.p2align	6, 0x0
	.amdhsa_kernel _ZN7rocprim17ROCPRIM_400000_NS6detail17trampoline_kernelINS0_14default_configENS1_35adjacent_difference_config_selectorILb1E14custom_numericEEZNS1_24adjacent_difference_implIS3_Lb1ELb0EPS5_S8_N6thrust23THRUST_200600_302600_NS5minusIS5_EEEE10hipError_tPvRmT2_T3_mT4_P12ihipStream_tbEUlT_E_NS1_11comp_targetILNS1_3genE10ELNS1_11target_archE1201ELNS1_3gpuE5ELNS1_3repE0EEENS1_30default_config_static_selectorELNS0_4arch9wavefront6targetE1EEEvT1_
		.amdhsa_group_segment_fixed_size 0
		.amdhsa_private_segment_fixed_size 0
		.amdhsa_kernarg_size 56
		.amdhsa_user_sgpr_count 6
		.amdhsa_user_sgpr_private_segment_buffer 1
		.amdhsa_user_sgpr_dispatch_ptr 0
		.amdhsa_user_sgpr_queue_ptr 0
		.amdhsa_user_sgpr_kernarg_segment_ptr 1
		.amdhsa_user_sgpr_dispatch_id 0
		.amdhsa_user_sgpr_flat_scratch_init 0
		.amdhsa_user_sgpr_kernarg_preload_length 0
		.amdhsa_user_sgpr_kernarg_preload_offset 0
		.amdhsa_user_sgpr_private_segment_size 0
		.amdhsa_uses_dynamic_stack 0
		.amdhsa_system_sgpr_private_segment_wavefront_offset 0
		.amdhsa_system_sgpr_workgroup_id_x 1
		.amdhsa_system_sgpr_workgroup_id_y 0
		.amdhsa_system_sgpr_workgroup_id_z 0
		.amdhsa_system_sgpr_workgroup_info 0
		.amdhsa_system_vgpr_workitem_id 0
		.amdhsa_next_free_vgpr 1
		.amdhsa_next_free_sgpr 0
		.amdhsa_accum_offset 4
		.amdhsa_reserve_vcc 0
		.amdhsa_reserve_flat_scratch 0
		.amdhsa_float_round_mode_32 0
		.amdhsa_float_round_mode_16_64 0
		.amdhsa_float_denorm_mode_32 3
		.amdhsa_float_denorm_mode_16_64 3
		.amdhsa_dx10_clamp 1
		.amdhsa_ieee_mode 1
		.amdhsa_fp16_overflow 0
		.amdhsa_tg_split 0
		.amdhsa_exception_fp_ieee_invalid_op 0
		.amdhsa_exception_fp_denorm_src 0
		.amdhsa_exception_fp_ieee_div_zero 0
		.amdhsa_exception_fp_ieee_overflow 0
		.amdhsa_exception_fp_ieee_underflow 0
		.amdhsa_exception_fp_ieee_inexact 0
		.amdhsa_exception_int_div_zero 0
	.end_amdhsa_kernel
	.section	.text._ZN7rocprim17ROCPRIM_400000_NS6detail17trampoline_kernelINS0_14default_configENS1_35adjacent_difference_config_selectorILb1E14custom_numericEEZNS1_24adjacent_difference_implIS3_Lb1ELb0EPS5_S8_N6thrust23THRUST_200600_302600_NS5minusIS5_EEEE10hipError_tPvRmT2_T3_mT4_P12ihipStream_tbEUlT_E_NS1_11comp_targetILNS1_3genE10ELNS1_11target_archE1201ELNS1_3gpuE5ELNS1_3repE0EEENS1_30default_config_static_selectorELNS0_4arch9wavefront6targetE1EEEvT1_,"axG",@progbits,_ZN7rocprim17ROCPRIM_400000_NS6detail17trampoline_kernelINS0_14default_configENS1_35adjacent_difference_config_selectorILb1E14custom_numericEEZNS1_24adjacent_difference_implIS3_Lb1ELb0EPS5_S8_N6thrust23THRUST_200600_302600_NS5minusIS5_EEEE10hipError_tPvRmT2_T3_mT4_P12ihipStream_tbEUlT_E_NS1_11comp_targetILNS1_3genE10ELNS1_11target_archE1201ELNS1_3gpuE5ELNS1_3repE0EEENS1_30default_config_static_selectorELNS0_4arch9wavefront6targetE1EEEvT1_,comdat
.Lfunc_end227:
	.size	_ZN7rocprim17ROCPRIM_400000_NS6detail17trampoline_kernelINS0_14default_configENS1_35adjacent_difference_config_selectorILb1E14custom_numericEEZNS1_24adjacent_difference_implIS3_Lb1ELb0EPS5_S8_N6thrust23THRUST_200600_302600_NS5minusIS5_EEEE10hipError_tPvRmT2_T3_mT4_P12ihipStream_tbEUlT_E_NS1_11comp_targetILNS1_3genE10ELNS1_11target_archE1201ELNS1_3gpuE5ELNS1_3repE0EEENS1_30default_config_static_selectorELNS0_4arch9wavefront6targetE1EEEvT1_, .Lfunc_end227-_ZN7rocprim17ROCPRIM_400000_NS6detail17trampoline_kernelINS0_14default_configENS1_35adjacent_difference_config_selectorILb1E14custom_numericEEZNS1_24adjacent_difference_implIS3_Lb1ELb0EPS5_S8_N6thrust23THRUST_200600_302600_NS5minusIS5_EEEE10hipError_tPvRmT2_T3_mT4_P12ihipStream_tbEUlT_E_NS1_11comp_targetILNS1_3genE10ELNS1_11target_archE1201ELNS1_3gpuE5ELNS1_3repE0EEENS1_30default_config_static_selectorELNS0_4arch9wavefront6targetE1EEEvT1_
                                        ; -- End function
	.section	.AMDGPU.csdata,"",@progbits
; Kernel info:
; codeLenInByte = 0
; NumSgprs: 4
; NumVgprs: 0
; NumAgprs: 0
; TotalNumVgprs: 0
; ScratchSize: 0
; MemoryBound: 0
; FloatMode: 240
; IeeeMode: 1
; LDSByteSize: 0 bytes/workgroup (compile time only)
; SGPRBlocks: 0
; VGPRBlocks: 0
; NumSGPRsForWavesPerEU: 4
; NumVGPRsForWavesPerEU: 1
; AccumOffset: 4
; Occupancy: 8
; WaveLimiterHint : 0
; COMPUTE_PGM_RSRC2:SCRATCH_EN: 0
; COMPUTE_PGM_RSRC2:USER_SGPR: 6
; COMPUTE_PGM_RSRC2:TRAP_HANDLER: 0
; COMPUTE_PGM_RSRC2:TGID_X_EN: 1
; COMPUTE_PGM_RSRC2:TGID_Y_EN: 0
; COMPUTE_PGM_RSRC2:TGID_Z_EN: 0
; COMPUTE_PGM_RSRC2:TIDIG_COMP_CNT: 0
; COMPUTE_PGM_RSRC3_GFX90A:ACCUM_OFFSET: 0
; COMPUTE_PGM_RSRC3_GFX90A:TG_SPLIT: 0
	.section	.text._ZN7rocprim17ROCPRIM_400000_NS6detail17trampoline_kernelINS0_14default_configENS1_35adjacent_difference_config_selectorILb1E14custom_numericEEZNS1_24adjacent_difference_implIS3_Lb1ELb0EPS5_S8_N6thrust23THRUST_200600_302600_NS5minusIS5_EEEE10hipError_tPvRmT2_T3_mT4_P12ihipStream_tbEUlT_E_NS1_11comp_targetILNS1_3genE5ELNS1_11target_archE942ELNS1_3gpuE9ELNS1_3repE0EEENS1_30default_config_static_selectorELNS0_4arch9wavefront6targetE1EEEvT1_,"axG",@progbits,_ZN7rocprim17ROCPRIM_400000_NS6detail17trampoline_kernelINS0_14default_configENS1_35adjacent_difference_config_selectorILb1E14custom_numericEEZNS1_24adjacent_difference_implIS3_Lb1ELb0EPS5_S8_N6thrust23THRUST_200600_302600_NS5minusIS5_EEEE10hipError_tPvRmT2_T3_mT4_P12ihipStream_tbEUlT_E_NS1_11comp_targetILNS1_3genE5ELNS1_11target_archE942ELNS1_3gpuE9ELNS1_3repE0EEENS1_30default_config_static_selectorELNS0_4arch9wavefront6targetE1EEEvT1_,comdat
	.protected	_ZN7rocprim17ROCPRIM_400000_NS6detail17trampoline_kernelINS0_14default_configENS1_35adjacent_difference_config_selectorILb1E14custom_numericEEZNS1_24adjacent_difference_implIS3_Lb1ELb0EPS5_S8_N6thrust23THRUST_200600_302600_NS5minusIS5_EEEE10hipError_tPvRmT2_T3_mT4_P12ihipStream_tbEUlT_E_NS1_11comp_targetILNS1_3genE5ELNS1_11target_archE942ELNS1_3gpuE9ELNS1_3repE0EEENS1_30default_config_static_selectorELNS0_4arch9wavefront6targetE1EEEvT1_ ; -- Begin function _ZN7rocprim17ROCPRIM_400000_NS6detail17trampoline_kernelINS0_14default_configENS1_35adjacent_difference_config_selectorILb1E14custom_numericEEZNS1_24adjacent_difference_implIS3_Lb1ELb0EPS5_S8_N6thrust23THRUST_200600_302600_NS5minusIS5_EEEE10hipError_tPvRmT2_T3_mT4_P12ihipStream_tbEUlT_E_NS1_11comp_targetILNS1_3genE5ELNS1_11target_archE942ELNS1_3gpuE9ELNS1_3repE0EEENS1_30default_config_static_selectorELNS0_4arch9wavefront6targetE1EEEvT1_
	.globl	_ZN7rocprim17ROCPRIM_400000_NS6detail17trampoline_kernelINS0_14default_configENS1_35adjacent_difference_config_selectorILb1E14custom_numericEEZNS1_24adjacent_difference_implIS3_Lb1ELb0EPS5_S8_N6thrust23THRUST_200600_302600_NS5minusIS5_EEEE10hipError_tPvRmT2_T3_mT4_P12ihipStream_tbEUlT_E_NS1_11comp_targetILNS1_3genE5ELNS1_11target_archE942ELNS1_3gpuE9ELNS1_3repE0EEENS1_30default_config_static_selectorELNS0_4arch9wavefront6targetE1EEEvT1_
	.p2align	8
	.type	_ZN7rocprim17ROCPRIM_400000_NS6detail17trampoline_kernelINS0_14default_configENS1_35adjacent_difference_config_selectorILb1E14custom_numericEEZNS1_24adjacent_difference_implIS3_Lb1ELb0EPS5_S8_N6thrust23THRUST_200600_302600_NS5minusIS5_EEEE10hipError_tPvRmT2_T3_mT4_P12ihipStream_tbEUlT_E_NS1_11comp_targetILNS1_3genE5ELNS1_11target_archE942ELNS1_3gpuE9ELNS1_3repE0EEENS1_30default_config_static_selectorELNS0_4arch9wavefront6targetE1EEEvT1_,@function
_ZN7rocprim17ROCPRIM_400000_NS6detail17trampoline_kernelINS0_14default_configENS1_35adjacent_difference_config_selectorILb1E14custom_numericEEZNS1_24adjacent_difference_implIS3_Lb1ELb0EPS5_S8_N6thrust23THRUST_200600_302600_NS5minusIS5_EEEE10hipError_tPvRmT2_T3_mT4_P12ihipStream_tbEUlT_E_NS1_11comp_targetILNS1_3genE5ELNS1_11target_archE942ELNS1_3gpuE9ELNS1_3repE0EEENS1_30default_config_static_selectorELNS0_4arch9wavefront6targetE1EEEvT1_: ; @_ZN7rocprim17ROCPRIM_400000_NS6detail17trampoline_kernelINS0_14default_configENS1_35adjacent_difference_config_selectorILb1E14custom_numericEEZNS1_24adjacent_difference_implIS3_Lb1ELb0EPS5_S8_N6thrust23THRUST_200600_302600_NS5minusIS5_EEEE10hipError_tPvRmT2_T3_mT4_P12ihipStream_tbEUlT_E_NS1_11comp_targetILNS1_3genE5ELNS1_11target_archE942ELNS1_3gpuE9ELNS1_3repE0EEENS1_30default_config_static_selectorELNS0_4arch9wavefront6targetE1EEEvT1_
; %bb.0:
	.section	.rodata,"a",@progbits
	.p2align	6, 0x0
	.amdhsa_kernel _ZN7rocprim17ROCPRIM_400000_NS6detail17trampoline_kernelINS0_14default_configENS1_35adjacent_difference_config_selectorILb1E14custom_numericEEZNS1_24adjacent_difference_implIS3_Lb1ELb0EPS5_S8_N6thrust23THRUST_200600_302600_NS5minusIS5_EEEE10hipError_tPvRmT2_T3_mT4_P12ihipStream_tbEUlT_E_NS1_11comp_targetILNS1_3genE5ELNS1_11target_archE942ELNS1_3gpuE9ELNS1_3repE0EEENS1_30default_config_static_selectorELNS0_4arch9wavefront6targetE1EEEvT1_
		.amdhsa_group_segment_fixed_size 0
		.amdhsa_private_segment_fixed_size 0
		.amdhsa_kernarg_size 56
		.amdhsa_user_sgpr_count 6
		.amdhsa_user_sgpr_private_segment_buffer 1
		.amdhsa_user_sgpr_dispatch_ptr 0
		.amdhsa_user_sgpr_queue_ptr 0
		.amdhsa_user_sgpr_kernarg_segment_ptr 1
		.amdhsa_user_sgpr_dispatch_id 0
		.amdhsa_user_sgpr_flat_scratch_init 0
		.amdhsa_user_sgpr_kernarg_preload_length 0
		.amdhsa_user_sgpr_kernarg_preload_offset 0
		.amdhsa_user_sgpr_private_segment_size 0
		.amdhsa_uses_dynamic_stack 0
		.amdhsa_system_sgpr_private_segment_wavefront_offset 0
		.amdhsa_system_sgpr_workgroup_id_x 1
		.amdhsa_system_sgpr_workgroup_id_y 0
		.amdhsa_system_sgpr_workgroup_id_z 0
		.amdhsa_system_sgpr_workgroup_info 0
		.amdhsa_system_vgpr_workitem_id 0
		.amdhsa_next_free_vgpr 1
		.amdhsa_next_free_sgpr 0
		.amdhsa_accum_offset 4
		.amdhsa_reserve_vcc 0
		.amdhsa_reserve_flat_scratch 0
		.amdhsa_float_round_mode_32 0
		.amdhsa_float_round_mode_16_64 0
		.amdhsa_float_denorm_mode_32 3
		.amdhsa_float_denorm_mode_16_64 3
		.amdhsa_dx10_clamp 1
		.amdhsa_ieee_mode 1
		.amdhsa_fp16_overflow 0
		.amdhsa_tg_split 0
		.amdhsa_exception_fp_ieee_invalid_op 0
		.amdhsa_exception_fp_denorm_src 0
		.amdhsa_exception_fp_ieee_div_zero 0
		.amdhsa_exception_fp_ieee_overflow 0
		.amdhsa_exception_fp_ieee_underflow 0
		.amdhsa_exception_fp_ieee_inexact 0
		.amdhsa_exception_int_div_zero 0
	.end_amdhsa_kernel
	.section	.text._ZN7rocprim17ROCPRIM_400000_NS6detail17trampoline_kernelINS0_14default_configENS1_35adjacent_difference_config_selectorILb1E14custom_numericEEZNS1_24adjacent_difference_implIS3_Lb1ELb0EPS5_S8_N6thrust23THRUST_200600_302600_NS5minusIS5_EEEE10hipError_tPvRmT2_T3_mT4_P12ihipStream_tbEUlT_E_NS1_11comp_targetILNS1_3genE5ELNS1_11target_archE942ELNS1_3gpuE9ELNS1_3repE0EEENS1_30default_config_static_selectorELNS0_4arch9wavefront6targetE1EEEvT1_,"axG",@progbits,_ZN7rocprim17ROCPRIM_400000_NS6detail17trampoline_kernelINS0_14default_configENS1_35adjacent_difference_config_selectorILb1E14custom_numericEEZNS1_24adjacent_difference_implIS3_Lb1ELb0EPS5_S8_N6thrust23THRUST_200600_302600_NS5minusIS5_EEEE10hipError_tPvRmT2_T3_mT4_P12ihipStream_tbEUlT_E_NS1_11comp_targetILNS1_3genE5ELNS1_11target_archE942ELNS1_3gpuE9ELNS1_3repE0EEENS1_30default_config_static_selectorELNS0_4arch9wavefront6targetE1EEEvT1_,comdat
.Lfunc_end228:
	.size	_ZN7rocprim17ROCPRIM_400000_NS6detail17trampoline_kernelINS0_14default_configENS1_35adjacent_difference_config_selectorILb1E14custom_numericEEZNS1_24adjacent_difference_implIS3_Lb1ELb0EPS5_S8_N6thrust23THRUST_200600_302600_NS5minusIS5_EEEE10hipError_tPvRmT2_T3_mT4_P12ihipStream_tbEUlT_E_NS1_11comp_targetILNS1_3genE5ELNS1_11target_archE942ELNS1_3gpuE9ELNS1_3repE0EEENS1_30default_config_static_selectorELNS0_4arch9wavefront6targetE1EEEvT1_, .Lfunc_end228-_ZN7rocprim17ROCPRIM_400000_NS6detail17trampoline_kernelINS0_14default_configENS1_35adjacent_difference_config_selectorILb1E14custom_numericEEZNS1_24adjacent_difference_implIS3_Lb1ELb0EPS5_S8_N6thrust23THRUST_200600_302600_NS5minusIS5_EEEE10hipError_tPvRmT2_T3_mT4_P12ihipStream_tbEUlT_E_NS1_11comp_targetILNS1_3genE5ELNS1_11target_archE942ELNS1_3gpuE9ELNS1_3repE0EEENS1_30default_config_static_selectorELNS0_4arch9wavefront6targetE1EEEvT1_
                                        ; -- End function
	.section	.AMDGPU.csdata,"",@progbits
; Kernel info:
; codeLenInByte = 0
; NumSgprs: 4
; NumVgprs: 0
; NumAgprs: 0
; TotalNumVgprs: 0
; ScratchSize: 0
; MemoryBound: 0
; FloatMode: 240
; IeeeMode: 1
; LDSByteSize: 0 bytes/workgroup (compile time only)
; SGPRBlocks: 0
; VGPRBlocks: 0
; NumSGPRsForWavesPerEU: 4
; NumVGPRsForWavesPerEU: 1
; AccumOffset: 4
; Occupancy: 8
; WaveLimiterHint : 0
; COMPUTE_PGM_RSRC2:SCRATCH_EN: 0
; COMPUTE_PGM_RSRC2:USER_SGPR: 6
; COMPUTE_PGM_RSRC2:TRAP_HANDLER: 0
; COMPUTE_PGM_RSRC2:TGID_X_EN: 1
; COMPUTE_PGM_RSRC2:TGID_Y_EN: 0
; COMPUTE_PGM_RSRC2:TGID_Z_EN: 0
; COMPUTE_PGM_RSRC2:TIDIG_COMP_CNT: 0
; COMPUTE_PGM_RSRC3_GFX90A:ACCUM_OFFSET: 0
; COMPUTE_PGM_RSRC3_GFX90A:TG_SPLIT: 0
	.section	.text._ZN7rocprim17ROCPRIM_400000_NS6detail17trampoline_kernelINS0_14default_configENS1_35adjacent_difference_config_selectorILb1E14custom_numericEEZNS1_24adjacent_difference_implIS3_Lb1ELb0EPS5_S8_N6thrust23THRUST_200600_302600_NS5minusIS5_EEEE10hipError_tPvRmT2_T3_mT4_P12ihipStream_tbEUlT_E_NS1_11comp_targetILNS1_3genE4ELNS1_11target_archE910ELNS1_3gpuE8ELNS1_3repE0EEENS1_30default_config_static_selectorELNS0_4arch9wavefront6targetE1EEEvT1_,"axG",@progbits,_ZN7rocprim17ROCPRIM_400000_NS6detail17trampoline_kernelINS0_14default_configENS1_35adjacent_difference_config_selectorILb1E14custom_numericEEZNS1_24adjacent_difference_implIS3_Lb1ELb0EPS5_S8_N6thrust23THRUST_200600_302600_NS5minusIS5_EEEE10hipError_tPvRmT2_T3_mT4_P12ihipStream_tbEUlT_E_NS1_11comp_targetILNS1_3genE4ELNS1_11target_archE910ELNS1_3gpuE8ELNS1_3repE0EEENS1_30default_config_static_selectorELNS0_4arch9wavefront6targetE1EEEvT1_,comdat
	.protected	_ZN7rocprim17ROCPRIM_400000_NS6detail17trampoline_kernelINS0_14default_configENS1_35adjacent_difference_config_selectorILb1E14custom_numericEEZNS1_24adjacent_difference_implIS3_Lb1ELb0EPS5_S8_N6thrust23THRUST_200600_302600_NS5minusIS5_EEEE10hipError_tPvRmT2_T3_mT4_P12ihipStream_tbEUlT_E_NS1_11comp_targetILNS1_3genE4ELNS1_11target_archE910ELNS1_3gpuE8ELNS1_3repE0EEENS1_30default_config_static_selectorELNS0_4arch9wavefront6targetE1EEEvT1_ ; -- Begin function _ZN7rocprim17ROCPRIM_400000_NS6detail17trampoline_kernelINS0_14default_configENS1_35adjacent_difference_config_selectorILb1E14custom_numericEEZNS1_24adjacent_difference_implIS3_Lb1ELb0EPS5_S8_N6thrust23THRUST_200600_302600_NS5minusIS5_EEEE10hipError_tPvRmT2_T3_mT4_P12ihipStream_tbEUlT_E_NS1_11comp_targetILNS1_3genE4ELNS1_11target_archE910ELNS1_3gpuE8ELNS1_3repE0EEENS1_30default_config_static_selectorELNS0_4arch9wavefront6targetE1EEEvT1_
	.globl	_ZN7rocprim17ROCPRIM_400000_NS6detail17trampoline_kernelINS0_14default_configENS1_35adjacent_difference_config_selectorILb1E14custom_numericEEZNS1_24adjacent_difference_implIS3_Lb1ELb0EPS5_S8_N6thrust23THRUST_200600_302600_NS5minusIS5_EEEE10hipError_tPvRmT2_T3_mT4_P12ihipStream_tbEUlT_E_NS1_11comp_targetILNS1_3genE4ELNS1_11target_archE910ELNS1_3gpuE8ELNS1_3repE0EEENS1_30default_config_static_selectorELNS0_4arch9wavefront6targetE1EEEvT1_
	.p2align	8
	.type	_ZN7rocprim17ROCPRIM_400000_NS6detail17trampoline_kernelINS0_14default_configENS1_35adjacent_difference_config_selectorILb1E14custom_numericEEZNS1_24adjacent_difference_implIS3_Lb1ELb0EPS5_S8_N6thrust23THRUST_200600_302600_NS5minusIS5_EEEE10hipError_tPvRmT2_T3_mT4_P12ihipStream_tbEUlT_E_NS1_11comp_targetILNS1_3genE4ELNS1_11target_archE910ELNS1_3gpuE8ELNS1_3repE0EEENS1_30default_config_static_selectorELNS0_4arch9wavefront6targetE1EEEvT1_,@function
_ZN7rocprim17ROCPRIM_400000_NS6detail17trampoline_kernelINS0_14default_configENS1_35adjacent_difference_config_selectorILb1E14custom_numericEEZNS1_24adjacent_difference_implIS3_Lb1ELb0EPS5_S8_N6thrust23THRUST_200600_302600_NS5minusIS5_EEEE10hipError_tPvRmT2_T3_mT4_P12ihipStream_tbEUlT_E_NS1_11comp_targetILNS1_3genE4ELNS1_11target_archE910ELNS1_3gpuE8ELNS1_3repE0EEENS1_30default_config_static_selectorELNS0_4arch9wavefront6targetE1EEEvT1_: ; @_ZN7rocprim17ROCPRIM_400000_NS6detail17trampoline_kernelINS0_14default_configENS1_35adjacent_difference_config_selectorILb1E14custom_numericEEZNS1_24adjacent_difference_implIS3_Lb1ELb0EPS5_S8_N6thrust23THRUST_200600_302600_NS5minusIS5_EEEE10hipError_tPvRmT2_T3_mT4_P12ihipStream_tbEUlT_E_NS1_11comp_targetILNS1_3genE4ELNS1_11target_archE910ELNS1_3gpuE8ELNS1_3repE0EEENS1_30default_config_static_selectorELNS0_4arch9wavefront6targetE1EEEvT1_
; %bb.0:
	s_load_dwordx8 s[8:15], s[4:5], 0x0
	s_load_dwordx4 s[16:19], s[4:5], 0x28
	s_mov_b32 s1, 0x55500000
	v_mov_b32_e32 v1, 0x55555000
	s_mul_i32 s22, s6, 0x300
	s_waitcnt lgkmcnt(0)
	s_mul_i32 s0, s11, 20
	s_mul_hi_u32 s23, s10, 20
	s_add_i32 s23, s23, s0
	s_mul_i32 s24, s10, 20
	s_add_u32 s7, s8, s24
	s_addc_u32 s26, s9, s23
	s_add_u32 s1, 0x55555, s1
	s_addc_u32 s1, 0, 0x555
	;; [unrolled: 2-line block ×3, first 2 shown]
	v_add_co_u32_e32 v1, vcc, s1, v1
	s_cmp_lg_u64 vcc, 0
	s_addc_u32 s1, s2, 0x555555
	v_readfirstlane_b32 s4, v1
	s_mul_i32 s3, s14, s1
	s_mul_hi_u32 s5, s14, s4
	s_mul_hi_u32 s2, s14, s1
	s_add_u32 s3, s5, s3
	s_addc_u32 s2, 0, s2
	s_mul_hi_u32 s8, s15, s4
	s_mul_i32 s4, s15, s4
	s_add_u32 s3, s3, s4
	s_mul_hi_u32 s5, s15, s1
	s_addc_u32 s2, s2, s8
	s_addc_u32 s3, s5, 0
	s_mul_i32 s1, s15, s1
	s_add_u32 s1, s2, s1
	s_addc_u32 s2, 0, s3
	s_add_u32 s3, s1, 1
	s_addc_u32 s4, s2, 0
	s_add_u32 s5, s1, 2
	s_mul_i32 s9, s2, 0x300
	s_mul_hi_u32 s10, s1, 0x300
	s_addc_u32 s8, s2, 0
	s_add_i32 s10, s10, s9
	s_mul_i32 s9, s1, 0x300
	v_mov_b32_e32 v1, s9
	v_sub_co_u32_e32 v1, vcc, s14, v1
	s_movk_i32 s0, 0x300
	s_cmp_lg_u64 vcc, 0
	s_subb_u32 s9, s15, s10
	v_subrev_co_u32_e32 v2, vcc, s0, v1
	s_cmp_lg_u64 vcc, 0
	s_subb_u32 s0, s9, 0
	v_readfirstlane_b32 s10, v2
	s_cmpk_gt_u32 s10, 0x2ff
	s_cselect_b32 s10, -1, 0
	s_cmp_eq_u32 s0, 0
	s_cselect_b32 s0, s10, -1
	s_cmp_lg_u32 s0, 0
	s_cselect_b32 s0, s5, s3
	s_cselect_b32 s3, s8, s4
	v_readfirstlane_b32 s4, v1
	s_cmpk_gt_u32 s4, 0x2ff
	s_cselect_b32 s4, -1, 0
	s_cmp_eq_u32 s9, 0
	s_cselect_b32 s4, s4, -1
	s_cmp_lg_u32 s4, 0
	s_cselect_b32 s3, s3, s2
	s_cselect_b32 s2, s0, s1
	s_mul_i32 s0, s3, 0x300
	s_mul_hi_u32 s1, s2, 0x300
	s_add_i32 s1, s1, s0
	s_mul_i32 s0, s2, 0x300
	s_sub_u32 s0, s14, s0
	s_subb_u32 s1, s15, s1
	s_cmp_lg_u64 s[0:1], 0
	s_cselect_b64 s[0:1], -1, 0
	v_cndmask_b32_e64 v1, 0, 1, s[0:1]
	v_readfirstlane_b32 s0, v1
	s_add_u32 s2, s2, s0
	s_addc_u32 s3, s3, 0
	s_add_u32 s4, s18, s6
	s_addc_u32 s5, s19, 0
	s_add_u32 s8, s2, -1
	s_addc_u32 s9, s3, -1
	v_pk_mov_b32 v[2:3], s[8:9], s[8:9] op_sel:[0,1]
	v_cmp_ge_u64_e64 s[0:1], s[4:5], v[2:3]
	s_mov_b64 s[10:11], -1
	s_and_b64 vcc, exec, s[0:1]
	s_mul_i32 s25, s8, 0xfffffd00
	s_mul_hi_u32 s15, s22, 20
	s_mul_i32 s22, s22, 20
	s_cbranch_vccz .LBB229_8
; %bb.1:
	s_add_i32 s27, s25, s14
	s_add_u32 s10, s7, s22
	s_addc_u32 s11, s26, s15
	v_cmp_gt_u32_e32 vcc, s27, v0
	v_mov_b32_e32 v1, 0
	v_mov_b32_e32 v2, 0
	s_and_saveexec_b64 s[20:21], vcc
	s_cbranch_execz .LBB229_3
; %bb.2:
	v_mad_u64_u32 v[2:3], s[28:29], v0, 20, s[10:11]
	global_load_dword v2, v[2:3], off
.LBB229_3:
	s_or_b64 exec, exec, s[20:21]
	v_or_b32_e32 v3, 0x100, v0
	v_cmp_gt_u32_e32 vcc, s27, v3
	s_and_saveexec_b64 s[20:21], vcc
	s_cbranch_execz .LBB229_5
; %bb.4:
	v_mad_u64_u32 v[4:5], s[28:29], v3, 20, s[10:11]
	global_load_dword v1, v[4:5], off
.LBB229_5:
	s_or_b64 exec, exec, s[20:21]
	v_or_b32_e32 v4, 0x200, v0
	v_cmp_gt_u32_e32 vcc, s27, v4
	v_mov_b32_e32 v3, 0
	s_and_saveexec_b64 s[20:21], vcc
	s_cbranch_execz .LBB229_7
; %bb.6:
	v_mad_u64_u32 v[4:5], s[10:11], v4, 20, s[10:11]
	global_load_dword v3, v[4:5], off
.LBB229_7:
	s_or_b64 exec, exec, s[20:21]
	v_mov_b32_e32 v5, 0x1400
	v_mul_u32_u24_e32 v4, 20, v0
	v_mad_u32_u24 v5, v0, 20, v5
	s_waitcnt vmcnt(0)
	ds_write2_b32 v4, v2, v2 offset1:1
	ds_write2_b32 v4, v2, v2 offset0:2 offset1:3
	ds_write2_b32 v5, v1, v1 offset1:1
	v_mov_b32_e32 v5, 0x1408
	v_mad_u32_u24 v5, v0, 20, v5
	ds_write2_b32 v5, v1, v1 offset1:1
	v_add_u32_e32 v5, 16, v4
	ds_write2st64_b32 v5, v2, v1 offset1:20
	v_mov_b32_e32 v1, 0x2800
	v_mad_u32_u24 v1, v0, 20, v1
	ds_write2_b32 v1, v3, v3 offset1:1
	v_mov_b32_e32 v1, 0x2808
	v_mad_u32_u24 v1, v0, 20, v1
	s_mov_b64 s[10:11], 0
	ds_write2_b32 v1, v3, v3 offset1:1
	ds_write_b32 v4, v3 offset:10256
	s_waitcnt lgkmcnt(0)
	s_barrier
.LBB229_8:
	s_and_b64 vcc, exec, s[10:11]
	v_mul_u32_u24_e32 v1, 20, v0
	s_cbranch_vccz .LBB229_10
; %bb.9:
	s_add_u32 s10, s7, s22
	s_addc_u32 s11, s26, s15
	v_mad_u64_u32 v[2:3], s[10:11], v0, 20, s[10:11]
	v_add_co_u32_e32 v4, vcc, 0x1000, v2
	v_addc_co_u32_e32 v5, vcc, 0, v3, vcc
	global_load_dword v6, v[2:3], off
	global_load_dword v7, v[4:5], off offset:1024
	v_add_co_u32_e32 v2, vcc, 0x2000, v2
	v_addc_co_u32_e32 v3, vcc, 0, v3, vcc
	global_load_dword v2, v[2:3], off offset:2048
	v_mov_b32_e32 v3, 0x1400
	v_mov_b32_e32 v4, 0x1408
	;; [unrolled: 1-line block ×4, first 2 shown]
	v_add_u32_e32 v5, 16, v1
	v_mad_u32_u24 v3, v0, 20, v3
	v_mad_u32_u24 v4, v0, 20, v4
	;; [unrolled: 1-line block ×4, first 2 shown]
	s_waitcnt vmcnt(2)
	ds_write2_b32 v1, v6, v6 offset1:1
	ds_write2_b32 v1, v6, v6 offset0:2 offset1:3
	s_waitcnt vmcnt(1)
	ds_write2_b32 v3, v7, v7 offset1:1
	ds_write2_b32 v4, v7, v7 offset1:1
	ds_write2st64_b32 v5, v6, v7 offset1:20
	s_waitcnt vmcnt(0)
	ds_write2_b32 v8, v2, v2 offset1:1
	ds_write2_b32 v9, v2, v2 offset1:1
	ds_write_b32 v1, v2 offset:10256
	s_waitcnt lgkmcnt(0)
	s_barrier
.LBB229_10:
	v_mul_u32_u24_e32 v2, 3, v0
	v_mul_lo_u32 v4, v2, 20
	ds_read2_b32 v[2:3], v4 offset1:5
	ds_read_b32 v4, v4 offset:40
	s_cmp_eq_u64 s[4:5], 0
	s_waitcnt lgkmcnt(0)
	s_barrier
	s_cbranch_scc1 .LBB229_15
; %bb.11:
	s_mul_i32 s7, s19, 20
	s_mul_hi_u32 s10, s18, 20
	s_add_i32 s10, s10, s7
	s_mul_i32 s7, s18, 20
	s_add_u32 s7, s16, s7
	s_addc_u32 s10, s17, s10
	s_mul_hi_u32 s11, s6, 20
	s_mul_i32 s6, s6, 20
	s_add_u32 s6, s7, s6
	s_addc_u32 s7, s10, s11
	s_add_u32 s6, s6, 0xffffffec
	s_addc_u32 s7, s7, -1
	s_load_dword s10, s[6:7], 0x0
	s_cmp_eq_u64 s[4:5], s[8:9]
	s_cbranch_scc1 .LBB229_16
; %bb.12:
	v_cmp_ne_u32_e32 vcc, 0, v0
	s_waitcnt lgkmcnt(0)
	v_mov_b32_e32 v5, s10
	ds_write2_b32 v1, v4, v4 offset1:1
	ds_write2_b32 v1, v4, v4 offset0:2 offset1:3
	ds_write_b32 v1, v4 offset:16
	s_waitcnt lgkmcnt(0)
	s_barrier
	s_and_saveexec_b64 s[6:7], vcc
	s_cbranch_execz .LBB229_14
; %bb.13:
	v_subrev_u32_e32 v5, 20, v1
	ds_read_b32 v5, v5
.LBB229_14:
	s_or_b64 exec, exec, s[6:7]
	s_waitcnt lgkmcnt(0)
	v_sub_u32_e32 v5, v2, v5
	v_mov_b32_e32 v6, v3
	v_mov_b32_e32 v7, v2
	s_branch .LBB229_20
.LBB229_15:
                                        ; implicit-def: $vgpr6
                                        ; implicit-def: $vgpr7
                                        ; implicit-def: $vgpr5
	s_branch .LBB229_21
.LBB229_16:
                                        ; implicit-def: $vgpr5
	v_mov_b32_e32 v6, v3
	v_mov_b32_e32 v7, v2
	s_cbranch_execz .LBB229_20
; %bb.17:
	v_mul_u32_u24_e32 v5, 3, v0
	v_cmp_ne_u32_e32 vcc, 0, v0
	s_waitcnt lgkmcnt(0)
	v_mov_b32_e32 v8, s10
	ds_write2_b32 v1, v4, v4 offset1:1
	ds_write2_b32 v1, v4, v4 offset0:2 offset1:3
	ds_write_b32 v1, v4 offset:16
	s_waitcnt lgkmcnt(0)
	s_barrier
	s_and_saveexec_b64 s[6:7], vcc
	s_cbranch_execz .LBB229_19
; %bb.18:
	v_subrev_u32_e32 v6, 20, v1
	ds_read_b32 v8, v6
.LBB229_19:
	s_or_b64 exec, exec, s[6:7]
	s_mulk_i32 s4, 0xfd00
	s_add_i32 s4, s4, s14
	v_add_u32_e32 v6, 1, v5
	v_add_u32_e32 v9, 2, v5
	v_cmp_gt_u32_e32 vcc, s4, v6
	v_cndmask_b32_e32 v7, 0, v2, vcc
	v_cmp_gt_u32_e32 vcc, s4, v9
	v_cndmask_b32_e32 v6, 0, v3, vcc
	v_cmp_gt_u32_e32 vcc, s4, v5
	s_waitcnt lgkmcnt(0)
	v_cndmask_b32_e32 v5, 0, v8, vcc
	v_sub_u32_e32 v5, v2, v5
.LBB229_20:
	s_cbranch_execnz .LBB229_30
.LBB229_21:
	s_cmp_eq_u64 s[2:3], 1
	v_cmp_ne_u32_e32 vcc, 0, v0
	s_cbranch_scc1 .LBB229_25
; %bb.22:
	v_mov_b32_e32 v5, v2
	ds_write2_b32 v1, v4, v4 offset1:1
	ds_write2_b32 v1, v4, v4 offset0:2 offset1:3
	ds_write_b32 v1, v4 offset:16
	s_waitcnt lgkmcnt(0)
	s_barrier
	s_and_saveexec_b64 s[2:3], vcc
	s_cbranch_execz .LBB229_24
; %bb.23:
	v_subrev_u32_e32 v5, 20, v1
	ds_read_b32 v5, v5
	s_waitcnt lgkmcnt(0)
	v_sub_u32_e32 v5, v2, v5
.LBB229_24:
	s_or_b64 exec, exec, s[2:3]
	v_mov_b32_e32 v6, v3
	s_cbranch_execz .LBB229_26
	s_branch .LBB229_29
.LBB229_25:
                                        ; implicit-def: $vgpr5
	v_mov_b32_e32 v6, v3
.LBB229_26:
	v_mul_u32_u24_e32 v5, 3, v0
	v_mad_u32_u24 v6, v0, 3, 1
	v_mad_u32_u24 v7, v0, 3, 2
	v_cmp_ne_u32_e64 s[4:5], 0, v0
	v_cmp_gt_u32_e64 s[6:7], s14, v5
	v_cmp_gt_u32_e32 vcc, s14, v7
	v_cmp_gt_u32_e64 s[2:3], s14, v6
	s_and_b64 s[6:7], s[4:5], s[6:7]
	v_mov_b32_e32 v5, v2
	ds_write2_b32 v1, v4, v4 offset1:1
	ds_write2_b32 v1, v4, v4 offset0:2 offset1:3
	ds_write_b32 v1, v4 offset:16
	s_waitcnt lgkmcnt(0)
	s_barrier
	s_and_saveexec_b64 s[4:5], s[6:7]
	s_cbranch_execz .LBB229_28
; %bb.27:
	v_subrev_u32_e32 v1, 20, v1
	ds_read_b32 v1, v1
	s_waitcnt lgkmcnt(0)
	v_sub_u32_e32 v5, v2, v1
.LBB229_28:
	s_or_b64 exec, exec, s[4:5]
	v_cndmask_b32_e64 v2, 0, v2, s[2:3]
	v_cndmask_b32_e32 v6, 0, v3, vcc
.LBB229_29:
	v_mov_b32_e32 v7, v2
.LBB229_30:
	s_add_u32 s5, s12, s24
	s_addc_u32 s4, s13, s23
	v_sub_u32_e32 v1, v4, v6
	v_sub_u32_e32 v4, v3, v7
	s_and_b64 vcc, exec, s[0:1]
	v_mul_u32_u24_e32 v8, 60, v0
	s_waitcnt lgkmcnt(0)
	s_barrier
	s_cbranch_vccz .LBB229_36
; %bb.31:
	v_mul_i32_i24_e32 v9, 0xffffffd8, v0
	v_mad_u32_u24 v2, v0, 60, v9
	ds_write2_b32 v8, v5, v5 offset1:1
	ds_write2_b32 v8, v5, v5 offset0:2 offset1:3
	ds_write_b32 v8, v5 offset:16
	ds_write2_b32 v8, v4, v4 offset0:5 offset1:6
	ds_write2_b32 v8, v4, v4 offset0:7 offset1:8
	ds_write2_b32 v8, v4, v1 offset0:9 offset1:10
	ds_write2_b32 v8, v1, v1 offset0:11 offset1:12
	ds_write2_b32 v8, v1, v1 offset0:13 offset1:14
	s_waitcnt lgkmcnt(0)
	s_barrier
	ds_read2st64_b32 v[2:3], v2 offset0:20 offset1:40
	s_add_i32 s25, s25, s14
	s_add_u32 s0, s5, s22
	s_addc_u32 s1, s4, s15
	v_mad_u64_u32 v[6:7], s[0:1], v0, 20, s[0:1]
	v_cmp_gt_u32_e32 vcc, s25, v0
	s_and_saveexec_b64 s[0:1], vcc
	s_cbranch_execz .LBB229_33
; %bb.32:
	v_add_u32_e32 v9, v8, v9
	ds_read_b32 v10, v9
	s_waitcnt lgkmcnt(0)
	v_mov_b32_e32 v11, v10
	v_mov_b32_e32 v12, v10
	;; [unrolled: 1-line block ×3, first 2 shown]
	global_store_dwordx4 v[6:7], v[10:13], off
	global_store_dword v[6:7], v10, off offset:16
.LBB229_33:
	s_or_b64 exec, exec, s[0:1]
	v_or_b32_e32 v9, 0x100, v0
	v_cmp_gt_u32_e32 vcc, s25, v9
	s_and_saveexec_b64 s[0:1], vcc
	s_cbranch_execz .LBB229_35
; %bb.34:
	v_add_co_u32_e32 v14, vcc, 0x1000, v6
	s_waitcnt lgkmcnt(0)
	v_mov_b32_e32 v10, v2
	v_mov_b32_e32 v11, v2
	;; [unrolled: 1-line block ×4, first 2 shown]
	v_addc_co_u32_e32 v15, vcc, 0, v7, vcc
	global_store_dwordx4 v[14:15], v[10:13], off offset:1024
	global_store_dword v[14:15], v2, off offset:1040
.LBB229_35:
	s_or_b64 exec, exec, s[0:1]
	s_waitcnt lgkmcnt(0)
	v_or_b32_e32 v2, 0x200, v0
	v_cmp_gt_u32_e64 s[0:1], s25, v2
	s_branch .LBB229_38
.LBB229_36:
	s_mov_b64 s[0:1], 0
                                        ; implicit-def: $vgpr3
                                        ; implicit-def: $vgpr6_vgpr7
	s_cbranch_execz .LBB229_38
; %bb.37:
	ds_write2_b32 v8, v5, v5 offset1:1
	ds_write2_b32 v8, v5, v5 offset0:2 offset1:3
	ds_write_b32 v8, v5 offset:16
	ds_write2_b32 v8, v4, v4 offset0:5 offset1:6
	ds_write2_b32 v8, v4, v4 offset0:7 offset1:8
	;; [unrolled: 1-line block ×5, first 2 shown]
	v_mul_i32_i24_e32 v1, 0xffffffd8, v0
	v_mad_u32_u24 v1, v0, 60, v1
	s_waitcnt lgkmcnt(0)
	s_barrier
	ds_read2st64_b32 v[8:9], v1 offset1:20
	s_add_u32 s2, s5, s22
	ds_read_b32 v3, v1 offset:10240
	s_addc_u32 s3, s4, s15
	v_mad_u64_u32 v[6:7], s[2:3], v0, 20, s[2:3]
	s_waitcnt lgkmcnt(1)
	v_mov_b32_e32 v10, v8
	v_mov_b32_e32 v11, v8
	;; [unrolled: 1-line block ×4, first 2 shown]
	v_add_co_u32_e32 v0, vcc, 0x1000, v6
	global_store_dwordx4 v[6:7], v[10:13], off
	global_store_dword v[6:7], v8, off offset:16
	v_mov_b32_e32 v8, v9
	v_mov_b32_e32 v10, v9
	;; [unrolled: 1-line block ×3, first 2 shown]
	v_addc_co_u32_e32 v1, vcc, 0, v7, vcc
	s_or_b64 s[0:1], s[0:1], exec
	global_store_dwordx4 v[0:1], v[8:11], off offset:1024
	global_store_dword v[0:1], v9, off offset:1040
.LBB229_38:
	s_and_saveexec_b64 s[2:3], s[0:1]
	s_cbranch_execnz .LBB229_40
; %bb.39:
	s_endpgm
.LBB229_40:
	v_add_co_u32_e32 v0, vcc, 0x2000, v6
	s_waitcnt lgkmcnt(0)
	v_mov_b32_e32 v2, v3
	v_mov_b32_e32 v4, v3
	v_mov_b32_e32 v5, v3
	v_addc_co_u32_e32 v1, vcc, 0, v7, vcc
	global_store_dwordx4 v[0:1], v[2:5], off offset:2048
	global_store_dword v[0:1], v3, off offset:2064
	s_endpgm
	.section	.rodata,"a",@progbits
	.p2align	6, 0x0
	.amdhsa_kernel _ZN7rocprim17ROCPRIM_400000_NS6detail17trampoline_kernelINS0_14default_configENS1_35adjacent_difference_config_selectorILb1E14custom_numericEEZNS1_24adjacent_difference_implIS3_Lb1ELb0EPS5_S8_N6thrust23THRUST_200600_302600_NS5minusIS5_EEEE10hipError_tPvRmT2_T3_mT4_P12ihipStream_tbEUlT_E_NS1_11comp_targetILNS1_3genE4ELNS1_11target_archE910ELNS1_3gpuE8ELNS1_3repE0EEENS1_30default_config_static_selectorELNS0_4arch9wavefront6targetE1EEEvT1_
		.amdhsa_group_segment_fixed_size 15360
		.amdhsa_private_segment_fixed_size 0
		.amdhsa_kernarg_size 56
		.amdhsa_user_sgpr_count 6
		.amdhsa_user_sgpr_private_segment_buffer 1
		.amdhsa_user_sgpr_dispatch_ptr 0
		.amdhsa_user_sgpr_queue_ptr 0
		.amdhsa_user_sgpr_kernarg_segment_ptr 1
		.amdhsa_user_sgpr_dispatch_id 0
		.amdhsa_user_sgpr_flat_scratch_init 0
		.amdhsa_user_sgpr_kernarg_preload_length 0
		.amdhsa_user_sgpr_kernarg_preload_offset 0
		.amdhsa_user_sgpr_private_segment_size 0
		.amdhsa_uses_dynamic_stack 0
		.amdhsa_system_sgpr_private_segment_wavefront_offset 0
		.amdhsa_system_sgpr_workgroup_id_x 1
		.amdhsa_system_sgpr_workgroup_id_y 0
		.amdhsa_system_sgpr_workgroup_id_z 0
		.amdhsa_system_sgpr_workgroup_info 0
		.amdhsa_system_vgpr_workitem_id 0
		.amdhsa_next_free_vgpr 16
		.amdhsa_next_free_sgpr 30
		.amdhsa_accum_offset 16
		.amdhsa_reserve_vcc 1
		.amdhsa_reserve_flat_scratch 0
		.amdhsa_float_round_mode_32 0
		.amdhsa_float_round_mode_16_64 0
		.amdhsa_float_denorm_mode_32 3
		.amdhsa_float_denorm_mode_16_64 3
		.amdhsa_dx10_clamp 1
		.amdhsa_ieee_mode 1
		.amdhsa_fp16_overflow 0
		.amdhsa_tg_split 0
		.amdhsa_exception_fp_ieee_invalid_op 0
		.amdhsa_exception_fp_denorm_src 0
		.amdhsa_exception_fp_ieee_div_zero 0
		.amdhsa_exception_fp_ieee_overflow 0
		.amdhsa_exception_fp_ieee_underflow 0
		.amdhsa_exception_fp_ieee_inexact 0
		.amdhsa_exception_int_div_zero 0
	.end_amdhsa_kernel
	.section	.text._ZN7rocprim17ROCPRIM_400000_NS6detail17trampoline_kernelINS0_14default_configENS1_35adjacent_difference_config_selectorILb1E14custom_numericEEZNS1_24adjacent_difference_implIS3_Lb1ELb0EPS5_S8_N6thrust23THRUST_200600_302600_NS5minusIS5_EEEE10hipError_tPvRmT2_T3_mT4_P12ihipStream_tbEUlT_E_NS1_11comp_targetILNS1_3genE4ELNS1_11target_archE910ELNS1_3gpuE8ELNS1_3repE0EEENS1_30default_config_static_selectorELNS0_4arch9wavefront6targetE1EEEvT1_,"axG",@progbits,_ZN7rocprim17ROCPRIM_400000_NS6detail17trampoline_kernelINS0_14default_configENS1_35adjacent_difference_config_selectorILb1E14custom_numericEEZNS1_24adjacent_difference_implIS3_Lb1ELb0EPS5_S8_N6thrust23THRUST_200600_302600_NS5minusIS5_EEEE10hipError_tPvRmT2_T3_mT4_P12ihipStream_tbEUlT_E_NS1_11comp_targetILNS1_3genE4ELNS1_11target_archE910ELNS1_3gpuE8ELNS1_3repE0EEENS1_30default_config_static_selectorELNS0_4arch9wavefront6targetE1EEEvT1_,comdat
.Lfunc_end229:
	.size	_ZN7rocprim17ROCPRIM_400000_NS6detail17trampoline_kernelINS0_14default_configENS1_35adjacent_difference_config_selectorILb1E14custom_numericEEZNS1_24adjacent_difference_implIS3_Lb1ELb0EPS5_S8_N6thrust23THRUST_200600_302600_NS5minusIS5_EEEE10hipError_tPvRmT2_T3_mT4_P12ihipStream_tbEUlT_E_NS1_11comp_targetILNS1_3genE4ELNS1_11target_archE910ELNS1_3gpuE8ELNS1_3repE0EEENS1_30default_config_static_selectorELNS0_4arch9wavefront6targetE1EEEvT1_, .Lfunc_end229-_ZN7rocprim17ROCPRIM_400000_NS6detail17trampoline_kernelINS0_14default_configENS1_35adjacent_difference_config_selectorILb1E14custom_numericEEZNS1_24adjacent_difference_implIS3_Lb1ELb0EPS5_S8_N6thrust23THRUST_200600_302600_NS5minusIS5_EEEE10hipError_tPvRmT2_T3_mT4_P12ihipStream_tbEUlT_E_NS1_11comp_targetILNS1_3genE4ELNS1_11target_archE910ELNS1_3gpuE8ELNS1_3repE0EEENS1_30default_config_static_selectorELNS0_4arch9wavefront6targetE1EEEvT1_
                                        ; -- End function
	.section	.AMDGPU.csdata,"",@progbits
; Kernel info:
; codeLenInByte = 2096
; NumSgprs: 34
; NumVgprs: 16
; NumAgprs: 0
; TotalNumVgprs: 16
; ScratchSize: 0
; MemoryBound: 0
; FloatMode: 240
; IeeeMode: 1
; LDSByteSize: 15360 bytes/workgroup (compile time only)
; SGPRBlocks: 4
; VGPRBlocks: 1
; NumSGPRsForWavesPerEU: 34
; NumVGPRsForWavesPerEU: 16
; AccumOffset: 16
; Occupancy: 4
; WaveLimiterHint : 1
; COMPUTE_PGM_RSRC2:SCRATCH_EN: 0
; COMPUTE_PGM_RSRC2:USER_SGPR: 6
; COMPUTE_PGM_RSRC2:TRAP_HANDLER: 0
; COMPUTE_PGM_RSRC2:TGID_X_EN: 1
; COMPUTE_PGM_RSRC2:TGID_Y_EN: 0
; COMPUTE_PGM_RSRC2:TGID_Z_EN: 0
; COMPUTE_PGM_RSRC2:TIDIG_COMP_CNT: 0
; COMPUTE_PGM_RSRC3_GFX90A:ACCUM_OFFSET: 3
; COMPUTE_PGM_RSRC3_GFX90A:TG_SPLIT: 0
	.section	.text._ZN7rocprim17ROCPRIM_400000_NS6detail17trampoline_kernelINS0_14default_configENS1_35adjacent_difference_config_selectorILb1E14custom_numericEEZNS1_24adjacent_difference_implIS3_Lb1ELb0EPS5_S8_N6thrust23THRUST_200600_302600_NS5minusIS5_EEEE10hipError_tPvRmT2_T3_mT4_P12ihipStream_tbEUlT_E_NS1_11comp_targetILNS1_3genE3ELNS1_11target_archE908ELNS1_3gpuE7ELNS1_3repE0EEENS1_30default_config_static_selectorELNS0_4arch9wavefront6targetE1EEEvT1_,"axG",@progbits,_ZN7rocprim17ROCPRIM_400000_NS6detail17trampoline_kernelINS0_14default_configENS1_35adjacent_difference_config_selectorILb1E14custom_numericEEZNS1_24adjacent_difference_implIS3_Lb1ELb0EPS5_S8_N6thrust23THRUST_200600_302600_NS5minusIS5_EEEE10hipError_tPvRmT2_T3_mT4_P12ihipStream_tbEUlT_E_NS1_11comp_targetILNS1_3genE3ELNS1_11target_archE908ELNS1_3gpuE7ELNS1_3repE0EEENS1_30default_config_static_selectorELNS0_4arch9wavefront6targetE1EEEvT1_,comdat
	.protected	_ZN7rocprim17ROCPRIM_400000_NS6detail17trampoline_kernelINS0_14default_configENS1_35adjacent_difference_config_selectorILb1E14custom_numericEEZNS1_24adjacent_difference_implIS3_Lb1ELb0EPS5_S8_N6thrust23THRUST_200600_302600_NS5minusIS5_EEEE10hipError_tPvRmT2_T3_mT4_P12ihipStream_tbEUlT_E_NS1_11comp_targetILNS1_3genE3ELNS1_11target_archE908ELNS1_3gpuE7ELNS1_3repE0EEENS1_30default_config_static_selectorELNS0_4arch9wavefront6targetE1EEEvT1_ ; -- Begin function _ZN7rocprim17ROCPRIM_400000_NS6detail17trampoline_kernelINS0_14default_configENS1_35adjacent_difference_config_selectorILb1E14custom_numericEEZNS1_24adjacent_difference_implIS3_Lb1ELb0EPS5_S8_N6thrust23THRUST_200600_302600_NS5minusIS5_EEEE10hipError_tPvRmT2_T3_mT4_P12ihipStream_tbEUlT_E_NS1_11comp_targetILNS1_3genE3ELNS1_11target_archE908ELNS1_3gpuE7ELNS1_3repE0EEENS1_30default_config_static_selectorELNS0_4arch9wavefront6targetE1EEEvT1_
	.globl	_ZN7rocprim17ROCPRIM_400000_NS6detail17trampoline_kernelINS0_14default_configENS1_35adjacent_difference_config_selectorILb1E14custom_numericEEZNS1_24adjacent_difference_implIS3_Lb1ELb0EPS5_S8_N6thrust23THRUST_200600_302600_NS5minusIS5_EEEE10hipError_tPvRmT2_T3_mT4_P12ihipStream_tbEUlT_E_NS1_11comp_targetILNS1_3genE3ELNS1_11target_archE908ELNS1_3gpuE7ELNS1_3repE0EEENS1_30default_config_static_selectorELNS0_4arch9wavefront6targetE1EEEvT1_
	.p2align	8
	.type	_ZN7rocprim17ROCPRIM_400000_NS6detail17trampoline_kernelINS0_14default_configENS1_35adjacent_difference_config_selectorILb1E14custom_numericEEZNS1_24adjacent_difference_implIS3_Lb1ELb0EPS5_S8_N6thrust23THRUST_200600_302600_NS5minusIS5_EEEE10hipError_tPvRmT2_T3_mT4_P12ihipStream_tbEUlT_E_NS1_11comp_targetILNS1_3genE3ELNS1_11target_archE908ELNS1_3gpuE7ELNS1_3repE0EEENS1_30default_config_static_selectorELNS0_4arch9wavefront6targetE1EEEvT1_,@function
_ZN7rocprim17ROCPRIM_400000_NS6detail17trampoline_kernelINS0_14default_configENS1_35adjacent_difference_config_selectorILb1E14custom_numericEEZNS1_24adjacent_difference_implIS3_Lb1ELb0EPS5_S8_N6thrust23THRUST_200600_302600_NS5minusIS5_EEEE10hipError_tPvRmT2_T3_mT4_P12ihipStream_tbEUlT_E_NS1_11comp_targetILNS1_3genE3ELNS1_11target_archE908ELNS1_3gpuE7ELNS1_3repE0EEENS1_30default_config_static_selectorELNS0_4arch9wavefront6targetE1EEEvT1_: ; @_ZN7rocprim17ROCPRIM_400000_NS6detail17trampoline_kernelINS0_14default_configENS1_35adjacent_difference_config_selectorILb1E14custom_numericEEZNS1_24adjacent_difference_implIS3_Lb1ELb0EPS5_S8_N6thrust23THRUST_200600_302600_NS5minusIS5_EEEE10hipError_tPvRmT2_T3_mT4_P12ihipStream_tbEUlT_E_NS1_11comp_targetILNS1_3genE3ELNS1_11target_archE908ELNS1_3gpuE7ELNS1_3repE0EEENS1_30default_config_static_selectorELNS0_4arch9wavefront6targetE1EEEvT1_
; %bb.0:
	.section	.rodata,"a",@progbits
	.p2align	6, 0x0
	.amdhsa_kernel _ZN7rocprim17ROCPRIM_400000_NS6detail17trampoline_kernelINS0_14default_configENS1_35adjacent_difference_config_selectorILb1E14custom_numericEEZNS1_24adjacent_difference_implIS3_Lb1ELb0EPS5_S8_N6thrust23THRUST_200600_302600_NS5minusIS5_EEEE10hipError_tPvRmT2_T3_mT4_P12ihipStream_tbEUlT_E_NS1_11comp_targetILNS1_3genE3ELNS1_11target_archE908ELNS1_3gpuE7ELNS1_3repE0EEENS1_30default_config_static_selectorELNS0_4arch9wavefront6targetE1EEEvT1_
		.amdhsa_group_segment_fixed_size 0
		.amdhsa_private_segment_fixed_size 0
		.amdhsa_kernarg_size 56
		.amdhsa_user_sgpr_count 6
		.amdhsa_user_sgpr_private_segment_buffer 1
		.amdhsa_user_sgpr_dispatch_ptr 0
		.amdhsa_user_sgpr_queue_ptr 0
		.amdhsa_user_sgpr_kernarg_segment_ptr 1
		.amdhsa_user_sgpr_dispatch_id 0
		.amdhsa_user_sgpr_flat_scratch_init 0
		.amdhsa_user_sgpr_kernarg_preload_length 0
		.amdhsa_user_sgpr_kernarg_preload_offset 0
		.amdhsa_user_sgpr_private_segment_size 0
		.amdhsa_uses_dynamic_stack 0
		.amdhsa_system_sgpr_private_segment_wavefront_offset 0
		.amdhsa_system_sgpr_workgroup_id_x 1
		.amdhsa_system_sgpr_workgroup_id_y 0
		.amdhsa_system_sgpr_workgroup_id_z 0
		.amdhsa_system_sgpr_workgroup_info 0
		.amdhsa_system_vgpr_workitem_id 0
		.amdhsa_next_free_vgpr 1
		.amdhsa_next_free_sgpr 0
		.amdhsa_accum_offset 4
		.amdhsa_reserve_vcc 0
		.amdhsa_reserve_flat_scratch 0
		.amdhsa_float_round_mode_32 0
		.amdhsa_float_round_mode_16_64 0
		.amdhsa_float_denorm_mode_32 3
		.amdhsa_float_denorm_mode_16_64 3
		.amdhsa_dx10_clamp 1
		.amdhsa_ieee_mode 1
		.amdhsa_fp16_overflow 0
		.amdhsa_tg_split 0
		.amdhsa_exception_fp_ieee_invalid_op 0
		.amdhsa_exception_fp_denorm_src 0
		.amdhsa_exception_fp_ieee_div_zero 0
		.amdhsa_exception_fp_ieee_overflow 0
		.amdhsa_exception_fp_ieee_underflow 0
		.amdhsa_exception_fp_ieee_inexact 0
		.amdhsa_exception_int_div_zero 0
	.end_amdhsa_kernel
	.section	.text._ZN7rocprim17ROCPRIM_400000_NS6detail17trampoline_kernelINS0_14default_configENS1_35adjacent_difference_config_selectorILb1E14custom_numericEEZNS1_24adjacent_difference_implIS3_Lb1ELb0EPS5_S8_N6thrust23THRUST_200600_302600_NS5minusIS5_EEEE10hipError_tPvRmT2_T3_mT4_P12ihipStream_tbEUlT_E_NS1_11comp_targetILNS1_3genE3ELNS1_11target_archE908ELNS1_3gpuE7ELNS1_3repE0EEENS1_30default_config_static_selectorELNS0_4arch9wavefront6targetE1EEEvT1_,"axG",@progbits,_ZN7rocprim17ROCPRIM_400000_NS6detail17trampoline_kernelINS0_14default_configENS1_35adjacent_difference_config_selectorILb1E14custom_numericEEZNS1_24adjacent_difference_implIS3_Lb1ELb0EPS5_S8_N6thrust23THRUST_200600_302600_NS5minusIS5_EEEE10hipError_tPvRmT2_T3_mT4_P12ihipStream_tbEUlT_E_NS1_11comp_targetILNS1_3genE3ELNS1_11target_archE908ELNS1_3gpuE7ELNS1_3repE0EEENS1_30default_config_static_selectorELNS0_4arch9wavefront6targetE1EEEvT1_,comdat
.Lfunc_end230:
	.size	_ZN7rocprim17ROCPRIM_400000_NS6detail17trampoline_kernelINS0_14default_configENS1_35adjacent_difference_config_selectorILb1E14custom_numericEEZNS1_24adjacent_difference_implIS3_Lb1ELb0EPS5_S8_N6thrust23THRUST_200600_302600_NS5minusIS5_EEEE10hipError_tPvRmT2_T3_mT4_P12ihipStream_tbEUlT_E_NS1_11comp_targetILNS1_3genE3ELNS1_11target_archE908ELNS1_3gpuE7ELNS1_3repE0EEENS1_30default_config_static_selectorELNS0_4arch9wavefront6targetE1EEEvT1_, .Lfunc_end230-_ZN7rocprim17ROCPRIM_400000_NS6detail17trampoline_kernelINS0_14default_configENS1_35adjacent_difference_config_selectorILb1E14custom_numericEEZNS1_24adjacent_difference_implIS3_Lb1ELb0EPS5_S8_N6thrust23THRUST_200600_302600_NS5minusIS5_EEEE10hipError_tPvRmT2_T3_mT4_P12ihipStream_tbEUlT_E_NS1_11comp_targetILNS1_3genE3ELNS1_11target_archE908ELNS1_3gpuE7ELNS1_3repE0EEENS1_30default_config_static_selectorELNS0_4arch9wavefront6targetE1EEEvT1_
                                        ; -- End function
	.section	.AMDGPU.csdata,"",@progbits
; Kernel info:
; codeLenInByte = 0
; NumSgprs: 4
; NumVgprs: 0
; NumAgprs: 0
; TotalNumVgprs: 0
; ScratchSize: 0
; MemoryBound: 0
; FloatMode: 240
; IeeeMode: 1
; LDSByteSize: 0 bytes/workgroup (compile time only)
; SGPRBlocks: 0
; VGPRBlocks: 0
; NumSGPRsForWavesPerEU: 4
; NumVGPRsForWavesPerEU: 1
; AccumOffset: 4
; Occupancy: 8
; WaveLimiterHint : 0
; COMPUTE_PGM_RSRC2:SCRATCH_EN: 0
; COMPUTE_PGM_RSRC2:USER_SGPR: 6
; COMPUTE_PGM_RSRC2:TRAP_HANDLER: 0
; COMPUTE_PGM_RSRC2:TGID_X_EN: 1
; COMPUTE_PGM_RSRC2:TGID_Y_EN: 0
; COMPUTE_PGM_RSRC2:TGID_Z_EN: 0
; COMPUTE_PGM_RSRC2:TIDIG_COMP_CNT: 0
; COMPUTE_PGM_RSRC3_GFX90A:ACCUM_OFFSET: 0
; COMPUTE_PGM_RSRC3_GFX90A:TG_SPLIT: 0
	.section	.text._ZN7rocprim17ROCPRIM_400000_NS6detail17trampoline_kernelINS0_14default_configENS1_35adjacent_difference_config_selectorILb1E14custom_numericEEZNS1_24adjacent_difference_implIS3_Lb1ELb0EPS5_S8_N6thrust23THRUST_200600_302600_NS5minusIS5_EEEE10hipError_tPvRmT2_T3_mT4_P12ihipStream_tbEUlT_E_NS1_11comp_targetILNS1_3genE2ELNS1_11target_archE906ELNS1_3gpuE6ELNS1_3repE0EEENS1_30default_config_static_selectorELNS0_4arch9wavefront6targetE1EEEvT1_,"axG",@progbits,_ZN7rocprim17ROCPRIM_400000_NS6detail17trampoline_kernelINS0_14default_configENS1_35adjacent_difference_config_selectorILb1E14custom_numericEEZNS1_24adjacent_difference_implIS3_Lb1ELb0EPS5_S8_N6thrust23THRUST_200600_302600_NS5minusIS5_EEEE10hipError_tPvRmT2_T3_mT4_P12ihipStream_tbEUlT_E_NS1_11comp_targetILNS1_3genE2ELNS1_11target_archE906ELNS1_3gpuE6ELNS1_3repE0EEENS1_30default_config_static_selectorELNS0_4arch9wavefront6targetE1EEEvT1_,comdat
	.protected	_ZN7rocprim17ROCPRIM_400000_NS6detail17trampoline_kernelINS0_14default_configENS1_35adjacent_difference_config_selectorILb1E14custom_numericEEZNS1_24adjacent_difference_implIS3_Lb1ELb0EPS5_S8_N6thrust23THRUST_200600_302600_NS5minusIS5_EEEE10hipError_tPvRmT2_T3_mT4_P12ihipStream_tbEUlT_E_NS1_11comp_targetILNS1_3genE2ELNS1_11target_archE906ELNS1_3gpuE6ELNS1_3repE0EEENS1_30default_config_static_selectorELNS0_4arch9wavefront6targetE1EEEvT1_ ; -- Begin function _ZN7rocprim17ROCPRIM_400000_NS6detail17trampoline_kernelINS0_14default_configENS1_35adjacent_difference_config_selectorILb1E14custom_numericEEZNS1_24adjacent_difference_implIS3_Lb1ELb0EPS5_S8_N6thrust23THRUST_200600_302600_NS5minusIS5_EEEE10hipError_tPvRmT2_T3_mT4_P12ihipStream_tbEUlT_E_NS1_11comp_targetILNS1_3genE2ELNS1_11target_archE906ELNS1_3gpuE6ELNS1_3repE0EEENS1_30default_config_static_selectorELNS0_4arch9wavefront6targetE1EEEvT1_
	.globl	_ZN7rocprim17ROCPRIM_400000_NS6detail17trampoline_kernelINS0_14default_configENS1_35adjacent_difference_config_selectorILb1E14custom_numericEEZNS1_24adjacent_difference_implIS3_Lb1ELb0EPS5_S8_N6thrust23THRUST_200600_302600_NS5minusIS5_EEEE10hipError_tPvRmT2_T3_mT4_P12ihipStream_tbEUlT_E_NS1_11comp_targetILNS1_3genE2ELNS1_11target_archE906ELNS1_3gpuE6ELNS1_3repE0EEENS1_30default_config_static_selectorELNS0_4arch9wavefront6targetE1EEEvT1_
	.p2align	8
	.type	_ZN7rocprim17ROCPRIM_400000_NS6detail17trampoline_kernelINS0_14default_configENS1_35adjacent_difference_config_selectorILb1E14custom_numericEEZNS1_24adjacent_difference_implIS3_Lb1ELb0EPS5_S8_N6thrust23THRUST_200600_302600_NS5minusIS5_EEEE10hipError_tPvRmT2_T3_mT4_P12ihipStream_tbEUlT_E_NS1_11comp_targetILNS1_3genE2ELNS1_11target_archE906ELNS1_3gpuE6ELNS1_3repE0EEENS1_30default_config_static_selectorELNS0_4arch9wavefront6targetE1EEEvT1_,@function
_ZN7rocprim17ROCPRIM_400000_NS6detail17trampoline_kernelINS0_14default_configENS1_35adjacent_difference_config_selectorILb1E14custom_numericEEZNS1_24adjacent_difference_implIS3_Lb1ELb0EPS5_S8_N6thrust23THRUST_200600_302600_NS5minusIS5_EEEE10hipError_tPvRmT2_T3_mT4_P12ihipStream_tbEUlT_E_NS1_11comp_targetILNS1_3genE2ELNS1_11target_archE906ELNS1_3gpuE6ELNS1_3repE0EEENS1_30default_config_static_selectorELNS0_4arch9wavefront6targetE1EEEvT1_: ; @_ZN7rocprim17ROCPRIM_400000_NS6detail17trampoline_kernelINS0_14default_configENS1_35adjacent_difference_config_selectorILb1E14custom_numericEEZNS1_24adjacent_difference_implIS3_Lb1ELb0EPS5_S8_N6thrust23THRUST_200600_302600_NS5minusIS5_EEEE10hipError_tPvRmT2_T3_mT4_P12ihipStream_tbEUlT_E_NS1_11comp_targetILNS1_3genE2ELNS1_11target_archE906ELNS1_3gpuE6ELNS1_3repE0EEENS1_30default_config_static_selectorELNS0_4arch9wavefront6targetE1EEEvT1_
; %bb.0:
	.section	.rodata,"a",@progbits
	.p2align	6, 0x0
	.amdhsa_kernel _ZN7rocprim17ROCPRIM_400000_NS6detail17trampoline_kernelINS0_14default_configENS1_35adjacent_difference_config_selectorILb1E14custom_numericEEZNS1_24adjacent_difference_implIS3_Lb1ELb0EPS5_S8_N6thrust23THRUST_200600_302600_NS5minusIS5_EEEE10hipError_tPvRmT2_T3_mT4_P12ihipStream_tbEUlT_E_NS1_11comp_targetILNS1_3genE2ELNS1_11target_archE906ELNS1_3gpuE6ELNS1_3repE0EEENS1_30default_config_static_selectorELNS0_4arch9wavefront6targetE1EEEvT1_
		.amdhsa_group_segment_fixed_size 0
		.amdhsa_private_segment_fixed_size 0
		.amdhsa_kernarg_size 56
		.amdhsa_user_sgpr_count 6
		.amdhsa_user_sgpr_private_segment_buffer 1
		.amdhsa_user_sgpr_dispatch_ptr 0
		.amdhsa_user_sgpr_queue_ptr 0
		.amdhsa_user_sgpr_kernarg_segment_ptr 1
		.amdhsa_user_sgpr_dispatch_id 0
		.amdhsa_user_sgpr_flat_scratch_init 0
		.amdhsa_user_sgpr_kernarg_preload_length 0
		.amdhsa_user_sgpr_kernarg_preload_offset 0
		.amdhsa_user_sgpr_private_segment_size 0
		.amdhsa_uses_dynamic_stack 0
		.amdhsa_system_sgpr_private_segment_wavefront_offset 0
		.amdhsa_system_sgpr_workgroup_id_x 1
		.amdhsa_system_sgpr_workgroup_id_y 0
		.amdhsa_system_sgpr_workgroup_id_z 0
		.amdhsa_system_sgpr_workgroup_info 0
		.amdhsa_system_vgpr_workitem_id 0
		.amdhsa_next_free_vgpr 1
		.amdhsa_next_free_sgpr 0
		.amdhsa_accum_offset 4
		.amdhsa_reserve_vcc 0
		.amdhsa_reserve_flat_scratch 0
		.amdhsa_float_round_mode_32 0
		.amdhsa_float_round_mode_16_64 0
		.amdhsa_float_denorm_mode_32 3
		.amdhsa_float_denorm_mode_16_64 3
		.amdhsa_dx10_clamp 1
		.amdhsa_ieee_mode 1
		.amdhsa_fp16_overflow 0
		.amdhsa_tg_split 0
		.amdhsa_exception_fp_ieee_invalid_op 0
		.amdhsa_exception_fp_denorm_src 0
		.amdhsa_exception_fp_ieee_div_zero 0
		.amdhsa_exception_fp_ieee_overflow 0
		.amdhsa_exception_fp_ieee_underflow 0
		.amdhsa_exception_fp_ieee_inexact 0
		.amdhsa_exception_int_div_zero 0
	.end_amdhsa_kernel
	.section	.text._ZN7rocprim17ROCPRIM_400000_NS6detail17trampoline_kernelINS0_14default_configENS1_35adjacent_difference_config_selectorILb1E14custom_numericEEZNS1_24adjacent_difference_implIS3_Lb1ELb0EPS5_S8_N6thrust23THRUST_200600_302600_NS5minusIS5_EEEE10hipError_tPvRmT2_T3_mT4_P12ihipStream_tbEUlT_E_NS1_11comp_targetILNS1_3genE2ELNS1_11target_archE906ELNS1_3gpuE6ELNS1_3repE0EEENS1_30default_config_static_selectorELNS0_4arch9wavefront6targetE1EEEvT1_,"axG",@progbits,_ZN7rocprim17ROCPRIM_400000_NS6detail17trampoline_kernelINS0_14default_configENS1_35adjacent_difference_config_selectorILb1E14custom_numericEEZNS1_24adjacent_difference_implIS3_Lb1ELb0EPS5_S8_N6thrust23THRUST_200600_302600_NS5minusIS5_EEEE10hipError_tPvRmT2_T3_mT4_P12ihipStream_tbEUlT_E_NS1_11comp_targetILNS1_3genE2ELNS1_11target_archE906ELNS1_3gpuE6ELNS1_3repE0EEENS1_30default_config_static_selectorELNS0_4arch9wavefront6targetE1EEEvT1_,comdat
.Lfunc_end231:
	.size	_ZN7rocprim17ROCPRIM_400000_NS6detail17trampoline_kernelINS0_14default_configENS1_35adjacent_difference_config_selectorILb1E14custom_numericEEZNS1_24adjacent_difference_implIS3_Lb1ELb0EPS5_S8_N6thrust23THRUST_200600_302600_NS5minusIS5_EEEE10hipError_tPvRmT2_T3_mT4_P12ihipStream_tbEUlT_E_NS1_11comp_targetILNS1_3genE2ELNS1_11target_archE906ELNS1_3gpuE6ELNS1_3repE0EEENS1_30default_config_static_selectorELNS0_4arch9wavefront6targetE1EEEvT1_, .Lfunc_end231-_ZN7rocprim17ROCPRIM_400000_NS6detail17trampoline_kernelINS0_14default_configENS1_35adjacent_difference_config_selectorILb1E14custom_numericEEZNS1_24adjacent_difference_implIS3_Lb1ELb0EPS5_S8_N6thrust23THRUST_200600_302600_NS5minusIS5_EEEE10hipError_tPvRmT2_T3_mT4_P12ihipStream_tbEUlT_E_NS1_11comp_targetILNS1_3genE2ELNS1_11target_archE906ELNS1_3gpuE6ELNS1_3repE0EEENS1_30default_config_static_selectorELNS0_4arch9wavefront6targetE1EEEvT1_
                                        ; -- End function
	.section	.AMDGPU.csdata,"",@progbits
; Kernel info:
; codeLenInByte = 0
; NumSgprs: 4
; NumVgprs: 0
; NumAgprs: 0
; TotalNumVgprs: 0
; ScratchSize: 0
; MemoryBound: 0
; FloatMode: 240
; IeeeMode: 1
; LDSByteSize: 0 bytes/workgroup (compile time only)
; SGPRBlocks: 0
; VGPRBlocks: 0
; NumSGPRsForWavesPerEU: 4
; NumVGPRsForWavesPerEU: 1
; AccumOffset: 4
; Occupancy: 8
; WaveLimiterHint : 0
; COMPUTE_PGM_RSRC2:SCRATCH_EN: 0
; COMPUTE_PGM_RSRC2:USER_SGPR: 6
; COMPUTE_PGM_RSRC2:TRAP_HANDLER: 0
; COMPUTE_PGM_RSRC2:TGID_X_EN: 1
; COMPUTE_PGM_RSRC2:TGID_Y_EN: 0
; COMPUTE_PGM_RSRC2:TGID_Z_EN: 0
; COMPUTE_PGM_RSRC2:TIDIG_COMP_CNT: 0
; COMPUTE_PGM_RSRC3_GFX90A:ACCUM_OFFSET: 0
; COMPUTE_PGM_RSRC3_GFX90A:TG_SPLIT: 0
	.section	.text._ZN7rocprim17ROCPRIM_400000_NS6detail17trampoline_kernelINS0_14default_configENS1_35adjacent_difference_config_selectorILb1E14custom_numericEEZNS1_24adjacent_difference_implIS3_Lb1ELb0EPS5_S8_N6thrust23THRUST_200600_302600_NS5minusIS5_EEEE10hipError_tPvRmT2_T3_mT4_P12ihipStream_tbEUlT_E_NS1_11comp_targetILNS1_3genE9ELNS1_11target_archE1100ELNS1_3gpuE3ELNS1_3repE0EEENS1_30default_config_static_selectorELNS0_4arch9wavefront6targetE1EEEvT1_,"axG",@progbits,_ZN7rocprim17ROCPRIM_400000_NS6detail17trampoline_kernelINS0_14default_configENS1_35adjacent_difference_config_selectorILb1E14custom_numericEEZNS1_24adjacent_difference_implIS3_Lb1ELb0EPS5_S8_N6thrust23THRUST_200600_302600_NS5minusIS5_EEEE10hipError_tPvRmT2_T3_mT4_P12ihipStream_tbEUlT_E_NS1_11comp_targetILNS1_3genE9ELNS1_11target_archE1100ELNS1_3gpuE3ELNS1_3repE0EEENS1_30default_config_static_selectorELNS0_4arch9wavefront6targetE1EEEvT1_,comdat
	.protected	_ZN7rocprim17ROCPRIM_400000_NS6detail17trampoline_kernelINS0_14default_configENS1_35adjacent_difference_config_selectorILb1E14custom_numericEEZNS1_24adjacent_difference_implIS3_Lb1ELb0EPS5_S8_N6thrust23THRUST_200600_302600_NS5minusIS5_EEEE10hipError_tPvRmT2_T3_mT4_P12ihipStream_tbEUlT_E_NS1_11comp_targetILNS1_3genE9ELNS1_11target_archE1100ELNS1_3gpuE3ELNS1_3repE0EEENS1_30default_config_static_selectorELNS0_4arch9wavefront6targetE1EEEvT1_ ; -- Begin function _ZN7rocprim17ROCPRIM_400000_NS6detail17trampoline_kernelINS0_14default_configENS1_35adjacent_difference_config_selectorILb1E14custom_numericEEZNS1_24adjacent_difference_implIS3_Lb1ELb0EPS5_S8_N6thrust23THRUST_200600_302600_NS5minusIS5_EEEE10hipError_tPvRmT2_T3_mT4_P12ihipStream_tbEUlT_E_NS1_11comp_targetILNS1_3genE9ELNS1_11target_archE1100ELNS1_3gpuE3ELNS1_3repE0EEENS1_30default_config_static_selectorELNS0_4arch9wavefront6targetE1EEEvT1_
	.globl	_ZN7rocprim17ROCPRIM_400000_NS6detail17trampoline_kernelINS0_14default_configENS1_35adjacent_difference_config_selectorILb1E14custom_numericEEZNS1_24adjacent_difference_implIS3_Lb1ELb0EPS5_S8_N6thrust23THRUST_200600_302600_NS5minusIS5_EEEE10hipError_tPvRmT2_T3_mT4_P12ihipStream_tbEUlT_E_NS1_11comp_targetILNS1_3genE9ELNS1_11target_archE1100ELNS1_3gpuE3ELNS1_3repE0EEENS1_30default_config_static_selectorELNS0_4arch9wavefront6targetE1EEEvT1_
	.p2align	8
	.type	_ZN7rocprim17ROCPRIM_400000_NS6detail17trampoline_kernelINS0_14default_configENS1_35adjacent_difference_config_selectorILb1E14custom_numericEEZNS1_24adjacent_difference_implIS3_Lb1ELb0EPS5_S8_N6thrust23THRUST_200600_302600_NS5minusIS5_EEEE10hipError_tPvRmT2_T3_mT4_P12ihipStream_tbEUlT_E_NS1_11comp_targetILNS1_3genE9ELNS1_11target_archE1100ELNS1_3gpuE3ELNS1_3repE0EEENS1_30default_config_static_selectorELNS0_4arch9wavefront6targetE1EEEvT1_,@function
_ZN7rocprim17ROCPRIM_400000_NS6detail17trampoline_kernelINS0_14default_configENS1_35adjacent_difference_config_selectorILb1E14custom_numericEEZNS1_24adjacent_difference_implIS3_Lb1ELb0EPS5_S8_N6thrust23THRUST_200600_302600_NS5minusIS5_EEEE10hipError_tPvRmT2_T3_mT4_P12ihipStream_tbEUlT_E_NS1_11comp_targetILNS1_3genE9ELNS1_11target_archE1100ELNS1_3gpuE3ELNS1_3repE0EEENS1_30default_config_static_selectorELNS0_4arch9wavefront6targetE1EEEvT1_: ; @_ZN7rocprim17ROCPRIM_400000_NS6detail17trampoline_kernelINS0_14default_configENS1_35adjacent_difference_config_selectorILb1E14custom_numericEEZNS1_24adjacent_difference_implIS3_Lb1ELb0EPS5_S8_N6thrust23THRUST_200600_302600_NS5minusIS5_EEEE10hipError_tPvRmT2_T3_mT4_P12ihipStream_tbEUlT_E_NS1_11comp_targetILNS1_3genE9ELNS1_11target_archE1100ELNS1_3gpuE3ELNS1_3repE0EEENS1_30default_config_static_selectorELNS0_4arch9wavefront6targetE1EEEvT1_
; %bb.0:
	.section	.rodata,"a",@progbits
	.p2align	6, 0x0
	.amdhsa_kernel _ZN7rocprim17ROCPRIM_400000_NS6detail17trampoline_kernelINS0_14default_configENS1_35adjacent_difference_config_selectorILb1E14custom_numericEEZNS1_24adjacent_difference_implIS3_Lb1ELb0EPS5_S8_N6thrust23THRUST_200600_302600_NS5minusIS5_EEEE10hipError_tPvRmT2_T3_mT4_P12ihipStream_tbEUlT_E_NS1_11comp_targetILNS1_3genE9ELNS1_11target_archE1100ELNS1_3gpuE3ELNS1_3repE0EEENS1_30default_config_static_selectorELNS0_4arch9wavefront6targetE1EEEvT1_
		.amdhsa_group_segment_fixed_size 0
		.amdhsa_private_segment_fixed_size 0
		.amdhsa_kernarg_size 56
		.amdhsa_user_sgpr_count 6
		.amdhsa_user_sgpr_private_segment_buffer 1
		.amdhsa_user_sgpr_dispatch_ptr 0
		.amdhsa_user_sgpr_queue_ptr 0
		.amdhsa_user_sgpr_kernarg_segment_ptr 1
		.amdhsa_user_sgpr_dispatch_id 0
		.amdhsa_user_sgpr_flat_scratch_init 0
		.amdhsa_user_sgpr_kernarg_preload_length 0
		.amdhsa_user_sgpr_kernarg_preload_offset 0
		.amdhsa_user_sgpr_private_segment_size 0
		.amdhsa_uses_dynamic_stack 0
		.amdhsa_system_sgpr_private_segment_wavefront_offset 0
		.amdhsa_system_sgpr_workgroup_id_x 1
		.amdhsa_system_sgpr_workgroup_id_y 0
		.amdhsa_system_sgpr_workgroup_id_z 0
		.amdhsa_system_sgpr_workgroup_info 0
		.amdhsa_system_vgpr_workitem_id 0
		.amdhsa_next_free_vgpr 1
		.amdhsa_next_free_sgpr 0
		.amdhsa_accum_offset 4
		.amdhsa_reserve_vcc 0
		.amdhsa_reserve_flat_scratch 0
		.amdhsa_float_round_mode_32 0
		.amdhsa_float_round_mode_16_64 0
		.amdhsa_float_denorm_mode_32 3
		.amdhsa_float_denorm_mode_16_64 3
		.amdhsa_dx10_clamp 1
		.amdhsa_ieee_mode 1
		.amdhsa_fp16_overflow 0
		.amdhsa_tg_split 0
		.amdhsa_exception_fp_ieee_invalid_op 0
		.amdhsa_exception_fp_denorm_src 0
		.amdhsa_exception_fp_ieee_div_zero 0
		.amdhsa_exception_fp_ieee_overflow 0
		.amdhsa_exception_fp_ieee_underflow 0
		.amdhsa_exception_fp_ieee_inexact 0
		.amdhsa_exception_int_div_zero 0
	.end_amdhsa_kernel
	.section	.text._ZN7rocprim17ROCPRIM_400000_NS6detail17trampoline_kernelINS0_14default_configENS1_35adjacent_difference_config_selectorILb1E14custom_numericEEZNS1_24adjacent_difference_implIS3_Lb1ELb0EPS5_S8_N6thrust23THRUST_200600_302600_NS5minusIS5_EEEE10hipError_tPvRmT2_T3_mT4_P12ihipStream_tbEUlT_E_NS1_11comp_targetILNS1_3genE9ELNS1_11target_archE1100ELNS1_3gpuE3ELNS1_3repE0EEENS1_30default_config_static_selectorELNS0_4arch9wavefront6targetE1EEEvT1_,"axG",@progbits,_ZN7rocprim17ROCPRIM_400000_NS6detail17trampoline_kernelINS0_14default_configENS1_35adjacent_difference_config_selectorILb1E14custom_numericEEZNS1_24adjacent_difference_implIS3_Lb1ELb0EPS5_S8_N6thrust23THRUST_200600_302600_NS5minusIS5_EEEE10hipError_tPvRmT2_T3_mT4_P12ihipStream_tbEUlT_E_NS1_11comp_targetILNS1_3genE9ELNS1_11target_archE1100ELNS1_3gpuE3ELNS1_3repE0EEENS1_30default_config_static_selectorELNS0_4arch9wavefront6targetE1EEEvT1_,comdat
.Lfunc_end232:
	.size	_ZN7rocprim17ROCPRIM_400000_NS6detail17trampoline_kernelINS0_14default_configENS1_35adjacent_difference_config_selectorILb1E14custom_numericEEZNS1_24adjacent_difference_implIS3_Lb1ELb0EPS5_S8_N6thrust23THRUST_200600_302600_NS5minusIS5_EEEE10hipError_tPvRmT2_T3_mT4_P12ihipStream_tbEUlT_E_NS1_11comp_targetILNS1_3genE9ELNS1_11target_archE1100ELNS1_3gpuE3ELNS1_3repE0EEENS1_30default_config_static_selectorELNS0_4arch9wavefront6targetE1EEEvT1_, .Lfunc_end232-_ZN7rocprim17ROCPRIM_400000_NS6detail17trampoline_kernelINS0_14default_configENS1_35adjacent_difference_config_selectorILb1E14custom_numericEEZNS1_24adjacent_difference_implIS3_Lb1ELb0EPS5_S8_N6thrust23THRUST_200600_302600_NS5minusIS5_EEEE10hipError_tPvRmT2_T3_mT4_P12ihipStream_tbEUlT_E_NS1_11comp_targetILNS1_3genE9ELNS1_11target_archE1100ELNS1_3gpuE3ELNS1_3repE0EEENS1_30default_config_static_selectorELNS0_4arch9wavefront6targetE1EEEvT1_
                                        ; -- End function
	.section	.AMDGPU.csdata,"",@progbits
; Kernel info:
; codeLenInByte = 0
; NumSgprs: 4
; NumVgprs: 0
; NumAgprs: 0
; TotalNumVgprs: 0
; ScratchSize: 0
; MemoryBound: 0
; FloatMode: 240
; IeeeMode: 1
; LDSByteSize: 0 bytes/workgroup (compile time only)
; SGPRBlocks: 0
; VGPRBlocks: 0
; NumSGPRsForWavesPerEU: 4
; NumVGPRsForWavesPerEU: 1
; AccumOffset: 4
; Occupancy: 8
; WaveLimiterHint : 0
; COMPUTE_PGM_RSRC2:SCRATCH_EN: 0
; COMPUTE_PGM_RSRC2:USER_SGPR: 6
; COMPUTE_PGM_RSRC2:TRAP_HANDLER: 0
; COMPUTE_PGM_RSRC2:TGID_X_EN: 1
; COMPUTE_PGM_RSRC2:TGID_Y_EN: 0
; COMPUTE_PGM_RSRC2:TGID_Z_EN: 0
; COMPUTE_PGM_RSRC2:TIDIG_COMP_CNT: 0
; COMPUTE_PGM_RSRC3_GFX90A:ACCUM_OFFSET: 0
; COMPUTE_PGM_RSRC3_GFX90A:TG_SPLIT: 0
	.section	.text._ZN7rocprim17ROCPRIM_400000_NS6detail17trampoline_kernelINS0_14default_configENS1_35adjacent_difference_config_selectorILb1E14custom_numericEEZNS1_24adjacent_difference_implIS3_Lb1ELb0EPS5_S8_N6thrust23THRUST_200600_302600_NS5minusIS5_EEEE10hipError_tPvRmT2_T3_mT4_P12ihipStream_tbEUlT_E_NS1_11comp_targetILNS1_3genE8ELNS1_11target_archE1030ELNS1_3gpuE2ELNS1_3repE0EEENS1_30default_config_static_selectorELNS0_4arch9wavefront6targetE1EEEvT1_,"axG",@progbits,_ZN7rocprim17ROCPRIM_400000_NS6detail17trampoline_kernelINS0_14default_configENS1_35adjacent_difference_config_selectorILb1E14custom_numericEEZNS1_24adjacent_difference_implIS3_Lb1ELb0EPS5_S8_N6thrust23THRUST_200600_302600_NS5minusIS5_EEEE10hipError_tPvRmT2_T3_mT4_P12ihipStream_tbEUlT_E_NS1_11comp_targetILNS1_3genE8ELNS1_11target_archE1030ELNS1_3gpuE2ELNS1_3repE0EEENS1_30default_config_static_selectorELNS0_4arch9wavefront6targetE1EEEvT1_,comdat
	.protected	_ZN7rocprim17ROCPRIM_400000_NS6detail17trampoline_kernelINS0_14default_configENS1_35adjacent_difference_config_selectorILb1E14custom_numericEEZNS1_24adjacent_difference_implIS3_Lb1ELb0EPS5_S8_N6thrust23THRUST_200600_302600_NS5minusIS5_EEEE10hipError_tPvRmT2_T3_mT4_P12ihipStream_tbEUlT_E_NS1_11comp_targetILNS1_3genE8ELNS1_11target_archE1030ELNS1_3gpuE2ELNS1_3repE0EEENS1_30default_config_static_selectorELNS0_4arch9wavefront6targetE1EEEvT1_ ; -- Begin function _ZN7rocprim17ROCPRIM_400000_NS6detail17trampoline_kernelINS0_14default_configENS1_35adjacent_difference_config_selectorILb1E14custom_numericEEZNS1_24adjacent_difference_implIS3_Lb1ELb0EPS5_S8_N6thrust23THRUST_200600_302600_NS5minusIS5_EEEE10hipError_tPvRmT2_T3_mT4_P12ihipStream_tbEUlT_E_NS1_11comp_targetILNS1_3genE8ELNS1_11target_archE1030ELNS1_3gpuE2ELNS1_3repE0EEENS1_30default_config_static_selectorELNS0_4arch9wavefront6targetE1EEEvT1_
	.globl	_ZN7rocprim17ROCPRIM_400000_NS6detail17trampoline_kernelINS0_14default_configENS1_35adjacent_difference_config_selectorILb1E14custom_numericEEZNS1_24adjacent_difference_implIS3_Lb1ELb0EPS5_S8_N6thrust23THRUST_200600_302600_NS5minusIS5_EEEE10hipError_tPvRmT2_T3_mT4_P12ihipStream_tbEUlT_E_NS1_11comp_targetILNS1_3genE8ELNS1_11target_archE1030ELNS1_3gpuE2ELNS1_3repE0EEENS1_30default_config_static_selectorELNS0_4arch9wavefront6targetE1EEEvT1_
	.p2align	8
	.type	_ZN7rocprim17ROCPRIM_400000_NS6detail17trampoline_kernelINS0_14default_configENS1_35adjacent_difference_config_selectorILb1E14custom_numericEEZNS1_24adjacent_difference_implIS3_Lb1ELb0EPS5_S8_N6thrust23THRUST_200600_302600_NS5minusIS5_EEEE10hipError_tPvRmT2_T3_mT4_P12ihipStream_tbEUlT_E_NS1_11comp_targetILNS1_3genE8ELNS1_11target_archE1030ELNS1_3gpuE2ELNS1_3repE0EEENS1_30default_config_static_selectorELNS0_4arch9wavefront6targetE1EEEvT1_,@function
_ZN7rocprim17ROCPRIM_400000_NS6detail17trampoline_kernelINS0_14default_configENS1_35adjacent_difference_config_selectorILb1E14custom_numericEEZNS1_24adjacent_difference_implIS3_Lb1ELb0EPS5_S8_N6thrust23THRUST_200600_302600_NS5minusIS5_EEEE10hipError_tPvRmT2_T3_mT4_P12ihipStream_tbEUlT_E_NS1_11comp_targetILNS1_3genE8ELNS1_11target_archE1030ELNS1_3gpuE2ELNS1_3repE0EEENS1_30default_config_static_selectorELNS0_4arch9wavefront6targetE1EEEvT1_: ; @_ZN7rocprim17ROCPRIM_400000_NS6detail17trampoline_kernelINS0_14default_configENS1_35adjacent_difference_config_selectorILb1E14custom_numericEEZNS1_24adjacent_difference_implIS3_Lb1ELb0EPS5_S8_N6thrust23THRUST_200600_302600_NS5minusIS5_EEEE10hipError_tPvRmT2_T3_mT4_P12ihipStream_tbEUlT_E_NS1_11comp_targetILNS1_3genE8ELNS1_11target_archE1030ELNS1_3gpuE2ELNS1_3repE0EEENS1_30default_config_static_selectorELNS0_4arch9wavefront6targetE1EEEvT1_
; %bb.0:
	.section	.rodata,"a",@progbits
	.p2align	6, 0x0
	.amdhsa_kernel _ZN7rocprim17ROCPRIM_400000_NS6detail17trampoline_kernelINS0_14default_configENS1_35adjacent_difference_config_selectorILb1E14custom_numericEEZNS1_24adjacent_difference_implIS3_Lb1ELb0EPS5_S8_N6thrust23THRUST_200600_302600_NS5minusIS5_EEEE10hipError_tPvRmT2_T3_mT4_P12ihipStream_tbEUlT_E_NS1_11comp_targetILNS1_3genE8ELNS1_11target_archE1030ELNS1_3gpuE2ELNS1_3repE0EEENS1_30default_config_static_selectorELNS0_4arch9wavefront6targetE1EEEvT1_
		.amdhsa_group_segment_fixed_size 0
		.amdhsa_private_segment_fixed_size 0
		.amdhsa_kernarg_size 56
		.amdhsa_user_sgpr_count 6
		.amdhsa_user_sgpr_private_segment_buffer 1
		.amdhsa_user_sgpr_dispatch_ptr 0
		.amdhsa_user_sgpr_queue_ptr 0
		.amdhsa_user_sgpr_kernarg_segment_ptr 1
		.amdhsa_user_sgpr_dispatch_id 0
		.amdhsa_user_sgpr_flat_scratch_init 0
		.amdhsa_user_sgpr_kernarg_preload_length 0
		.amdhsa_user_sgpr_kernarg_preload_offset 0
		.amdhsa_user_sgpr_private_segment_size 0
		.amdhsa_uses_dynamic_stack 0
		.amdhsa_system_sgpr_private_segment_wavefront_offset 0
		.amdhsa_system_sgpr_workgroup_id_x 1
		.amdhsa_system_sgpr_workgroup_id_y 0
		.amdhsa_system_sgpr_workgroup_id_z 0
		.amdhsa_system_sgpr_workgroup_info 0
		.amdhsa_system_vgpr_workitem_id 0
		.amdhsa_next_free_vgpr 1
		.amdhsa_next_free_sgpr 0
		.amdhsa_accum_offset 4
		.amdhsa_reserve_vcc 0
		.amdhsa_reserve_flat_scratch 0
		.amdhsa_float_round_mode_32 0
		.amdhsa_float_round_mode_16_64 0
		.amdhsa_float_denorm_mode_32 3
		.amdhsa_float_denorm_mode_16_64 3
		.amdhsa_dx10_clamp 1
		.amdhsa_ieee_mode 1
		.amdhsa_fp16_overflow 0
		.amdhsa_tg_split 0
		.amdhsa_exception_fp_ieee_invalid_op 0
		.amdhsa_exception_fp_denorm_src 0
		.amdhsa_exception_fp_ieee_div_zero 0
		.amdhsa_exception_fp_ieee_overflow 0
		.amdhsa_exception_fp_ieee_underflow 0
		.amdhsa_exception_fp_ieee_inexact 0
		.amdhsa_exception_int_div_zero 0
	.end_amdhsa_kernel
	.section	.text._ZN7rocprim17ROCPRIM_400000_NS6detail17trampoline_kernelINS0_14default_configENS1_35adjacent_difference_config_selectorILb1E14custom_numericEEZNS1_24adjacent_difference_implIS3_Lb1ELb0EPS5_S8_N6thrust23THRUST_200600_302600_NS5minusIS5_EEEE10hipError_tPvRmT2_T3_mT4_P12ihipStream_tbEUlT_E_NS1_11comp_targetILNS1_3genE8ELNS1_11target_archE1030ELNS1_3gpuE2ELNS1_3repE0EEENS1_30default_config_static_selectorELNS0_4arch9wavefront6targetE1EEEvT1_,"axG",@progbits,_ZN7rocprim17ROCPRIM_400000_NS6detail17trampoline_kernelINS0_14default_configENS1_35adjacent_difference_config_selectorILb1E14custom_numericEEZNS1_24adjacent_difference_implIS3_Lb1ELb0EPS5_S8_N6thrust23THRUST_200600_302600_NS5minusIS5_EEEE10hipError_tPvRmT2_T3_mT4_P12ihipStream_tbEUlT_E_NS1_11comp_targetILNS1_3genE8ELNS1_11target_archE1030ELNS1_3gpuE2ELNS1_3repE0EEENS1_30default_config_static_selectorELNS0_4arch9wavefront6targetE1EEEvT1_,comdat
.Lfunc_end233:
	.size	_ZN7rocprim17ROCPRIM_400000_NS6detail17trampoline_kernelINS0_14default_configENS1_35adjacent_difference_config_selectorILb1E14custom_numericEEZNS1_24adjacent_difference_implIS3_Lb1ELb0EPS5_S8_N6thrust23THRUST_200600_302600_NS5minusIS5_EEEE10hipError_tPvRmT2_T3_mT4_P12ihipStream_tbEUlT_E_NS1_11comp_targetILNS1_3genE8ELNS1_11target_archE1030ELNS1_3gpuE2ELNS1_3repE0EEENS1_30default_config_static_selectorELNS0_4arch9wavefront6targetE1EEEvT1_, .Lfunc_end233-_ZN7rocprim17ROCPRIM_400000_NS6detail17trampoline_kernelINS0_14default_configENS1_35adjacent_difference_config_selectorILb1E14custom_numericEEZNS1_24adjacent_difference_implIS3_Lb1ELb0EPS5_S8_N6thrust23THRUST_200600_302600_NS5minusIS5_EEEE10hipError_tPvRmT2_T3_mT4_P12ihipStream_tbEUlT_E_NS1_11comp_targetILNS1_3genE8ELNS1_11target_archE1030ELNS1_3gpuE2ELNS1_3repE0EEENS1_30default_config_static_selectorELNS0_4arch9wavefront6targetE1EEEvT1_
                                        ; -- End function
	.section	.AMDGPU.csdata,"",@progbits
; Kernel info:
; codeLenInByte = 0
; NumSgprs: 4
; NumVgprs: 0
; NumAgprs: 0
; TotalNumVgprs: 0
; ScratchSize: 0
; MemoryBound: 0
; FloatMode: 240
; IeeeMode: 1
; LDSByteSize: 0 bytes/workgroup (compile time only)
; SGPRBlocks: 0
; VGPRBlocks: 0
; NumSGPRsForWavesPerEU: 4
; NumVGPRsForWavesPerEU: 1
; AccumOffset: 4
; Occupancy: 8
; WaveLimiterHint : 0
; COMPUTE_PGM_RSRC2:SCRATCH_EN: 0
; COMPUTE_PGM_RSRC2:USER_SGPR: 6
; COMPUTE_PGM_RSRC2:TRAP_HANDLER: 0
; COMPUTE_PGM_RSRC2:TGID_X_EN: 1
; COMPUTE_PGM_RSRC2:TGID_Y_EN: 0
; COMPUTE_PGM_RSRC2:TGID_Z_EN: 0
; COMPUTE_PGM_RSRC2:TIDIG_COMP_CNT: 0
; COMPUTE_PGM_RSRC3_GFX90A:ACCUM_OFFSET: 0
; COMPUTE_PGM_RSRC3_GFX90A:TG_SPLIT: 0
	.section	.text._ZN6thrust23THRUST_200600_302600_NS11hip_rocprim14__parallel_for6kernelILj256ENS1_20__uninitialized_copy7functorINS0_10device_ptrI14custom_numericEENS0_7pointerIS7_NS1_3tagENS0_11use_defaultESB_EEEEmLj1EEEvT0_T1_SF_,"axG",@progbits,_ZN6thrust23THRUST_200600_302600_NS11hip_rocprim14__parallel_for6kernelILj256ENS1_20__uninitialized_copy7functorINS0_10device_ptrI14custom_numericEENS0_7pointerIS7_NS1_3tagENS0_11use_defaultESB_EEEEmLj1EEEvT0_T1_SF_,comdat
	.protected	_ZN6thrust23THRUST_200600_302600_NS11hip_rocprim14__parallel_for6kernelILj256ENS1_20__uninitialized_copy7functorINS0_10device_ptrI14custom_numericEENS0_7pointerIS7_NS1_3tagENS0_11use_defaultESB_EEEEmLj1EEEvT0_T1_SF_ ; -- Begin function _ZN6thrust23THRUST_200600_302600_NS11hip_rocprim14__parallel_for6kernelILj256ENS1_20__uninitialized_copy7functorINS0_10device_ptrI14custom_numericEENS0_7pointerIS7_NS1_3tagENS0_11use_defaultESB_EEEEmLj1EEEvT0_T1_SF_
	.globl	_ZN6thrust23THRUST_200600_302600_NS11hip_rocprim14__parallel_for6kernelILj256ENS1_20__uninitialized_copy7functorINS0_10device_ptrI14custom_numericEENS0_7pointerIS7_NS1_3tagENS0_11use_defaultESB_EEEEmLj1EEEvT0_T1_SF_
	.p2align	8
	.type	_ZN6thrust23THRUST_200600_302600_NS11hip_rocprim14__parallel_for6kernelILj256ENS1_20__uninitialized_copy7functorINS0_10device_ptrI14custom_numericEENS0_7pointerIS7_NS1_3tagENS0_11use_defaultESB_EEEEmLj1EEEvT0_T1_SF_,@function
_ZN6thrust23THRUST_200600_302600_NS11hip_rocprim14__parallel_for6kernelILj256ENS1_20__uninitialized_copy7functorINS0_10device_ptrI14custom_numericEENS0_7pointerIS7_NS1_3tagENS0_11use_defaultESB_EEEEmLj1EEEvT0_T1_SF_: ; @_ZN6thrust23THRUST_200600_302600_NS11hip_rocprim14__parallel_for6kernelILj256ENS1_20__uninitialized_copy7functorINS0_10device_ptrI14custom_numericEENS0_7pointerIS7_NS1_3tagENS0_11use_defaultESB_EEEEmLj1EEEvT0_T1_SF_
; %bb.0:
	s_load_dwordx8 s[8:15], s[4:5], 0x0
	s_lshl_b32 s0, s6, 8
	v_mov_b32_e32 v2, 0x100
	v_mov_b32_e32 v3, 0
	s_waitcnt lgkmcnt(0)
	s_add_u32 s4, s0, s14
	s_addc_u32 s5, 0, s15
	s_sub_u32 s0, s12, s4
	s_subb_u32 s1, s13, s5
	v_cmp_lt_u64_e32 vcc, s[0:1], v[2:3]
	s_cbranch_vccz .LBB234_2
; %bb.1:
	v_cmp_gt_u32_e32 vcc, s0, v0
	s_and_b64 s[0:1], vcc, exec
	s_cbranch_execz .LBB234_3
	s_branch .LBB234_4
.LBB234_2:
	s_mov_b64 s[0:1], 0
.LBB234_3:
	s_or_b64 s[0:1], s[0:1], exec
.LBB234_4:
	s_and_saveexec_b64 s[2:3], s[0:1]
	s_cbranch_execnz .LBB234_6
; %bb.5:
	s_endpgm
.LBB234_6:
	v_mov_b32_e32 v1, s5
	v_add_co_u32_e32 v4, vcc, s4, v0
	v_mov_b32_e32 v2, s8
	v_mov_b32_e32 v3, s9
	v_addc_co_u32_e32 v5, vcc, 0, v1, vcc
	v_mad_u64_u32 v[0:1], s[0:1], v4, 20, v[2:3]
	v_mul_lo_u32 v6, v5, 20
	v_add_u32_e32 v1, v6, v1
	flat_load_dword v0, v[0:1]
	v_mov_b32_e32 v2, s10
	v_mov_b32_e32 v3, s11
	v_mad_u64_u32 v[4:5], s[0:1], v4, 20, v[2:3]
	v_add_u32_e32 v5, v6, v5
	s_waitcnt vmcnt(0) lgkmcnt(0)
	v_mov_b32_e32 v1, v0
	v_mov_b32_e32 v2, v0
	;; [unrolled: 1-line block ×3, first 2 shown]
	flat_store_dwordx4 v[4:5], v[0:3]
	flat_store_dword v[4:5], v0 offset:16
	s_endpgm
	.section	.rodata,"a",@progbits
	.p2align	6, 0x0
	.amdhsa_kernel _ZN6thrust23THRUST_200600_302600_NS11hip_rocprim14__parallel_for6kernelILj256ENS1_20__uninitialized_copy7functorINS0_10device_ptrI14custom_numericEENS0_7pointerIS7_NS1_3tagENS0_11use_defaultESB_EEEEmLj1EEEvT0_T1_SF_
		.amdhsa_group_segment_fixed_size 0
		.amdhsa_private_segment_fixed_size 0
		.amdhsa_kernarg_size 32
		.amdhsa_user_sgpr_count 6
		.amdhsa_user_sgpr_private_segment_buffer 1
		.amdhsa_user_sgpr_dispatch_ptr 0
		.amdhsa_user_sgpr_queue_ptr 0
		.amdhsa_user_sgpr_kernarg_segment_ptr 1
		.amdhsa_user_sgpr_dispatch_id 0
		.amdhsa_user_sgpr_flat_scratch_init 0
		.amdhsa_user_sgpr_kernarg_preload_length 0
		.amdhsa_user_sgpr_kernarg_preload_offset 0
		.amdhsa_user_sgpr_private_segment_size 0
		.amdhsa_uses_dynamic_stack 0
		.amdhsa_system_sgpr_private_segment_wavefront_offset 0
		.amdhsa_system_sgpr_workgroup_id_x 1
		.amdhsa_system_sgpr_workgroup_id_y 0
		.amdhsa_system_sgpr_workgroup_id_z 0
		.amdhsa_system_sgpr_workgroup_info 0
		.amdhsa_system_vgpr_workitem_id 0
		.amdhsa_next_free_vgpr 7
		.amdhsa_next_free_sgpr 16
		.amdhsa_accum_offset 8
		.amdhsa_reserve_vcc 1
		.amdhsa_reserve_flat_scratch 0
		.amdhsa_float_round_mode_32 0
		.amdhsa_float_round_mode_16_64 0
		.amdhsa_float_denorm_mode_32 3
		.amdhsa_float_denorm_mode_16_64 3
		.amdhsa_dx10_clamp 1
		.amdhsa_ieee_mode 1
		.amdhsa_fp16_overflow 0
		.amdhsa_tg_split 0
		.amdhsa_exception_fp_ieee_invalid_op 0
		.amdhsa_exception_fp_denorm_src 0
		.amdhsa_exception_fp_ieee_div_zero 0
		.amdhsa_exception_fp_ieee_overflow 0
		.amdhsa_exception_fp_ieee_underflow 0
		.amdhsa_exception_fp_ieee_inexact 0
		.amdhsa_exception_int_div_zero 0
	.end_amdhsa_kernel
	.section	.text._ZN6thrust23THRUST_200600_302600_NS11hip_rocprim14__parallel_for6kernelILj256ENS1_20__uninitialized_copy7functorINS0_10device_ptrI14custom_numericEENS0_7pointerIS7_NS1_3tagENS0_11use_defaultESB_EEEEmLj1EEEvT0_T1_SF_,"axG",@progbits,_ZN6thrust23THRUST_200600_302600_NS11hip_rocprim14__parallel_for6kernelILj256ENS1_20__uninitialized_copy7functorINS0_10device_ptrI14custom_numericEENS0_7pointerIS7_NS1_3tagENS0_11use_defaultESB_EEEEmLj1EEEvT0_T1_SF_,comdat
.Lfunc_end234:
	.size	_ZN6thrust23THRUST_200600_302600_NS11hip_rocprim14__parallel_for6kernelILj256ENS1_20__uninitialized_copy7functorINS0_10device_ptrI14custom_numericEENS0_7pointerIS7_NS1_3tagENS0_11use_defaultESB_EEEEmLj1EEEvT0_T1_SF_, .Lfunc_end234-_ZN6thrust23THRUST_200600_302600_NS11hip_rocprim14__parallel_for6kernelILj256ENS1_20__uninitialized_copy7functorINS0_10device_ptrI14custom_numericEENS0_7pointerIS7_NS1_3tagENS0_11use_defaultESB_EEEEmLj1EEEvT0_T1_SF_
                                        ; -- End function
	.section	.AMDGPU.csdata,"",@progbits
; Kernel info:
; codeLenInByte = 192
; NumSgprs: 20
; NumVgprs: 7
; NumAgprs: 0
; TotalNumVgprs: 7
; ScratchSize: 0
; MemoryBound: 0
; FloatMode: 240
; IeeeMode: 1
; LDSByteSize: 0 bytes/workgroup (compile time only)
; SGPRBlocks: 2
; VGPRBlocks: 0
; NumSGPRsForWavesPerEU: 20
; NumVGPRsForWavesPerEU: 7
; AccumOffset: 8
; Occupancy: 8
; WaveLimiterHint : 0
; COMPUTE_PGM_RSRC2:SCRATCH_EN: 0
; COMPUTE_PGM_RSRC2:USER_SGPR: 6
; COMPUTE_PGM_RSRC2:TRAP_HANDLER: 0
; COMPUTE_PGM_RSRC2:TGID_X_EN: 1
; COMPUTE_PGM_RSRC2:TGID_Y_EN: 0
; COMPUTE_PGM_RSRC2:TGID_Z_EN: 0
; COMPUTE_PGM_RSRC2:TIDIG_COMP_CNT: 0
; COMPUTE_PGM_RSRC3_GFX90A:ACCUM_OFFSET: 1
; COMPUTE_PGM_RSRC3_GFX90A:TG_SPLIT: 0
	.section	.text._ZN7rocprim17ROCPRIM_400000_NS6detail17trampoline_kernelINS0_14default_configENS1_35adjacent_difference_config_selectorILb0E14custom_numericEEZNS1_24adjacent_difference_implIS3_Lb0ELb0EPS5_S8_N6thrust23THRUST_200600_302600_NS4plusIS5_EEEE10hipError_tPvRmT2_T3_mT4_P12ihipStream_tbEUlT_E_NS1_11comp_targetILNS1_3genE0ELNS1_11target_archE4294967295ELNS1_3gpuE0ELNS1_3repE0EEENS1_30default_config_static_selectorELNS0_4arch9wavefront6targetE1EEEvT1_,"axG",@progbits,_ZN7rocprim17ROCPRIM_400000_NS6detail17trampoline_kernelINS0_14default_configENS1_35adjacent_difference_config_selectorILb0E14custom_numericEEZNS1_24adjacent_difference_implIS3_Lb0ELb0EPS5_S8_N6thrust23THRUST_200600_302600_NS4plusIS5_EEEE10hipError_tPvRmT2_T3_mT4_P12ihipStream_tbEUlT_E_NS1_11comp_targetILNS1_3genE0ELNS1_11target_archE4294967295ELNS1_3gpuE0ELNS1_3repE0EEENS1_30default_config_static_selectorELNS0_4arch9wavefront6targetE1EEEvT1_,comdat
	.protected	_ZN7rocprim17ROCPRIM_400000_NS6detail17trampoline_kernelINS0_14default_configENS1_35adjacent_difference_config_selectorILb0E14custom_numericEEZNS1_24adjacent_difference_implIS3_Lb0ELb0EPS5_S8_N6thrust23THRUST_200600_302600_NS4plusIS5_EEEE10hipError_tPvRmT2_T3_mT4_P12ihipStream_tbEUlT_E_NS1_11comp_targetILNS1_3genE0ELNS1_11target_archE4294967295ELNS1_3gpuE0ELNS1_3repE0EEENS1_30default_config_static_selectorELNS0_4arch9wavefront6targetE1EEEvT1_ ; -- Begin function _ZN7rocprim17ROCPRIM_400000_NS6detail17trampoline_kernelINS0_14default_configENS1_35adjacent_difference_config_selectorILb0E14custom_numericEEZNS1_24adjacent_difference_implIS3_Lb0ELb0EPS5_S8_N6thrust23THRUST_200600_302600_NS4plusIS5_EEEE10hipError_tPvRmT2_T3_mT4_P12ihipStream_tbEUlT_E_NS1_11comp_targetILNS1_3genE0ELNS1_11target_archE4294967295ELNS1_3gpuE0ELNS1_3repE0EEENS1_30default_config_static_selectorELNS0_4arch9wavefront6targetE1EEEvT1_
	.globl	_ZN7rocprim17ROCPRIM_400000_NS6detail17trampoline_kernelINS0_14default_configENS1_35adjacent_difference_config_selectorILb0E14custom_numericEEZNS1_24adjacent_difference_implIS3_Lb0ELb0EPS5_S8_N6thrust23THRUST_200600_302600_NS4plusIS5_EEEE10hipError_tPvRmT2_T3_mT4_P12ihipStream_tbEUlT_E_NS1_11comp_targetILNS1_3genE0ELNS1_11target_archE4294967295ELNS1_3gpuE0ELNS1_3repE0EEENS1_30default_config_static_selectorELNS0_4arch9wavefront6targetE1EEEvT1_
	.p2align	8
	.type	_ZN7rocprim17ROCPRIM_400000_NS6detail17trampoline_kernelINS0_14default_configENS1_35adjacent_difference_config_selectorILb0E14custom_numericEEZNS1_24adjacent_difference_implIS3_Lb0ELb0EPS5_S8_N6thrust23THRUST_200600_302600_NS4plusIS5_EEEE10hipError_tPvRmT2_T3_mT4_P12ihipStream_tbEUlT_E_NS1_11comp_targetILNS1_3genE0ELNS1_11target_archE4294967295ELNS1_3gpuE0ELNS1_3repE0EEENS1_30default_config_static_selectorELNS0_4arch9wavefront6targetE1EEEvT1_,@function
_ZN7rocprim17ROCPRIM_400000_NS6detail17trampoline_kernelINS0_14default_configENS1_35adjacent_difference_config_selectorILb0E14custom_numericEEZNS1_24adjacent_difference_implIS3_Lb0ELb0EPS5_S8_N6thrust23THRUST_200600_302600_NS4plusIS5_EEEE10hipError_tPvRmT2_T3_mT4_P12ihipStream_tbEUlT_E_NS1_11comp_targetILNS1_3genE0ELNS1_11target_archE4294967295ELNS1_3gpuE0ELNS1_3repE0EEENS1_30default_config_static_selectorELNS0_4arch9wavefront6targetE1EEEvT1_: ; @_ZN7rocprim17ROCPRIM_400000_NS6detail17trampoline_kernelINS0_14default_configENS1_35adjacent_difference_config_selectorILb0E14custom_numericEEZNS1_24adjacent_difference_implIS3_Lb0ELb0EPS5_S8_N6thrust23THRUST_200600_302600_NS4plusIS5_EEEE10hipError_tPvRmT2_T3_mT4_P12ihipStream_tbEUlT_E_NS1_11comp_targetILNS1_3genE0ELNS1_11target_archE4294967295ELNS1_3gpuE0ELNS1_3repE0EEENS1_30default_config_static_selectorELNS0_4arch9wavefront6targetE1EEEvT1_
; %bb.0:
	.section	.rodata,"a",@progbits
	.p2align	6, 0x0
	.amdhsa_kernel _ZN7rocprim17ROCPRIM_400000_NS6detail17trampoline_kernelINS0_14default_configENS1_35adjacent_difference_config_selectorILb0E14custom_numericEEZNS1_24adjacent_difference_implIS3_Lb0ELb0EPS5_S8_N6thrust23THRUST_200600_302600_NS4plusIS5_EEEE10hipError_tPvRmT2_T3_mT4_P12ihipStream_tbEUlT_E_NS1_11comp_targetILNS1_3genE0ELNS1_11target_archE4294967295ELNS1_3gpuE0ELNS1_3repE0EEENS1_30default_config_static_selectorELNS0_4arch9wavefront6targetE1EEEvT1_
		.amdhsa_group_segment_fixed_size 0
		.amdhsa_private_segment_fixed_size 0
		.amdhsa_kernarg_size 56
		.amdhsa_user_sgpr_count 6
		.amdhsa_user_sgpr_private_segment_buffer 1
		.amdhsa_user_sgpr_dispatch_ptr 0
		.amdhsa_user_sgpr_queue_ptr 0
		.amdhsa_user_sgpr_kernarg_segment_ptr 1
		.amdhsa_user_sgpr_dispatch_id 0
		.amdhsa_user_sgpr_flat_scratch_init 0
		.amdhsa_user_sgpr_kernarg_preload_length 0
		.amdhsa_user_sgpr_kernarg_preload_offset 0
		.amdhsa_user_sgpr_private_segment_size 0
		.amdhsa_uses_dynamic_stack 0
		.amdhsa_system_sgpr_private_segment_wavefront_offset 0
		.amdhsa_system_sgpr_workgroup_id_x 1
		.amdhsa_system_sgpr_workgroup_id_y 0
		.amdhsa_system_sgpr_workgroup_id_z 0
		.amdhsa_system_sgpr_workgroup_info 0
		.amdhsa_system_vgpr_workitem_id 0
		.amdhsa_next_free_vgpr 1
		.amdhsa_next_free_sgpr 0
		.amdhsa_accum_offset 4
		.amdhsa_reserve_vcc 0
		.amdhsa_reserve_flat_scratch 0
		.amdhsa_float_round_mode_32 0
		.amdhsa_float_round_mode_16_64 0
		.amdhsa_float_denorm_mode_32 3
		.amdhsa_float_denorm_mode_16_64 3
		.amdhsa_dx10_clamp 1
		.amdhsa_ieee_mode 1
		.amdhsa_fp16_overflow 0
		.amdhsa_tg_split 0
		.amdhsa_exception_fp_ieee_invalid_op 0
		.amdhsa_exception_fp_denorm_src 0
		.amdhsa_exception_fp_ieee_div_zero 0
		.amdhsa_exception_fp_ieee_overflow 0
		.amdhsa_exception_fp_ieee_underflow 0
		.amdhsa_exception_fp_ieee_inexact 0
		.amdhsa_exception_int_div_zero 0
	.end_amdhsa_kernel
	.section	.text._ZN7rocprim17ROCPRIM_400000_NS6detail17trampoline_kernelINS0_14default_configENS1_35adjacent_difference_config_selectorILb0E14custom_numericEEZNS1_24adjacent_difference_implIS3_Lb0ELb0EPS5_S8_N6thrust23THRUST_200600_302600_NS4plusIS5_EEEE10hipError_tPvRmT2_T3_mT4_P12ihipStream_tbEUlT_E_NS1_11comp_targetILNS1_3genE0ELNS1_11target_archE4294967295ELNS1_3gpuE0ELNS1_3repE0EEENS1_30default_config_static_selectorELNS0_4arch9wavefront6targetE1EEEvT1_,"axG",@progbits,_ZN7rocprim17ROCPRIM_400000_NS6detail17trampoline_kernelINS0_14default_configENS1_35adjacent_difference_config_selectorILb0E14custom_numericEEZNS1_24adjacent_difference_implIS3_Lb0ELb0EPS5_S8_N6thrust23THRUST_200600_302600_NS4plusIS5_EEEE10hipError_tPvRmT2_T3_mT4_P12ihipStream_tbEUlT_E_NS1_11comp_targetILNS1_3genE0ELNS1_11target_archE4294967295ELNS1_3gpuE0ELNS1_3repE0EEENS1_30default_config_static_selectorELNS0_4arch9wavefront6targetE1EEEvT1_,comdat
.Lfunc_end235:
	.size	_ZN7rocprim17ROCPRIM_400000_NS6detail17trampoline_kernelINS0_14default_configENS1_35adjacent_difference_config_selectorILb0E14custom_numericEEZNS1_24adjacent_difference_implIS3_Lb0ELb0EPS5_S8_N6thrust23THRUST_200600_302600_NS4plusIS5_EEEE10hipError_tPvRmT2_T3_mT4_P12ihipStream_tbEUlT_E_NS1_11comp_targetILNS1_3genE0ELNS1_11target_archE4294967295ELNS1_3gpuE0ELNS1_3repE0EEENS1_30default_config_static_selectorELNS0_4arch9wavefront6targetE1EEEvT1_, .Lfunc_end235-_ZN7rocprim17ROCPRIM_400000_NS6detail17trampoline_kernelINS0_14default_configENS1_35adjacent_difference_config_selectorILb0E14custom_numericEEZNS1_24adjacent_difference_implIS3_Lb0ELb0EPS5_S8_N6thrust23THRUST_200600_302600_NS4plusIS5_EEEE10hipError_tPvRmT2_T3_mT4_P12ihipStream_tbEUlT_E_NS1_11comp_targetILNS1_3genE0ELNS1_11target_archE4294967295ELNS1_3gpuE0ELNS1_3repE0EEENS1_30default_config_static_selectorELNS0_4arch9wavefront6targetE1EEEvT1_
                                        ; -- End function
	.section	.AMDGPU.csdata,"",@progbits
; Kernel info:
; codeLenInByte = 0
; NumSgprs: 4
; NumVgprs: 0
; NumAgprs: 0
; TotalNumVgprs: 0
; ScratchSize: 0
; MemoryBound: 0
; FloatMode: 240
; IeeeMode: 1
; LDSByteSize: 0 bytes/workgroup (compile time only)
; SGPRBlocks: 0
; VGPRBlocks: 0
; NumSGPRsForWavesPerEU: 4
; NumVGPRsForWavesPerEU: 1
; AccumOffset: 4
; Occupancy: 8
; WaveLimiterHint : 0
; COMPUTE_PGM_RSRC2:SCRATCH_EN: 0
; COMPUTE_PGM_RSRC2:USER_SGPR: 6
; COMPUTE_PGM_RSRC2:TRAP_HANDLER: 0
; COMPUTE_PGM_RSRC2:TGID_X_EN: 1
; COMPUTE_PGM_RSRC2:TGID_Y_EN: 0
; COMPUTE_PGM_RSRC2:TGID_Z_EN: 0
; COMPUTE_PGM_RSRC2:TIDIG_COMP_CNT: 0
; COMPUTE_PGM_RSRC3_GFX90A:ACCUM_OFFSET: 0
; COMPUTE_PGM_RSRC3_GFX90A:TG_SPLIT: 0
	.section	.text._ZN7rocprim17ROCPRIM_400000_NS6detail17trampoline_kernelINS0_14default_configENS1_35adjacent_difference_config_selectorILb0E14custom_numericEEZNS1_24adjacent_difference_implIS3_Lb0ELb0EPS5_S8_N6thrust23THRUST_200600_302600_NS4plusIS5_EEEE10hipError_tPvRmT2_T3_mT4_P12ihipStream_tbEUlT_E_NS1_11comp_targetILNS1_3genE10ELNS1_11target_archE1201ELNS1_3gpuE5ELNS1_3repE0EEENS1_30default_config_static_selectorELNS0_4arch9wavefront6targetE1EEEvT1_,"axG",@progbits,_ZN7rocprim17ROCPRIM_400000_NS6detail17trampoline_kernelINS0_14default_configENS1_35adjacent_difference_config_selectorILb0E14custom_numericEEZNS1_24adjacent_difference_implIS3_Lb0ELb0EPS5_S8_N6thrust23THRUST_200600_302600_NS4plusIS5_EEEE10hipError_tPvRmT2_T3_mT4_P12ihipStream_tbEUlT_E_NS1_11comp_targetILNS1_3genE10ELNS1_11target_archE1201ELNS1_3gpuE5ELNS1_3repE0EEENS1_30default_config_static_selectorELNS0_4arch9wavefront6targetE1EEEvT1_,comdat
	.protected	_ZN7rocprim17ROCPRIM_400000_NS6detail17trampoline_kernelINS0_14default_configENS1_35adjacent_difference_config_selectorILb0E14custom_numericEEZNS1_24adjacent_difference_implIS3_Lb0ELb0EPS5_S8_N6thrust23THRUST_200600_302600_NS4plusIS5_EEEE10hipError_tPvRmT2_T3_mT4_P12ihipStream_tbEUlT_E_NS1_11comp_targetILNS1_3genE10ELNS1_11target_archE1201ELNS1_3gpuE5ELNS1_3repE0EEENS1_30default_config_static_selectorELNS0_4arch9wavefront6targetE1EEEvT1_ ; -- Begin function _ZN7rocprim17ROCPRIM_400000_NS6detail17trampoline_kernelINS0_14default_configENS1_35adjacent_difference_config_selectorILb0E14custom_numericEEZNS1_24adjacent_difference_implIS3_Lb0ELb0EPS5_S8_N6thrust23THRUST_200600_302600_NS4plusIS5_EEEE10hipError_tPvRmT2_T3_mT4_P12ihipStream_tbEUlT_E_NS1_11comp_targetILNS1_3genE10ELNS1_11target_archE1201ELNS1_3gpuE5ELNS1_3repE0EEENS1_30default_config_static_selectorELNS0_4arch9wavefront6targetE1EEEvT1_
	.globl	_ZN7rocprim17ROCPRIM_400000_NS6detail17trampoline_kernelINS0_14default_configENS1_35adjacent_difference_config_selectorILb0E14custom_numericEEZNS1_24adjacent_difference_implIS3_Lb0ELb0EPS5_S8_N6thrust23THRUST_200600_302600_NS4plusIS5_EEEE10hipError_tPvRmT2_T3_mT4_P12ihipStream_tbEUlT_E_NS1_11comp_targetILNS1_3genE10ELNS1_11target_archE1201ELNS1_3gpuE5ELNS1_3repE0EEENS1_30default_config_static_selectorELNS0_4arch9wavefront6targetE1EEEvT1_
	.p2align	8
	.type	_ZN7rocprim17ROCPRIM_400000_NS6detail17trampoline_kernelINS0_14default_configENS1_35adjacent_difference_config_selectorILb0E14custom_numericEEZNS1_24adjacent_difference_implIS3_Lb0ELb0EPS5_S8_N6thrust23THRUST_200600_302600_NS4plusIS5_EEEE10hipError_tPvRmT2_T3_mT4_P12ihipStream_tbEUlT_E_NS1_11comp_targetILNS1_3genE10ELNS1_11target_archE1201ELNS1_3gpuE5ELNS1_3repE0EEENS1_30default_config_static_selectorELNS0_4arch9wavefront6targetE1EEEvT1_,@function
_ZN7rocprim17ROCPRIM_400000_NS6detail17trampoline_kernelINS0_14default_configENS1_35adjacent_difference_config_selectorILb0E14custom_numericEEZNS1_24adjacent_difference_implIS3_Lb0ELb0EPS5_S8_N6thrust23THRUST_200600_302600_NS4plusIS5_EEEE10hipError_tPvRmT2_T3_mT4_P12ihipStream_tbEUlT_E_NS1_11comp_targetILNS1_3genE10ELNS1_11target_archE1201ELNS1_3gpuE5ELNS1_3repE0EEENS1_30default_config_static_selectorELNS0_4arch9wavefront6targetE1EEEvT1_: ; @_ZN7rocprim17ROCPRIM_400000_NS6detail17trampoline_kernelINS0_14default_configENS1_35adjacent_difference_config_selectorILb0E14custom_numericEEZNS1_24adjacent_difference_implIS3_Lb0ELb0EPS5_S8_N6thrust23THRUST_200600_302600_NS4plusIS5_EEEE10hipError_tPvRmT2_T3_mT4_P12ihipStream_tbEUlT_E_NS1_11comp_targetILNS1_3genE10ELNS1_11target_archE1201ELNS1_3gpuE5ELNS1_3repE0EEENS1_30default_config_static_selectorELNS0_4arch9wavefront6targetE1EEEvT1_
; %bb.0:
	.section	.rodata,"a",@progbits
	.p2align	6, 0x0
	.amdhsa_kernel _ZN7rocprim17ROCPRIM_400000_NS6detail17trampoline_kernelINS0_14default_configENS1_35adjacent_difference_config_selectorILb0E14custom_numericEEZNS1_24adjacent_difference_implIS3_Lb0ELb0EPS5_S8_N6thrust23THRUST_200600_302600_NS4plusIS5_EEEE10hipError_tPvRmT2_T3_mT4_P12ihipStream_tbEUlT_E_NS1_11comp_targetILNS1_3genE10ELNS1_11target_archE1201ELNS1_3gpuE5ELNS1_3repE0EEENS1_30default_config_static_selectorELNS0_4arch9wavefront6targetE1EEEvT1_
		.amdhsa_group_segment_fixed_size 0
		.amdhsa_private_segment_fixed_size 0
		.amdhsa_kernarg_size 56
		.amdhsa_user_sgpr_count 6
		.amdhsa_user_sgpr_private_segment_buffer 1
		.amdhsa_user_sgpr_dispatch_ptr 0
		.amdhsa_user_sgpr_queue_ptr 0
		.amdhsa_user_sgpr_kernarg_segment_ptr 1
		.amdhsa_user_sgpr_dispatch_id 0
		.amdhsa_user_sgpr_flat_scratch_init 0
		.amdhsa_user_sgpr_kernarg_preload_length 0
		.amdhsa_user_sgpr_kernarg_preload_offset 0
		.amdhsa_user_sgpr_private_segment_size 0
		.amdhsa_uses_dynamic_stack 0
		.amdhsa_system_sgpr_private_segment_wavefront_offset 0
		.amdhsa_system_sgpr_workgroup_id_x 1
		.amdhsa_system_sgpr_workgroup_id_y 0
		.amdhsa_system_sgpr_workgroup_id_z 0
		.amdhsa_system_sgpr_workgroup_info 0
		.amdhsa_system_vgpr_workitem_id 0
		.amdhsa_next_free_vgpr 1
		.amdhsa_next_free_sgpr 0
		.amdhsa_accum_offset 4
		.amdhsa_reserve_vcc 0
		.amdhsa_reserve_flat_scratch 0
		.amdhsa_float_round_mode_32 0
		.amdhsa_float_round_mode_16_64 0
		.amdhsa_float_denorm_mode_32 3
		.amdhsa_float_denorm_mode_16_64 3
		.amdhsa_dx10_clamp 1
		.amdhsa_ieee_mode 1
		.amdhsa_fp16_overflow 0
		.amdhsa_tg_split 0
		.amdhsa_exception_fp_ieee_invalid_op 0
		.amdhsa_exception_fp_denorm_src 0
		.amdhsa_exception_fp_ieee_div_zero 0
		.amdhsa_exception_fp_ieee_overflow 0
		.amdhsa_exception_fp_ieee_underflow 0
		.amdhsa_exception_fp_ieee_inexact 0
		.amdhsa_exception_int_div_zero 0
	.end_amdhsa_kernel
	.section	.text._ZN7rocprim17ROCPRIM_400000_NS6detail17trampoline_kernelINS0_14default_configENS1_35adjacent_difference_config_selectorILb0E14custom_numericEEZNS1_24adjacent_difference_implIS3_Lb0ELb0EPS5_S8_N6thrust23THRUST_200600_302600_NS4plusIS5_EEEE10hipError_tPvRmT2_T3_mT4_P12ihipStream_tbEUlT_E_NS1_11comp_targetILNS1_3genE10ELNS1_11target_archE1201ELNS1_3gpuE5ELNS1_3repE0EEENS1_30default_config_static_selectorELNS0_4arch9wavefront6targetE1EEEvT1_,"axG",@progbits,_ZN7rocprim17ROCPRIM_400000_NS6detail17trampoline_kernelINS0_14default_configENS1_35adjacent_difference_config_selectorILb0E14custom_numericEEZNS1_24adjacent_difference_implIS3_Lb0ELb0EPS5_S8_N6thrust23THRUST_200600_302600_NS4plusIS5_EEEE10hipError_tPvRmT2_T3_mT4_P12ihipStream_tbEUlT_E_NS1_11comp_targetILNS1_3genE10ELNS1_11target_archE1201ELNS1_3gpuE5ELNS1_3repE0EEENS1_30default_config_static_selectorELNS0_4arch9wavefront6targetE1EEEvT1_,comdat
.Lfunc_end236:
	.size	_ZN7rocprim17ROCPRIM_400000_NS6detail17trampoline_kernelINS0_14default_configENS1_35adjacent_difference_config_selectorILb0E14custom_numericEEZNS1_24adjacent_difference_implIS3_Lb0ELb0EPS5_S8_N6thrust23THRUST_200600_302600_NS4plusIS5_EEEE10hipError_tPvRmT2_T3_mT4_P12ihipStream_tbEUlT_E_NS1_11comp_targetILNS1_3genE10ELNS1_11target_archE1201ELNS1_3gpuE5ELNS1_3repE0EEENS1_30default_config_static_selectorELNS0_4arch9wavefront6targetE1EEEvT1_, .Lfunc_end236-_ZN7rocprim17ROCPRIM_400000_NS6detail17trampoline_kernelINS0_14default_configENS1_35adjacent_difference_config_selectorILb0E14custom_numericEEZNS1_24adjacent_difference_implIS3_Lb0ELb0EPS5_S8_N6thrust23THRUST_200600_302600_NS4plusIS5_EEEE10hipError_tPvRmT2_T3_mT4_P12ihipStream_tbEUlT_E_NS1_11comp_targetILNS1_3genE10ELNS1_11target_archE1201ELNS1_3gpuE5ELNS1_3repE0EEENS1_30default_config_static_selectorELNS0_4arch9wavefront6targetE1EEEvT1_
                                        ; -- End function
	.section	.AMDGPU.csdata,"",@progbits
; Kernel info:
; codeLenInByte = 0
; NumSgprs: 4
; NumVgprs: 0
; NumAgprs: 0
; TotalNumVgprs: 0
; ScratchSize: 0
; MemoryBound: 0
; FloatMode: 240
; IeeeMode: 1
; LDSByteSize: 0 bytes/workgroup (compile time only)
; SGPRBlocks: 0
; VGPRBlocks: 0
; NumSGPRsForWavesPerEU: 4
; NumVGPRsForWavesPerEU: 1
; AccumOffset: 4
; Occupancy: 8
; WaveLimiterHint : 0
; COMPUTE_PGM_RSRC2:SCRATCH_EN: 0
; COMPUTE_PGM_RSRC2:USER_SGPR: 6
; COMPUTE_PGM_RSRC2:TRAP_HANDLER: 0
; COMPUTE_PGM_RSRC2:TGID_X_EN: 1
; COMPUTE_PGM_RSRC2:TGID_Y_EN: 0
; COMPUTE_PGM_RSRC2:TGID_Z_EN: 0
; COMPUTE_PGM_RSRC2:TIDIG_COMP_CNT: 0
; COMPUTE_PGM_RSRC3_GFX90A:ACCUM_OFFSET: 0
; COMPUTE_PGM_RSRC3_GFX90A:TG_SPLIT: 0
	.section	.text._ZN7rocprim17ROCPRIM_400000_NS6detail17trampoline_kernelINS0_14default_configENS1_35adjacent_difference_config_selectorILb0E14custom_numericEEZNS1_24adjacent_difference_implIS3_Lb0ELb0EPS5_S8_N6thrust23THRUST_200600_302600_NS4plusIS5_EEEE10hipError_tPvRmT2_T3_mT4_P12ihipStream_tbEUlT_E_NS1_11comp_targetILNS1_3genE5ELNS1_11target_archE942ELNS1_3gpuE9ELNS1_3repE0EEENS1_30default_config_static_selectorELNS0_4arch9wavefront6targetE1EEEvT1_,"axG",@progbits,_ZN7rocprim17ROCPRIM_400000_NS6detail17trampoline_kernelINS0_14default_configENS1_35adjacent_difference_config_selectorILb0E14custom_numericEEZNS1_24adjacent_difference_implIS3_Lb0ELb0EPS5_S8_N6thrust23THRUST_200600_302600_NS4plusIS5_EEEE10hipError_tPvRmT2_T3_mT4_P12ihipStream_tbEUlT_E_NS1_11comp_targetILNS1_3genE5ELNS1_11target_archE942ELNS1_3gpuE9ELNS1_3repE0EEENS1_30default_config_static_selectorELNS0_4arch9wavefront6targetE1EEEvT1_,comdat
	.protected	_ZN7rocprim17ROCPRIM_400000_NS6detail17trampoline_kernelINS0_14default_configENS1_35adjacent_difference_config_selectorILb0E14custom_numericEEZNS1_24adjacent_difference_implIS3_Lb0ELb0EPS5_S8_N6thrust23THRUST_200600_302600_NS4plusIS5_EEEE10hipError_tPvRmT2_T3_mT4_P12ihipStream_tbEUlT_E_NS1_11comp_targetILNS1_3genE5ELNS1_11target_archE942ELNS1_3gpuE9ELNS1_3repE0EEENS1_30default_config_static_selectorELNS0_4arch9wavefront6targetE1EEEvT1_ ; -- Begin function _ZN7rocprim17ROCPRIM_400000_NS6detail17trampoline_kernelINS0_14default_configENS1_35adjacent_difference_config_selectorILb0E14custom_numericEEZNS1_24adjacent_difference_implIS3_Lb0ELb0EPS5_S8_N6thrust23THRUST_200600_302600_NS4plusIS5_EEEE10hipError_tPvRmT2_T3_mT4_P12ihipStream_tbEUlT_E_NS1_11comp_targetILNS1_3genE5ELNS1_11target_archE942ELNS1_3gpuE9ELNS1_3repE0EEENS1_30default_config_static_selectorELNS0_4arch9wavefront6targetE1EEEvT1_
	.globl	_ZN7rocprim17ROCPRIM_400000_NS6detail17trampoline_kernelINS0_14default_configENS1_35adjacent_difference_config_selectorILb0E14custom_numericEEZNS1_24adjacent_difference_implIS3_Lb0ELb0EPS5_S8_N6thrust23THRUST_200600_302600_NS4plusIS5_EEEE10hipError_tPvRmT2_T3_mT4_P12ihipStream_tbEUlT_E_NS1_11comp_targetILNS1_3genE5ELNS1_11target_archE942ELNS1_3gpuE9ELNS1_3repE0EEENS1_30default_config_static_selectorELNS0_4arch9wavefront6targetE1EEEvT1_
	.p2align	8
	.type	_ZN7rocprim17ROCPRIM_400000_NS6detail17trampoline_kernelINS0_14default_configENS1_35adjacent_difference_config_selectorILb0E14custom_numericEEZNS1_24adjacent_difference_implIS3_Lb0ELb0EPS5_S8_N6thrust23THRUST_200600_302600_NS4plusIS5_EEEE10hipError_tPvRmT2_T3_mT4_P12ihipStream_tbEUlT_E_NS1_11comp_targetILNS1_3genE5ELNS1_11target_archE942ELNS1_3gpuE9ELNS1_3repE0EEENS1_30default_config_static_selectorELNS0_4arch9wavefront6targetE1EEEvT1_,@function
_ZN7rocprim17ROCPRIM_400000_NS6detail17trampoline_kernelINS0_14default_configENS1_35adjacent_difference_config_selectorILb0E14custom_numericEEZNS1_24adjacent_difference_implIS3_Lb0ELb0EPS5_S8_N6thrust23THRUST_200600_302600_NS4plusIS5_EEEE10hipError_tPvRmT2_T3_mT4_P12ihipStream_tbEUlT_E_NS1_11comp_targetILNS1_3genE5ELNS1_11target_archE942ELNS1_3gpuE9ELNS1_3repE0EEENS1_30default_config_static_selectorELNS0_4arch9wavefront6targetE1EEEvT1_: ; @_ZN7rocprim17ROCPRIM_400000_NS6detail17trampoline_kernelINS0_14default_configENS1_35adjacent_difference_config_selectorILb0E14custom_numericEEZNS1_24adjacent_difference_implIS3_Lb0ELb0EPS5_S8_N6thrust23THRUST_200600_302600_NS4plusIS5_EEEE10hipError_tPvRmT2_T3_mT4_P12ihipStream_tbEUlT_E_NS1_11comp_targetILNS1_3genE5ELNS1_11target_archE942ELNS1_3gpuE9ELNS1_3repE0EEENS1_30default_config_static_selectorELNS0_4arch9wavefront6targetE1EEEvT1_
; %bb.0:
	.section	.rodata,"a",@progbits
	.p2align	6, 0x0
	.amdhsa_kernel _ZN7rocprim17ROCPRIM_400000_NS6detail17trampoline_kernelINS0_14default_configENS1_35adjacent_difference_config_selectorILb0E14custom_numericEEZNS1_24adjacent_difference_implIS3_Lb0ELb0EPS5_S8_N6thrust23THRUST_200600_302600_NS4plusIS5_EEEE10hipError_tPvRmT2_T3_mT4_P12ihipStream_tbEUlT_E_NS1_11comp_targetILNS1_3genE5ELNS1_11target_archE942ELNS1_3gpuE9ELNS1_3repE0EEENS1_30default_config_static_selectorELNS0_4arch9wavefront6targetE1EEEvT1_
		.amdhsa_group_segment_fixed_size 0
		.amdhsa_private_segment_fixed_size 0
		.amdhsa_kernarg_size 56
		.amdhsa_user_sgpr_count 6
		.amdhsa_user_sgpr_private_segment_buffer 1
		.amdhsa_user_sgpr_dispatch_ptr 0
		.amdhsa_user_sgpr_queue_ptr 0
		.amdhsa_user_sgpr_kernarg_segment_ptr 1
		.amdhsa_user_sgpr_dispatch_id 0
		.amdhsa_user_sgpr_flat_scratch_init 0
		.amdhsa_user_sgpr_kernarg_preload_length 0
		.amdhsa_user_sgpr_kernarg_preload_offset 0
		.amdhsa_user_sgpr_private_segment_size 0
		.amdhsa_uses_dynamic_stack 0
		.amdhsa_system_sgpr_private_segment_wavefront_offset 0
		.amdhsa_system_sgpr_workgroup_id_x 1
		.amdhsa_system_sgpr_workgroup_id_y 0
		.amdhsa_system_sgpr_workgroup_id_z 0
		.amdhsa_system_sgpr_workgroup_info 0
		.amdhsa_system_vgpr_workitem_id 0
		.amdhsa_next_free_vgpr 1
		.amdhsa_next_free_sgpr 0
		.amdhsa_accum_offset 4
		.amdhsa_reserve_vcc 0
		.amdhsa_reserve_flat_scratch 0
		.amdhsa_float_round_mode_32 0
		.amdhsa_float_round_mode_16_64 0
		.amdhsa_float_denorm_mode_32 3
		.amdhsa_float_denorm_mode_16_64 3
		.amdhsa_dx10_clamp 1
		.amdhsa_ieee_mode 1
		.amdhsa_fp16_overflow 0
		.amdhsa_tg_split 0
		.amdhsa_exception_fp_ieee_invalid_op 0
		.amdhsa_exception_fp_denorm_src 0
		.amdhsa_exception_fp_ieee_div_zero 0
		.amdhsa_exception_fp_ieee_overflow 0
		.amdhsa_exception_fp_ieee_underflow 0
		.amdhsa_exception_fp_ieee_inexact 0
		.amdhsa_exception_int_div_zero 0
	.end_amdhsa_kernel
	.section	.text._ZN7rocprim17ROCPRIM_400000_NS6detail17trampoline_kernelINS0_14default_configENS1_35adjacent_difference_config_selectorILb0E14custom_numericEEZNS1_24adjacent_difference_implIS3_Lb0ELb0EPS5_S8_N6thrust23THRUST_200600_302600_NS4plusIS5_EEEE10hipError_tPvRmT2_T3_mT4_P12ihipStream_tbEUlT_E_NS1_11comp_targetILNS1_3genE5ELNS1_11target_archE942ELNS1_3gpuE9ELNS1_3repE0EEENS1_30default_config_static_selectorELNS0_4arch9wavefront6targetE1EEEvT1_,"axG",@progbits,_ZN7rocprim17ROCPRIM_400000_NS6detail17trampoline_kernelINS0_14default_configENS1_35adjacent_difference_config_selectorILb0E14custom_numericEEZNS1_24adjacent_difference_implIS3_Lb0ELb0EPS5_S8_N6thrust23THRUST_200600_302600_NS4plusIS5_EEEE10hipError_tPvRmT2_T3_mT4_P12ihipStream_tbEUlT_E_NS1_11comp_targetILNS1_3genE5ELNS1_11target_archE942ELNS1_3gpuE9ELNS1_3repE0EEENS1_30default_config_static_selectorELNS0_4arch9wavefront6targetE1EEEvT1_,comdat
.Lfunc_end237:
	.size	_ZN7rocprim17ROCPRIM_400000_NS6detail17trampoline_kernelINS0_14default_configENS1_35adjacent_difference_config_selectorILb0E14custom_numericEEZNS1_24adjacent_difference_implIS3_Lb0ELb0EPS5_S8_N6thrust23THRUST_200600_302600_NS4plusIS5_EEEE10hipError_tPvRmT2_T3_mT4_P12ihipStream_tbEUlT_E_NS1_11comp_targetILNS1_3genE5ELNS1_11target_archE942ELNS1_3gpuE9ELNS1_3repE0EEENS1_30default_config_static_selectorELNS0_4arch9wavefront6targetE1EEEvT1_, .Lfunc_end237-_ZN7rocprim17ROCPRIM_400000_NS6detail17trampoline_kernelINS0_14default_configENS1_35adjacent_difference_config_selectorILb0E14custom_numericEEZNS1_24adjacent_difference_implIS3_Lb0ELb0EPS5_S8_N6thrust23THRUST_200600_302600_NS4plusIS5_EEEE10hipError_tPvRmT2_T3_mT4_P12ihipStream_tbEUlT_E_NS1_11comp_targetILNS1_3genE5ELNS1_11target_archE942ELNS1_3gpuE9ELNS1_3repE0EEENS1_30default_config_static_selectorELNS0_4arch9wavefront6targetE1EEEvT1_
                                        ; -- End function
	.section	.AMDGPU.csdata,"",@progbits
; Kernel info:
; codeLenInByte = 0
; NumSgprs: 4
; NumVgprs: 0
; NumAgprs: 0
; TotalNumVgprs: 0
; ScratchSize: 0
; MemoryBound: 0
; FloatMode: 240
; IeeeMode: 1
; LDSByteSize: 0 bytes/workgroup (compile time only)
; SGPRBlocks: 0
; VGPRBlocks: 0
; NumSGPRsForWavesPerEU: 4
; NumVGPRsForWavesPerEU: 1
; AccumOffset: 4
; Occupancy: 8
; WaveLimiterHint : 0
; COMPUTE_PGM_RSRC2:SCRATCH_EN: 0
; COMPUTE_PGM_RSRC2:USER_SGPR: 6
; COMPUTE_PGM_RSRC2:TRAP_HANDLER: 0
; COMPUTE_PGM_RSRC2:TGID_X_EN: 1
; COMPUTE_PGM_RSRC2:TGID_Y_EN: 0
; COMPUTE_PGM_RSRC2:TGID_Z_EN: 0
; COMPUTE_PGM_RSRC2:TIDIG_COMP_CNT: 0
; COMPUTE_PGM_RSRC3_GFX90A:ACCUM_OFFSET: 0
; COMPUTE_PGM_RSRC3_GFX90A:TG_SPLIT: 0
	.section	.text._ZN7rocprim17ROCPRIM_400000_NS6detail17trampoline_kernelINS0_14default_configENS1_35adjacent_difference_config_selectorILb0E14custom_numericEEZNS1_24adjacent_difference_implIS3_Lb0ELb0EPS5_S8_N6thrust23THRUST_200600_302600_NS4plusIS5_EEEE10hipError_tPvRmT2_T3_mT4_P12ihipStream_tbEUlT_E_NS1_11comp_targetILNS1_3genE4ELNS1_11target_archE910ELNS1_3gpuE8ELNS1_3repE0EEENS1_30default_config_static_selectorELNS0_4arch9wavefront6targetE1EEEvT1_,"axG",@progbits,_ZN7rocprim17ROCPRIM_400000_NS6detail17trampoline_kernelINS0_14default_configENS1_35adjacent_difference_config_selectorILb0E14custom_numericEEZNS1_24adjacent_difference_implIS3_Lb0ELb0EPS5_S8_N6thrust23THRUST_200600_302600_NS4plusIS5_EEEE10hipError_tPvRmT2_T3_mT4_P12ihipStream_tbEUlT_E_NS1_11comp_targetILNS1_3genE4ELNS1_11target_archE910ELNS1_3gpuE8ELNS1_3repE0EEENS1_30default_config_static_selectorELNS0_4arch9wavefront6targetE1EEEvT1_,comdat
	.protected	_ZN7rocprim17ROCPRIM_400000_NS6detail17trampoline_kernelINS0_14default_configENS1_35adjacent_difference_config_selectorILb0E14custom_numericEEZNS1_24adjacent_difference_implIS3_Lb0ELb0EPS5_S8_N6thrust23THRUST_200600_302600_NS4plusIS5_EEEE10hipError_tPvRmT2_T3_mT4_P12ihipStream_tbEUlT_E_NS1_11comp_targetILNS1_3genE4ELNS1_11target_archE910ELNS1_3gpuE8ELNS1_3repE0EEENS1_30default_config_static_selectorELNS0_4arch9wavefront6targetE1EEEvT1_ ; -- Begin function _ZN7rocprim17ROCPRIM_400000_NS6detail17trampoline_kernelINS0_14default_configENS1_35adjacent_difference_config_selectorILb0E14custom_numericEEZNS1_24adjacent_difference_implIS3_Lb0ELb0EPS5_S8_N6thrust23THRUST_200600_302600_NS4plusIS5_EEEE10hipError_tPvRmT2_T3_mT4_P12ihipStream_tbEUlT_E_NS1_11comp_targetILNS1_3genE4ELNS1_11target_archE910ELNS1_3gpuE8ELNS1_3repE0EEENS1_30default_config_static_selectorELNS0_4arch9wavefront6targetE1EEEvT1_
	.globl	_ZN7rocprim17ROCPRIM_400000_NS6detail17trampoline_kernelINS0_14default_configENS1_35adjacent_difference_config_selectorILb0E14custom_numericEEZNS1_24adjacent_difference_implIS3_Lb0ELb0EPS5_S8_N6thrust23THRUST_200600_302600_NS4plusIS5_EEEE10hipError_tPvRmT2_T3_mT4_P12ihipStream_tbEUlT_E_NS1_11comp_targetILNS1_3genE4ELNS1_11target_archE910ELNS1_3gpuE8ELNS1_3repE0EEENS1_30default_config_static_selectorELNS0_4arch9wavefront6targetE1EEEvT1_
	.p2align	8
	.type	_ZN7rocprim17ROCPRIM_400000_NS6detail17trampoline_kernelINS0_14default_configENS1_35adjacent_difference_config_selectorILb0E14custom_numericEEZNS1_24adjacent_difference_implIS3_Lb0ELb0EPS5_S8_N6thrust23THRUST_200600_302600_NS4plusIS5_EEEE10hipError_tPvRmT2_T3_mT4_P12ihipStream_tbEUlT_E_NS1_11comp_targetILNS1_3genE4ELNS1_11target_archE910ELNS1_3gpuE8ELNS1_3repE0EEENS1_30default_config_static_selectorELNS0_4arch9wavefront6targetE1EEEvT1_,@function
_ZN7rocprim17ROCPRIM_400000_NS6detail17trampoline_kernelINS0_14default_configENS1_35adjacent_difference_config_selectorILb0E14custom_numericEEZNS1_24adjacent_difference_implIS3_Lb0ELb0EPS5_S8_N6thrust23THRUST_200600_302600_NS4plusIS5_EEEE10hipError_tPvRmT2_T3_mT4_P12ihipStream_tbEUlT_E_NS1_11comp_targetILNS1_3genE4ELNS1_11target_archE910ELNS1_3gpuE8ELNS1_3repE0EEENS1_30default_config_static_selectorELNS0_4arch9wavefront6targetE1EEEvT1_: ; @_ZN7rocprim17ROCPRIM_400000_NS6detail17trampoline_kernelINS0_14default_configENS1_35adjacent_difference_config_selectorILb0E14custom_numericEEZNS1_24adjacent_difference_implIS3_Lb0ELb0EPS5_S8_N6thrust23THRUST_200600_302600_NS4plusIS5_EEEE10hipError_tPvRmT2_T3_mT4_P12ihipStream_tbEUlT_E_NS1_11comp_targetILNS1_3genE4ELNS1_11target_archE910ELNS1_3gpuE8ELNS1_3repE0EEENS1_30default_config_static_selectorELNS0_4arch9wavefront6targetE1EEEvT1_
; %bb.0:
	s_load_dwordx8 s[8:15], s[4:5], 0x0
	s_load_dwordx2 s[0:1], s[4:5], 0x30
	s_mov_b32 s3, 0x55500000
	v_mov_b32_e32 v1, 0x55555000
	s_mul_i32 s16, s6, 0x300
	s_waitcnt lgkmcnt(0)
	s_mul_i32 s2, s11, 20
	s_mul_hi_u32 s17, s10, 20
	s_add_i32 s17, s17, s2
	s_mul_i32 s18, s10, 20
	s_add_u32 s20, s8, s18
	s_addc_u32 s21, s9, s17
	s_add_u32 s3, 0x55555, s3
	s_addc_u32 s3, 0, 0x555
	;; [unrolled: 2-line block ×3, first 2 shown]
	v_add_co_u32_e32 v1, vcc, s3, v1
	s_cmp_lg_u64 vcc, 0
	s_addc_u32 s3, s4, 0x555555
	v_readfirstlane_b32 s7, v1
	s_mul_i32 s5, s14, s3
	s_mul_hi_u32 s8, s14, s7
	s_mul_hi_u32 s4, s14, s3
	s_add_u32 s5, s8, s5
	s_addc_u32 s4, 0, s4
	s_mul_hi_u32 s9, s15, s7
	s_mul_i32 s7, s15, s7
	s_add_u32 s5, s5, s7
	s_mul_hi_u32 s8, s15, s3
	s_addc_u32 s4, s4, s9
	s_addc_u32 s5, s8, 0
	s_mul_i32 s3, s15, s3
	s_add_u32 s3, s4, s3
	s_addc_u32 s4, 0, s5
	s_add_u32 s5, s3, 1
	s_addc_u32 s7, s4, 0
	s_add_u32 s8, s3, 2
	s_mul_i32 s10, s4, 0x300
	s_mul_hi_u32 s11, s3, 0x300
	s_addc_u32 s9, s4, 0
	s_add_i32 s11, s11, s10
	s_mul_i32 s10, s3, 0x300
	v_mov_b32_e32 v1, s10
	v_sub_co_u32_e32 v1, vcc, s14, v1
	s_movk_i32 s2, 0x300
	s_cmp_lg_u64 vcc, 0
	s_subb_u32 s10, s15, s11
	v_subrev_co_u32_e32 v2, vcc, s2, v1
	s_cmp_lg_u64 vcc, 0
	s_subb_u32 s2, s10, 0
	v_readfirstlane_b32 s11, v2
	s_cmpk_gt_u32 s11, 0x2ff
	s_cselect_b32 s11, -1, 0
	s_cmp_eq_u32 s2, 0
	s_cselect_b32 s2, s11, -1
	s_cmp_lg_u32 s2, 0
	s_cselect_b32 s2, s8, s5
	s_cselect_b32 s5, s9, s7
	v_readfirstlane_b32 s7, v1
	s_cmpk_gt_u32 s7, 0x2ff
	s_cselect_b32 s7, -1, 0
	s_cmp_eq_u32 s10, 0
	s_cselect_b32 s7, s7, -1
	s_cmp_lg_u32 s7, 0
	s_cselect_b32 s4, s5, s4
	s_cselect_b32 s5, s2, s3
	s_mul_i32 s2, s4, 0x300
	s_mul_hi_u32 s3, s5, 0x300
	s_add_i32 s3, s3, s2
	s_mul_i32 s2, s5, 0x300
	s_sub_u32 s2, s14, s2
	s_subb_u32 s3, s15, s3
	s_cmp_lg_u64 s[2:3], 0
	s_cselect_b64 s[2:3], -1, 0
	v_cndmask_b32_e64 v1, 0, 1, s[2:3]
	v_readfirstlane_b32 s2, v1
	s_add_u32 s2, s5, s2
	s_addc_u32 s3, s4, 0
	s_add_u32 s4, s0, s6
	s_addc_u32 s5, s1, 0
	s_add_u32 s6, s2, -1
	s_addc_u32 s7, s3, -1
	v_pk_mov_b32 v[2:3], s[6:7], s[6:7] op_sel:[0,1]
	v_cmp_ge_u64_e64 s[0:1], s[4:5], v[2:3]
	s_mov_b64 s[8:9], -1
	s_and_b64 vcc, exec, s[0:1]
	s_mul_i32 s19, s6, 0xfffffd00
	s_mul_hi_u32 s15, s16, 20
	s_mul_i32 s16, s16, 20
	s_cbranch_vccz .LBB238_8
; %bb.1:
	s_add_i32 s22, s19, s14
	s_add_u32 s8, s20, s16
	s_addc_u32 s9, s21, s15
	v_cmp_gt_u32_e32 vcc, s22, v0
	v_mov_b32_e32 v1, 0
	v_mov_b32_e32 v2, 0
	s_and_saveexec_b64 s[10:11], vcc
	s_cbranch_execz .LBB238_3
; %bb.2:
	v_mad_u64_u32 v[2:3], s[24:25], v0, 20, s[8:9]
	global_load_dword v2, v[2:3], off
.LBB238_3:
	s_or_b64 exec, exec, s[10:11]
	v_or_b32_e32 v3, 0x100, v0
	v_cmp_gt_u32_e32 vcc, s22, v3
	s_and_saveexec_b64 s[10:11], vcc
	s_cbranch_execz .LBB238_5
; %bb.4:
	v_mad_u64_u32 v[4:5], s[24:25], v3, 20, s[8:9]
	global_load_dword v1, v[4:5], off
.LBB238_5:
	s_or_b64 exec, exec, s[10:11]
	v_or_b32_e32 v4, 0x200, v0
	v_cmp_gt_u32_e32 vcc, s22, v4
	v_mov_b32_e32 v3, 0
	s_and_saveexec_b64 s[10:11], vcc
	s_cbranch_execz .LBB238_7
; %bb.6:
	v_mad_u64_u32 v[4:5], s[8:9], v4, 20, s[8:9]
	global_load_dword v3, v[4:5], off
.LBB238_7:
	s_or_b64 exec, exec, s[10:11]
	v_mov_b32_e32 v5, 0x1400
	v_mul_u32_u24_e32 v4, 20, v0
	v_mad_u32_u24 v5, v0, 20, v5
	s_waitcnt vmcnt(0)
	ds_write2_b32 v4, v2, v2 offset1:1
	ds_write2_b32 v4, v2, v2 offset0:2 offset1:3
	ds_write2_b32 v5, v1, v1 offset1:1
	v_mov_b32_e32 v5, 0x1408
	v_mad_u32_u24 v5, v0, 20, v5
	ds_write2_b32 v5, v1, v1 offset1:1
	v_add_u32_e32 v5, 16, v4
	ds_write2st64_b32 v5, v2, v1 offset1:20
	v_mov_b32_e32 v1, 0x2800
	v_mad_u32_u24 v1, v0, 20, v1
	ds_write2_b32 v1, v3, v3 offset1:1
	v_mov_b32_e32 v1, 0x2808
	v_mad_u32_u24 v1, v0, 20, v1
	s_mov_b64 s[8:9], 0
	ds_write2_b32 v1, v3, v3 offset1:1
	ds_write_b32 v4, v3 offset:10256
	s_waitcnt lgkmcnt(0)
	s_barrier
.LBB238_8:
	s_and_b64 vcc, exec, s[8:9]
	v_mul_u32_u24_e32 v1, 20, v0
	s_cbranch_vccz .LBB238_10
; %bb.9:
	s_add_u32 s8, s20, s16
	s_addc_u32 s9, s21, s15
	v_mad_u64_u32 v[2:3], s[8:9], v0, 20, s[8:9]
	v_add_co_u32_e32 v4, vcc, 0x1000, v2
	v_addc_co_u32_e32 v5, vcc, 0, v3, vcc
	global_load_dword v6, v[2:3], off
	global_load_dword v7, v[4:5], off offset:1024
	v_add_co_u32_e32 v2, vcc, 0x2000, v2
	v_addc_co_u32_e32 v3, vcc, 0, v3, vcc
	global_load_dword v2, v[2:3], off offset:2048
	v_mov_b32_e32 v3, 0x1400
	v_mov_b32_e32 v4, 0x1408
	;; [unrolled: 1-line block ×4, first 2 shown]
	v_add_u32_e32 v5, 16, v1
	v_mad_u32_u24 v3, v0, 20, v3
	v_mad_u32_u24 v4, v0, 20, v4
	;; [unrolled: 1-line block ×4, first 2 shown]
	s_waitcnt vmcnt(2)
	ds_write2_b32 v1, v6, v6 offset1:1
	ds_write2_b32 v1, v6, v6 offset0:2 offset1:3
	s_waitcnt vmcnt(1)
	ds_write2_b32 v3, v7, v7 offset1:1
	ds_write2_b32 v4, v7, v7 offset1:1
	ds_write2st64_b32 v5, v6, v7 offset1:20
	s_waitcnt vmcnt(0)
	ds_write2_b32 v8, v2, v2 offset1:1
	ds_write2_b32 v9, v2, v2 offset1:1
	ds_write_b32 v1, v2 offset:10256
	s_waitcnt lgkmcnt(0)
	s_barrier
.LBB238_10:
	v_mul_u32_u24_e32 v2, 3, v0
	v_mul_lo_u32 v4, v2, 20
	ds_read2_b32 v[2:3], v4 offset1:5
	ds_read_b32 v4, v4 offset:40
	s_cmp_eq_u64 s[4:5], 0
	s_waitcnt lgkmcnt(0)
	s_barrier
	s_cbranch_scc1 .LBB238_15
; %bb.11:
	s_add_u32 s8, s20, s16
	s_addc_u32 s9, s21, s15
	s_add_u32 s8, s8, 0xffffffec
	s_addc_u32 s9, s9, -1
	s_load_dword s8, s[8:9], 0x0
	s_cmp_eq_u64 s[4:5], s[6:7]
	s_cbranch_scc1 .LBB238_16
; %bb.12:
	v_cmp_ne_u32_e32 vcc, 0, v0
	s_waitcnt lgkmcnt(0)
	v_mov_b32_e32 v5, s8
	ds_write2_b32 v1, v4, v4 offset1:1
	ds_write2_b32 v1, v4, v4 offset0:2 offset1:3
	ds_write_b32 v1, v4 offset:16
	s_waitcnt lgkmcnt(0)
	s_barrier
	s_and_saveexec_b64 s[6:7], vcc
	s_cbranch_execz .LBB238_14
; %bb.13:
	v_subrev_u32_e32 v5, 20, v1
	ds_read_b32 v5, v5
.LBB238_14:
	s_or_b64 exec, exec, s[6:7]
	s_waitcnt lgkmcnt(0)
	v_add_u32_e32 v5, v5, v2
	v_mov_b32_e32 v6, v3
	v_mov_b32_e32 v7, v2
	s_branch .LBB238_20
.LBB238_15:
                                        ; implicit-def: $vgpr6
                                        ; implicit-def: $vgpr7
                                        ; implicit-def: $vgpr5
	s_branch .LBB238_21
.LBB238_16:
                                        ; implicit-def: $vgpr5
	v_mov_b32_e32 v6, v3
	v_mov_b32_e32 v7, v2
	s_cbranch_execz .LBB238_20
; %bb.17:
	v_mul_u32_u24_e32 v5, 3, v0
	v_cmp_ne_u32_e32 vcc, 0, v0
	s_waitcnt lgkmcnt(0)
	v_mov_b32_e32 v8, s8
	ds_write2_b32 v1, v4, v4 offset1:1
	ds_write2_b32 v1, v4, v4 offset0:2 offset1:3
	ds_write_b32 v1, v4 offset:16
	s_waitcnt lgkmcnt(0)
	s_barrier
	s_and_saveexec_b64 s[6:7], vcc
	s_cbranch_execz .LBB238_19
; %bb.18:
	v_subrev_u32_e32 v6, 20, v1
	ds_read_b32 v8, v6
.LBB238_19:
	s_or_b64 exec, exec, s[6:7]
	s_mulk_i32 s4, 0xfd00
	s_add_i32 s4, s4, s14
	v_add_u32_e32 v6, 1, v5
	v_add_u32_e32 v9, 2, v5
	v_cmp_gt_u32_e32 vcc, s4, v6
	v_cndmask_b32_e32 v7, 0, v2, vcc
	v_cmp_gt_u32_e32 vcc, s4, v9
	v_cndmask_b32_e32 v6, 0, v3, vcc
	v_cmp_gt_u32_e32 vcc, s4, v5
	s_waitcnt lgkmcnt(0)
	v_cndmask_b32_e32 v5, 0, v8, vcc
	v_add_u32_e32 v5, v5, v2
.LBB238_20:
	s_cbranch_execnz .LBB238_30
.LBB238_21:
	s_cmp_eq_u64 s[2:3], 1
	v_cmp_ne_u32_e32 vcc, 0, v0
	s_cbranch_scc1 .LBB238_25
; %bb.22:
	v_mov_b32_e32 v5, v2
	ds_write2_b32 v1, v4, v4 offset1:1
	ds_write2_b32 v1, v4, v4 offset0:2 offset1:3
	ds_write_b32 v1, v4 offset:16
	s_waitcnt lgkmcnt(0)
	s_barrier
	s_and_saveexec_b64 s[2:3], vcc
	s_cbranch_execz .LBB238_24
; %bb.23:
	v_subrev_u32_e32 v5, 20, v1
	ds_read_b32 v5, v5
	s_waitcnt lgkmcnt(0)
	v_add_u32_e32 v5, v5, v2
.LBB238_24:
	s_or_b64 exec, exec, s[2:3]
	v_mov_b32_e32 v6, v3
	s_cbranch_execz .LBB238_26
	s_branch .LBB238_29
.LBB238_25:
                                        ; implicit-def: $vgpr5
	v_mov_b32_e32 v6, v3
.LBB238_26:
	v_mul_u32_u24_e32 v5, 3, v0
	v_mad_u32_u24 v6, v0, 3, 1
	v_mad_u32_u24 v7, v0, 3, 2
	v_cmp_ne_u32_e64 s[4:5], 0, v0
	v_cmp_gt_u32_e64 s[6:7], s14, v5
	v_cmp_gt_u32_e32 vcc, s14, v7
	v_cmp_gt_u32_e64 s[2:3], s14, v6
	s_and_b64 s[6:7], s[4:5], s[6:7]
	v_mov_b32_e32 v5, v2
	ds_write2_b32 v1, v4, v4 offset1:1
	ds_write2_b32 v1, v4, v4 offset0:2 offset1:3
	ds_write_b32 v1, v4 offset:16
	s_waitcnt lgkmcnt(0)
	s_barrier
	s_and_saveexec_b64 s[4:5], s[6:7]
	s_cbranch_execz .LBB238_28
; %bb.27:
	v_subrev_u32_e32 v1, 20, v1
	ds_read_b32 v1, v1
	s_waitcnt lgkmcnt(0)
	v_add_u32_e32 v5, v1, v2
.LBB238_28:
	s_or_b64 exec, exec, s[4:5]
	v_cndmask_b32_e64 v2, 0, v2, s[2:3]
	v_cndmask_b32_e32 v6, 0, v3, vcc
.LBB238_29:
	v_mov_b32_e32 v7, v2
.LBB238_30:
	s_add_u32 s5, s12, s18
	s_addc_u32 s4, s13, s17
	v_add_u32_e32 v1, v6, v4
	v_add_u32_e32 v4, v7, v3
	s_and_b64 vcc, exec, s[0:1]
	v_mul_u32_u24_e32 v8, 60, v0
	s_waitcnt lgkmcnt(0)
	s_barrier
	s_cbranch_vccz .LBB238_36
; %bb.31:
	v_mul_i32_i24_e32 v9, 0xffffffd8, v0
	v_mad_u32_u24 v2, v0, 60, v9
	ds_write2_b32 v8, v5, v5 offset1:1
	ds_write2_b32 v8, v5, v5 offset0:2 offset1:3
	ds_write_b32 v8, v5 offset:16
	ds_write2_b32 v8, v4, v4 offset0:5 offset1:6
	ds_write2_b32 v8, v4, v4 offset0:7 offset1:8
	;; [unrolled: 1-line block ×5, first 2 shown]
	s_waitcnt lgkmcnt(0)
	s_barrier
	ds_read2st64_b32 v[2:3], v2 offset0:20 offset1:40
	s_add_i32 s19, s19, s14
	s_add_u32 s0, s5, s16
	s_addc_u32 s1, s4, s15
	v_mad_u64_u32 v[6:7], s[0:1], v0, 20, s[0:1]
	v_cmp_gt_u32_e32 vcc, s19, v0
	s_and_saveexec_b64 s[0:1], vcc
	s_cbranch_execz .LBB238_33
; %bb.32:
	v_add_u32_e32 v9, v8, v9
	ds_read_b32 v10, v9
	s_waitcnt lgkmcnt(0)
	v_mov_b32_e32 v11, v10
	v_mov_b32_e32 v12, v10
	;; [unrolled: 1-line block ×3, first 2 shown]
	global_store_dwordx4 v[6:7], v[10:13], off
	global_store_dword v[6:7], v10, off offset:16
.LBB238_33:
	s_or_b64 exec, exec, s[0:1]
	v_or_b32_e32 v9, 0x100, v0
	v_cmp_gt_u32_e32 vcc, s19, v9
	s_and_saveexec_b64 s[0:1], vcc
	s_cbranch_execz .LBB238_35
; %bb.34:
	v_add_co_u32_e32 v14, vcc, 0x1000, v6
	s_waitcnt lgkmcnt(0)
	v_mov_b32_e32 v10, v2
	v_mov_b32_e32 v11, v2
	;; [unrolled: 1-line block ×4, first 2 shown]
	v_addc_co_u32_e32 v15, vcc, 0, v7, vcc
	global_store_dwordx4 v[14:15], v[10:13], off offset:1024
	global_store_dword v[14:15], v2, off offset:1040
.LBB238_35:
	s_or_b64 exec, exec, s[0:1]
	s_waitcnt lgkmcnt(0)
	v_or_b32_e32 v2, 0x200, v0
	v_cmp_gt_u32_e64 s[0:1], s19, v2
	s_branch .LBB238_38
.LBB238_36:
	s_mov_b64 s[0:1], 0
                                        ; implicit-def: $vgpr3
                                        ; implicit-def: $vgpr6_vgpr7
	s_cbranch_execz .LBB238_38
; %bb.37:
	ds_write2_b32 v8, v5, v5 offset1:1
	ds_write2_b32 v8, v5, v5 offset0:2 offset1:3
	ds_write_b32 v8, v5 offset:16
	ds_write2_b32 v8, v4, v4 offset0:5 offset1:6
	ds_write2_b32 v8, v4, v4 offset0:7 offset1:8
	;; [unrolled: 1-line block ×5, first 2 shown]
	v_mul_i32_i24_e32 v1, 0xffffffd8, v0
	v_mad_u32_u24 v1, v0, 60, v1
	s_waitcnt lgkmcnt(0)
	s_barrier
	ds_read2st64_b32 v[8:9], v1 offset1:20
	s_add_u32 s2, s5, s16
	ds_read_b32 v3, v1 offset:10240
	s_addc_u32 s3, s4, s15
	v_mad_u64_u32 v[6:7], s[2:3], v0, 20, s[2:3]
	s_waitcnt lgkmcnt(1)
	v_mov_b32_e32 v10, v8
	v_mov_b32_e32 v11, v8
	;; [unrolled: 1-line block ×4, first 2 shown]
	v_add_co_u32_e32 v0, vcc, 0x1000, v6
	global_store_dwordx4 v[6:7], v[10:13], off
	global_store_dword v[6:7], v8, off offset:16
	v_mov_b32_e32 v8, v9
	v_mov_b32_e32 v10, v9
	;; [unrolled: 1-line block ×3, first 2 shown]
	v_addc_co_u32_e32 v1, vcc, 0, v7, vcc
	s_or_b64 s[0:1], s[0:1], exec
	global_store_dwordx4 v[0:1], v[8:11], off offset:1024
	global_store_dword v[0:1], v9, off offset:1040
.LBB238_38:
	s_and_saveexec_b64 s[2:3], s[0:1]
	s_cbranch_execnz .LBB238_40
; %bb.39:
	s_endpgm
.LBB238_40:
	v_add_co_u32_e32 v0, vcc, 0x2000, v6
	s_waitcnt lgkmcnt(0)
	v_mov_b32_e32 v2, v3
	v_mov_b32_e32 v4, v3
	;; [unrolled: 1-line block ×3, first 2 shown]
	v_addc_co_u32_e32 v1, vcc, 0, v7, vcc
	global_store_dwordx4 v[0:1], v[2:5], off offset:2048
	global_store_dword v[0:1], v3, off offset:2064
	s_endpgm
	.section	.rodata,"a",@progbits
	.p2align	6, 0x0
	.amdhsa_kernel _ZN7rocprim17ROCPRIM_400000_NS6detail17trampoline_kernelINS0_14default_configENS1_35adjacent_difference_config_selectorILb0E14custom_numericEEZNS1_24adjacent_difference_implIS3_Lb0ELb0EPS5_S8_N6thrust23THRUST_200600_302600_NS4plusIS5_EEEE10hipError_tPvRmT2_T3_mT4_P12ihipStream_tbEUlT_E_NS1_11comp_targetILNS1_3genE4ELNS1_11target_archE910ELNS1_3gpuE8ELNS1_3repE0EEENS1_30default_config_static_selectorELNS0_4arch9wavefront6targetE1EEEvT1_
		.amdhsa_group_segment_fixed_size 15360
		.amdhsa_private_segment_fixed_size 0
		.amdhsa_kernarg_size 56
		.amdhsa_user_sgpr_count 6
		.amdhsa_user_sgpr_private_segment_buffer 1
		.amdhsa_user_sgpr_dispatch_ptr 0
		.amdhsa_user_sgpr_queue_ptr 0
		.amdhsa_user_sgpr_kernarg_segment_ptr 1
		.amdhsa_user_sgpr_dispatch_id 0
		.amdhsa_user_sgpr_flat_scratch_init 0
		.amdhsa_user_sgpr_kernarg_preload_length 0
		.amdhsa_user_sgpr_kernarg_preload_offset 0
		.amdhsa_user_sgpr_private_segment_size 0
		.amdhsa_uses_dynamic_stack 0
		.amdhsa_system_sgpr_private_segment_wavefront_offset 0
		.amdhsa_system_sgpr_workgroup_id_x 1
		.amdhsa_system_sgpr_workgroup_id_y 0
		.amdhsa_system_sgpr_workgroup_id_z 0
		.amdhsa_system_sgpr_workgroup_info 0
		.amdhsa_system_vgpr_workitem_id 0
		.amdhsa_next_free_vgpr 16
		.amdhsa_next_free_sgpr 26
		.amdhsa_accum_offset 16
		.amdhsa_reserve_vcc 1
		.amdhsa_reserve_flat_scratch 0
		.amdhsa_float_round_mode_32 0
		.amdhsa_float_round_mode_16_64 0
		.amdhsa_float_denorm_mode_32 3
		.amdhsa_float_denorm_mode_16_64 3
		.amdhsa_dx10_clamp 1
		.amdhsa_ieee_mode 1
		.amdhsa_fp16_overflow 0
		.amdhsa_tg_split 0
		.amdhsa_exception_fp_ieee_invalid_op 0
		.amdhsa_exception_fp_denorm_src 0
		.amdhsa_exception_fp_ieee_div_zero 0
		.amdhsa_exception_fp_ieee_overflow 0
		.amdhsa_exception_fp_ieee_underflow 0
		.amdhsa_exception_fp_ieee_inexact 0
		.amdhsa_exception_int_div_zero 0
	.end_amdhsa_kernel
	.section	.text._ZN7rocprim17ROCPRIM_400000_NS6detail17trampoline_kernelINS0_14default_configENS1_35adjacent_difference_config_selectorILb0E14custom_numericEEZNS1_24adjacent_difference_implIS3_Lb0ELb0EPS5_S8_N6thrust23THRUST_200600_302600_NS4plusIS5_EEEE10hipError_tPvRmT2_T3_mT4_P12ihipStream_tbEUlT_E_NS1_11comp_targetILNS1_3genE4ELNS1_11target_archE910ELNS1_3gpuE8ELNS1_3repE0EEENS1_30default_config_static_selectorELNS0_4arch9wavefront6targetE1EEEvT1_,"axG",@progbits,_ZN7rocprim17ROCPRIM_400000_NS6detail17trampoline_kernelINS0_14default_configENS1_35adjacent_difference_config_selectorILb0E14custom_numericEEZNS1_24adjacent_difference_implIS3_Lb0ELb0EPS5_S8_N6thrust23THRUST_200600_302600_NS4plusIS5_EEEE10hipError_tPvRmT2_T3_mT4_P12ihipStream_tbEUlT_E_NS1_11comp_targetILNS1_3genE4ELNS1_11target_archE910ELNS1_3gpuE8ELNS1_3repE0EEENS1_30default_config_static_selectorELNS0_4arch9wavefront6targetE1EEEvT1_,comdat
.Lfunc_end238:
	.size	_ZN7rocprim17ROCPRIM_400000_NS6detail17trampoline_kernelINS0_14default_configENS1_35adjacent_difference_config_selectorILb0E14custom_numericEEZNS1_24adjacent_difference_implIS3_Lb0ELb0EPS5_S8_N6thrust23THRUST_200600_302600_NS4plusIS5_EEEE10hipError_tPvRmT2_T3_mT4_P12ihipStream_tbEUlT_E_NS1_11comp_targetILNS1_3genE4ELNS1_11target_archE910ELNS1_3gpuE8ELNS1_3repE0EEENS1_30default_config_static_selectorELNS0_4arch9wavefront6targetE1EEEvT1_, .Lfunc_end238-_ZN7rocprim17ROCPRIM_400000_NS6detail17trampoline_kernelINS0_14default_configENS1_35adjacent_difference_config_selectorILb0E14custom_numericEEZNS1_24adjacent_difference_implIS3_Lb0ELb0EPS5_S8_N6thrust23THRUST_200600_302600_NS4plusIS5_EEEE10hipError_tPvRmT2_T3_mT4_P12ihipStream_tbEUlT_E_NS1_11comp_targetILNS1_3genE4ELNS1_11target_archE910ELNS1_3gpuE8ELNS1_3repE0EEENS1_30default_config_static_selectorELNS0_4arch9wavefront6targetE1EEEvT1_
                                        ; -- End function
	.section	.AMDGPU.csdata,"",@progbits
; Kernel info:
; codeLenInByte = 2064
; NumSgprs: 30
; NumVgprs: 16
; NumAgprs: 0
; TotalNumVgprs: 16
; ScratchSize: 0
; MemoryBound: 0
; FloatMode: 240
; IeeeMode: 1
; LDSByteSize: 15360 bytes/workgroup (compile time only)
; SGPRBlocks: 3
; VGPRBlocks: 1
; NumSGPRsForWavesPerEU: 30
; NumVGPRsForWavesPerEU: 16
; AccumOffset: 16
; Occupancy: 4
; WaveLimiterHint : 1
; COMPUTE_PGM_RSRC2:SCRATCH_EN: 0
; COMPUTE_PGM_RSRC2:USER_SGPR: 6
; COMPUTE_PGM_RSRC2:TRAP_HANDLER: 0
; COMPUTE_PGM_RSRC2:TGID_X_EN: 1
; COMPUTE_PGM_RSRC2:TGID_Y_EN: 0
; COMPUTE_PGM_RSRC2:TGID_Z_EN: 0
; COMPUTE_PGM_RSRC2:TIDIG_COMP_CNT: 0
; COMPUTE_PGM_RSRC3_GFX90A:ACCUM_OFFSET: 3
; COMPUTE_PGM_RSRC3_GFX90A:TG_SPLIT: 0
	.section	.text._ZN7rocprim17ROCPRIM_400000_NS6detail17trampoline_kernelINS0_14default_configENS1_35adjacent_difference_config_selectorILb0E14custom_numericEEZNS1_24adjacent_difference_implIS3_Lb0ELb0EPS5_S8_N6thrust23THRUST_200600_302600_NS4plusIS5_EEEE10hipError_tPvRmT2_T3_mT4_P12ihipStream_tbEUlT_E_NS1_11comp_targetILNS1_3genE3ELNS1_11target_archE908ELNS1_3gpuE7ELNS1_3repE0EEENS1_30default_config_static_selectorELNS0_4arch9wavefront6targetE1EEEvT1_,"axG",@progbits,_ZN7rocprim17ROCPRIM_400000_NS6detail17trampoline_kernelINS0_14default_configENS1_35adjacent_difference_config_selectorILb0E14custom_numericEEZNS1_24adjacent_difference_implIS3_Lb0ELb0EPS5_S8_N6thrust23THRUST_200600_302600_NS4plusIS5_EEEE10hipError_tPvRmT2_T3_mT4_P12ihipStream_tbEUlT_E_NS1_11comp_targetILNS1_3genE3ELNS1_11target_archE908ELNS1_3gpuE7ELNS1_3repE0EEENS1_30default_config_static_selectorELNS0_4arch9wavefront6targetE1EEEvT1_,comdat
	.protected	_ZN7rocprim17ROCPRIM_400000_NS6detail17trampoline_kernelINS0_14default_configENS1_35adjacent_difference_config_selectorILb0E14custom_numericEEZNS1_24adjacent_difference_implIS3_Lb0ELb0EPS5_S8_N6thrust23THRUST_200600_302600_NS4plusIS5_EEEE10hipError_tPvRmT2_T3_mT4_P12ihipStream_tbEUlT_E_NS1_11comp_targetILNS1_3genE3ELNS1_11target_archE908ELNS1_3gpuE7ELNS1_3repE0EEENS1_30default_config_static_selectorELNS0_4arch9wavefront6targetE1EEEvT1_ ; -- Begin function _ZN7rocprim17ROCPRIM_400000_NS6detail17trampoline_kernelINS0_14default_configENS1_35adjacent_difference_config_selectorILb0E14custom_numericEEZNS1_24adjacent_difference_implIS3_Lb0ELb0EPS5_S8_N6thrust23THRUST_200600_302600_NS4plusIS5_EEEE10hipError_tPvRmT2_T3_mT4_P12ihipStream_tbEUlT_E_NS1_11comp_targetILNS1_3genE3ELNS1_11target_archE908ELNS1_3gpuE7ELNS1_3repE0EEENS1_30default_config_static_selectorELNS0_4arch9wavefront6targetE1EEEvT1_
	.globl	_ZN7rocprim17ROCPRIM_400000_NS6detail17trampoline_kernelINS0_14default_configENS1_35adjacent_difference_config_selectorILb0E14custom_numericEEZNS1_24adjacent_difference_implIS3_Lb0ELb0EPS5_S8_N6thrust23THRUST_200600_302600_NS4plusIS5_EEEE10hipError_tPvRmT2_T3_mT4_P12ihipStream_tbEUlT_E_NS1_11comp_targetILNS1_3genE3ELNS1_11target_archE908ELNS1_3gpuE7ELNS1_3repE0EEENS1_30default_config_static_selectorELNS0_4arch9wavefront6targetE1EEEvT1_
	.p2align	8
	.type	_ZN7rocprim17ROCPRIM_400000_NS6detail17trampoline_kernelINS0_14default_configENS1_35adjacent_difference_config_selectorILb0E14custom_numericEEZNS1_24adjacent_difference_implIS3_Lb0ELb0EPS5_S8_N6thrust23THRUST_200600_302600_NS4plusIS5_EEEE10hipError_tPvRmT2_T3_mT4_P12ihipStream_tbEUlT_E_NS1_11comp_targetILNS1_3genE3ELNS1_11target_archE908ELNS1_3gpuE7ELNS1_3repE0EEENS1_30default_config_static_selectorELNS0_4arch9wavefront6targetE1EEEvT1_,@function
_ZN7rocprim17ROCPRIM_400000_NS6detail17trampoline_kernelINS0_14default_configENS1_35adjacent_difference_config_selectorILb0E14custom_numericEEZNS1_24adjacent_difference_implIS3_Lb0ELb0EPS5_S8_N6thrust23THRUST_200600_302600_NS4plusIS5_EEEE10hipError_tPvRmT2_T3_mT4_P12ihipStream_tbEUlT_E_NS1_11comp_targetILNS1_3genE3ELNS1_11target_archE908ELNS1_3gpuE7ELNS1_3repE0EEENS1_30default_config_static_selectorELNS0_4arch9wavefront6targetE1EEEvT1_: ; @_ZN7rocprim17ROCPRIM_400000_NS6detail17trampoline_kernelINS0_14default_configENS1_35adjacent_difference_config_selectorILb0E14custom_numericEEZNS1_24adjacent_difference_implIS3_Lb0ELb0EPS5_S8_N6thrust23THRUST_200600_302600_NS4plusIS5_EEEE10hipError_tPvRmT2_T3_mT4_P12ihipStream_tbEUlT_E_NS1_11comp_targetILNS1_3genE3ELNS1_11target_archE908ELNS1_3gpuE7ELNS1_3repE0EEENS1_30default_config_static_selectorELNS0_4arch9wavefront6targetE1EEEvT1_
; %bb.0:
	.section	.rodata,"a",@progbits
	.p2align	6, 0x0
	.amdhsa_kernel _ZN7rocprim17ROCPRIM_400000_NS6detail17trampoline_kernelINS0_14default_configENS1_35adjacent_difference_config_selectorILb0E14custom_numericEEZNS1_24adjacent_difference_implIS3_Lb0ELb0EPS5_S8_N6thrust23THRUST_200600_302600_NS4plusIS5_EEEE10hipError_tPvRmT2_T3_mT4_P12ihipStream_tbEUlT_E_NS1_11comp_targetILNS1_3genE3ELNS1_11target_archE908ELNS1_3gpuE7ELNS1_3repE0EEENS1_30default_config_static_selectorELNS0_4arch9wavefront6targetE1EEEvT1_
		.amdhsa_group_segment_fixed_size 0
		.amdhsa_private_segment_fixed_size 0
		.amdhsa_kernarg_size 56
		.amdhsa_user_sgpr_count 6
		.amdhsa_user_sgpr_private_segment_buffer 1
		.amdhsa_user_sgpr_dispatch_ptr 0
		.amdhsa_user_sgpr_queue_ptr 0
		.amdhsa_user_sgpr_kernarg_segment_ptr 1
		.amdhsa_user_sgpr_dispatch_id 0
		.amdhsa_user_sgpr_flat_scratch_init 0
		.amdhsa_user_sgpr_kernarg_preload_length 0
		.amdhsa_user_sgpr_kernarg_preload_offset 0
		.amdhsa_user_sgpr_private_segment_size 0
		.amdhsa_uses_dynamic_stack 0
		.amdhsa_system_sgpr_private_segment_wavefront_offset 0
		.amdhsa_system_sgpr_workgroup_id_x 1
		.amdhsa_system_sgpr_workgroup_id_y 0
		.amdhsa_system_sgpr_workgroup_id_z 0
		.amdhsa_system_sgpr_workgroup_info 0
		.amdhsa_system_vgpr_workitem_id 0
		.amdhsa_next_free_vgpr 1
		.amdhsa_next_free_sgpr 0
		.amdhsa_accum_offset 4
		.amdhsa_reserve_vcc 0
		.amdhsa_reserve_flat_scratch 0
		.amdhsa_float_round_mode_32 0
		.amdhsa_float_round_mode_16_64 0
		.amdhsa_float_denorm_mode_32 3
		.amdhsa_float_denorm_mode_16_64 3
		.amdhsa_dx10_clamp 1
		.amdhsa_ieee_mode 1
		.amdhsa_fp16_overflow 0
		.amdhsa_tg_split 0
		.amdhsa_exception_fp_ieee_invalid_op 0
		.amdhsa_exception_fp_denorm_src 0
		.amdhsa_exception_fp_ieee_div_zero 0
		.amdhsa_exception_fp_ieee_overflow 0
		.amdhsa_exception_fp_ieee_underflow 0
		.amdhsa_exception_fp_ieee_inexact 0
		.amdhsa_exception_int_div_zero 0
	.end_amdhsa_kernel
	.section	.text._ZN7rocprim17ROCPRIM_400000_NS6detail17trampoline_kernelINS0_14default_configENS1_35adjacent_difference_config_selectorILb0E14custom_numericEEZNS1_24adjacent_difference_implIS3_Lb0ELb0EPS5_S8_N6thrust23THRUST_200600_302600_NS4plusIS5_EEEE10hipError_tPvRmT2_T3_mT4_P12ihipStream_tbEUlT_E_NS1_11comp_targetILNS1_3genE3ELNS1_11target_archE908ELNS1_3gpuE7ELNS1_3repE0EEENS1_30default_config_static_selectorELNS0_4arch9wavefront6targetE1EEEvT1_,"axG",@progbits,_ZN7rocprim17ROCPRIM_400000_NS6detail17trampoline_kernelINS0_14default_configENS1_35adjacent_difference_config_selectorILb0E14custom_numericEEZNS1_24adjacent_difference_implIS3_Lb0ELb0EPS5_S8_N6thrust23THRUST_200600_302600_NS4plusIS5_EEEE10hipError_tPvRmT2_T3_mT4_P12ihipStream_tbEUlT_E_NS1_11comp_targetILNS1_3genE3ELNS1_11target_archE908ELNS1_3gpuE7ELNS1_3repE0EEENS1_30default_config_static_selectorELNS0_4arch9wavefront6targetE1EEEvT1_,comdat
.Lfunc_end239:
	.size	_ZN7rocprim17ROCPRIM_400000_NS6detail17trampoline_kernelINS0_14default_configENS1_35adjacent_difference_config_selectorILb0E14custom_numericEEZNS1_24adjacent_difference_implIS3_Lb0ELb0EPS5_S8_N6thrust23THRUST_200600_302600_NS4plusIS5_EEEE10hipError_tPvRmT2_T3_mT4_P12ihipStream_tbEUlT_E_NS1_11comp_targetILNS1_3genE3ELNS1_11target_archE908ELNS1_3gpuE7ELNS1_3repE0EEENS1_30default_config_static_selectorELNS0_4arch9wavefront6targetE1EEEvT1_, .Lfunc_end239-_ZN7rocprim17ROCPRIM_400000_NS6detail17trampoline_kernelINS0_14default_configENS1_35adjacent_difference_config_selectorILb0E14custom_numericEEZNS1_24adjacent_difference_implIS3_Lb0ELb0EPS5_S8_N6thrust23THRUST_200600_302600_NS4plusIS5_EEEE10hipError_tPvRmT2_T3_mT4_P12ihipStream_tbEUlT_E_NS1_11comp_targetILNS1_3genE3ELNS1_11target_archE908ELNS1_3gpuE7ELNS1_3repE0EEENS1_30default_config_static_selectorELNS0_4arch9wavefront6targetE1EEEvT1_
                                        ; -- End function
	.section	.AMDGPU.csdata,"",@progbits
; Kernel info:
; codeLenInByte = 0
; NumSgprs: 4
; NumVgprs: 0
; NumAgprs: 0
; TotalNumVgprs: 0
; ScratchSize: 0
; MemoryBound: 0
; FloatMode: 240
; IeeeMode: 1
; LDSByteSize: 0 bytes/workgroup (compile time only)
; SGPRBlocks: 0
; VGPRBlocks: 0
; NumSGPRsForWavesPerEU: 4
; NumVGPRsForWavesPerEU: 1
; AccumOffset: 4
; Occupancy: 8
; WaveLimiterHint : 0
; COMPUTE_PGM_RSRC2:SCRATCH_EN: 0
; COMPUTE_PGM_RSRC2:USER_SGPR: 6
; COMPUTE_PGM_RSRC2:TRAP_HANDLER: 0
; COMPUTE_PGM_RSRC2:TGID_X_EN: 1
; COMPUTE_PGM_RSRC2:TGID_Y_EN: 0
; COMPUTE_PGM_RSRC2:TGID_Z_EN: 0
; COMPUTE_PGM_RSRC2:TIDIG_COMP_CNT: 0
; COMPUTE_PGM_RSRC3_GFX90A:ACCUM_OFFSET: 0
; COMPUTE_PGM_RSRC3_GFX90A:TG_SPLIT: 0
	.section	.text._ZN7rocprim17ROCPRIM_400000_NS6detail17trampoline_kernelINS0_14default_configENS1_35adjacent_difference_config_selectorILb0E14custom_numericEEZNS1_24adjacent_difference_implIS3_Lb0ELb0EPS5_S8_N6thrust23THRUST_200600_302600_NS4plusIS5_EEEE10hipError_tPvRmT2_T3_mT4_P12ihipStream_tbEUlT_E_NS1_11comp_targetILNS1_3genE2ELNS1_11target_archE906ELNS1_3gpuE6ELNS1_3repE0EEENS1_30default_config_static_selectorELNS0_4arch9wavefront6targetE1EEEvT1_,"axG",@progbits,_ZN7rocprim17ROCPRIM_400000_NS6detail17trampoline_kernelINS0_14default_configENS1_35adjacent_difference_config_selectorILb0E14custom_numericEEZNS1_24adjacent_difference_implIS3_Lb0ELb0EPS5_S8_N6thrust23THRUST_200600_302600_NS4plusIS5_EEEE10hipError_tPvRmT2_T3_mT4_P12ihipStream_tbEUlT_E_NS1_11comp_targetILNS1_3genE2ELNS1_11target_archE906ELNS1_3gpuE6ELNS1_3repE0EEENS1_30default_config_static_selectorELNS0_4arch9wavefront6targetE1EEEvT1_,comdat
	.protected	_ZN7rocprim17ROCPRIM_400000_NS6detail17trampoline_kernelINS0_14default_configENS1_35adjacent_difference_config_selectorILb0E14custom_numericEEZNS1_24adjacent_difference_implIS3_Lb0ELb0EPS5_S8_N6thrust23THRUST_200600_302600_NS4plusIS5_EEEE10hipError_tPvRmT2_T3_mT4_P12ihipStream_tbEUlT_E_NS1_11comp_targetILNS1_3genE2ELNS1_11target_archE906ELNS1_3gpuE6ELNS1_3repE0EEENS1_30default_config_static_selectorELNS0_4arch9wavefront6targetE1EEEvT1_ ; -- Begin function _ZN7rocprim17ROCPRIM_400000_NS6detail17trampoline_kernelINS0_14default_configENS1_35adjacent_difference_config_selectorILb0E14custom_numericEEZNS1_24adjacent_difference_implIS3_Lb0ELb0EPS5_S8_N6thrust23THRUST_200600_302600_NS4plusIS5_EEEE10hipError_tPvRmT2_T3_mT4_P12ihipStream_tbEUlT_E_NS1_11comp_targetILNS1_3genE2ELNS1_11target_archE906ELNS1_3gpuE6ELNS1_3repE0EEENS1_30default_config_static_selectorELNS0_4arch9wavefront6targetE1EEEvT1_
	.globl	_ZN7rocprim17ROCPRIM_400000_NS6detail17trampoline_kernelINS0_14default_configENS1_35adjacent_difference_config_selectorILb0E14custom_numericEEZNS1_24adjacent_difference_implIS3_Lb0ELb0EPS5_S8_N6thrust23THRUST_200600_302600_NS4plusIS5_EEEE10hipError_tPvRmT2_T3_mT4_P12ihipStream_tbEUlT_E_NS1_11comp_targetILNS1_3genE2ELNS1_11target_archE906ELNS1_3gpuE6ELNS1_3repE0EEENS1_30default_config_static_selectorELNS0_4arch9wavefront6targetE1EEEvT1_
	.p2align	8
	.type	_ZN7rocprim17ROCPRIM_400000_NS6detail17trampoline_kernelINS0_14default_configENS1_35adjacent_difference_config_selectorILb0E14custom_numericEEZNS1_24adjacent_difference_implIS3_Lb0ELb0EPS5_S8_N6thrust23THRUST_200600_302600_NS4plusIS5_EEEE10hipError_tPvRmT2_T3_mT4_P12ihipStream_tbEUlT_E_NS1_11comp_targetILNS1_3genE2ELNS1_11target_archE906ELNS1_3gpuE6ELNS1_3repE0EEENS1_30default_config_static_selectorELNS0_4arch9wavefront6targetE1EEEvT1_,@function
_ZN7rocprim17ROCPRIM_400000_NS6detail17trampoline_kernelINS0_14default_configENS1_35adjacent_difference_config_selectorILb0E14custom_numericEEZNS1_24adjacent_difference_implIS3_Lb0ELb0EPS5_S8_N6thrust23THRUST_200600_302600_NS4plusIS5_EEEE10hipError_tPvRmT2_T3_mT4_P12ihipStream_tbEUlT_E_NS1_11comp_targetILNS1_3genE2ELNS1_11target_archE906ELNS1_3gpuE6ELNS1_3repE0EEENS1_30default_config_static_selectorELNS0_4arch9wavefront6targetE1EEEvT1_: ; @_ZN7rocprim17ROCPRIM_400000_NS6detail17trampoline_kernelINS0_14default_configENS1_35adjacent_difference_config_selectorILb0E14custom_numericEEZNS1_24adjacent_difference_implIS3_Lb0ELb0EPS5_S8_N6thrust23THRUST_200600_302600_NS4plusIS5_EEEE10hipError_tPvRmT2_T3_mT4_P12ihipStream_tbEUlT_E_NS1_11comp_targetILNS1_3genE2ELNS1_11target_archE906ELNS1_3gpuE6ELNS1_3repE0EEENS1_30default_config_static_selectorELNS0_4arch9wavefront6targetE1EEEvT1_
; %bb.0:
	.section	.rodata,"a",@progbits
	.p2align	6, 0x0
	.amdhsa_kernel _ZN7rocprim17ROCPRIM_400000_NS6detail17trampoline_kernelINS0_14default_configENS1_35adjacent_difference_config_selectorILb0E14custom_numericEEZNS1_24adjacent_difference_implIS3_Lb0ELb0EPS5_S8_N6thrust23THRUST_200600_302600_NS4plusIS5_EEEE10hipError_tPvRmT2_T3_mT4_P12ihipStream_tbEUlT_E_NS1_11comp_targetILNS1_3genE2ELNS1_11target_archE906ELNS1_3gpuE6ELNS1_3repE0EEENS1_30default_config_static_selectorELNS0_4arch9wavefront6targetE1EEEvT1_
		.amdhsa_group_segment_fixed_size 0
		.amdhsa_private_segment_fixed_size 0
		.amdhsa_kernarg_size 56
		.amdhsa_user_sgpr_count 6
		.amdhsa_user_sgpr_private_segment_buffer 1
		.amdhsa_user_sgpr_dispatch_ptr 0
		.amdhsa_user_sgpr_queue_ptr 0
		.amdhsa_user_sgpr_kernarg_segment_ptr 1
		.amdhsa_user_sgpr_dispatch_id 0
		.amdhsa_user_sgpr_flat_scratch_init 0
		.amdhsa_user_sgpr_kernarg_preload_length 0
		.amdhsa_user_sgpr_kernarg_preload_offset 0
		.amdhsa_user_sgpr_private_segment_size 0
		.amdhsa_uses_dynamic_stack 0
		.amdhsa_system_sgpr_private_segment_wavefront_offset 0
		.amdhsa_system_sgpr_workgroup_id_x 1
		.amdhsa_system_sgpr_workgroup_id_y 0
		.amdhsa_system_sgpr_workgroup_id_z 0
		.amdhsa_system_sgpr_workgroup_info 0
		.amdhsa_system_vgpr_workitem_id 0
		.amdhsa_next_free_vgpr 1
		.amdhsa_next_free_sgpr 0
		.amdhsa_accum_offset 4
		.amdhsa_reserve_vcc 0
		.amdhsa_reserve_flat_scratch 0
		.amdhsa_float_round_mode_32 0
		.amdhsa_float_round_mode_16_64 0
		.amdhsa_float_denorm_mode_32 3
		.amdhsa_float_denorm_mode_16_64 3
		.amdhsa_dx10_clamp 1
		.amdhsa_ieee_mode 1
		.amdhsa_fp16_overflow 0
		.amdhsa_tg_split 0
		.amdhsa_exception_fp_ieee_invalid_op 0
		.amdhsa_exception_fp_denorm_src 0
		.amdhsa_exception_fp_ieee_div_zero 0
		.amdhsa_exception_fp_ieee_overflow 0
		.amdhsa_exception_fp_ieee_underflow 0
		.amdhsa_exception_fp_ieee_inexact 0
		.amdhsa_exception_int_div_zero 0
	.end_amdhsa_kernel
	.section	.text._ZN7rocprim17ROCPRIM_400000_NS6detail17trampoline_kernelINS0_14default_configENS1_35adjacent_difference_config_selectorILb0E14custom_numericEEZNS1_24adjacent_difference_implIS3_Lb0ELb0EPS5_S8_N6thrust23THRUST_200600_302600_NS4plusIS5_EEEE10hipError_tPvRmT2_T3_mT4_P12ihipStream_tbEUlT_E_NS1_11comp_targetILNS1_3genE2ELNS1_11target_archE906ELNS1_3gpuE6ELNS1_3repE0EEENS1_30default_config_static_selectorELNS0_4arch9wavefront6targetE1EEEvT1_,"axG",@progbits,_ZN7rocprim17ROCPRIM_400000_NS6detail17trampoline_kernelINS0_14default_configENS1_35adjacent_difference_config_selectorILb0E14custom_numericEEZNS1_24adjacent_difference_implIS3_Lb0ELb0EPS5_S8_N6thrust23THRUST_200600_302600_NS4plusIS5_EEEE10hipError_tPvRmT2_T3_mT4_P12ihipStream_tbEUlT_E_NS1_11comp_targetILNS1_3genE2ELNS1_11target_archE906ELNS1_3gpuE6ELNS1_3repE0EEENS1_30default_config_static_selectorELNS0_4arch9wavefront6targetE1EEEvT1_,comdat
.Lfunc_end240:
	.size	_ZN7rocprim17ROCPRIM_400000_NS6detail17trampoline_kernelINS0_14default_configENS1_35adjacent_difference_config_selectorILb0E14custom_numericEEZNS1_24adjacent_difference_implIS3_Lb0ELb0EPS5_S8_N6thrust23THRUST_200600_302600_NS4plusIS5_EEEE10hipError_tPvRmT2_T3_mT4_P12ihipStream_tbEUlT_E_NS1_11comp_targetILNS1_3genE2ELNS1_11target_archE906ELNS1_3gpuE6ELNS1_3repE0EEENS1_30default_config_static_selectorELNS0_4arch9wavefront6targetE1EEEvT1_, .Lfunc_end240-_ZN7rocprim17ROCPRIM_400000_NS6detail17trampoline_kernelINS0_14default_configENS1_35adjacent_difference_config_selectorILb0E14custom_numericEEZNS1_24adjacent_difference_implIS3_Lb0ELb0EPS5_S8_N6thrust23THRUST_200600_302600_NS4plusIS5_EEEE10hipError_tPvRmT2_T3_mT4_P12ihipStream_tbEUlT_E_NS1_11comp_targetILNS1_3genE2ELNS1_11target_archE906ELNS1_3gpuE6ELNS1_3repE0EEENS1_30default_config_static_selectorELNS0_4arch9wavefront6targetE1EEEvT1_
                                        ; -- End function
	.section	.AMDGPU.csdata,"",@progbits
; Kernel info:
; codeLenInByte = 0
; NumSgprs: 4
; NumVgprs: 0
; NumAgprs: 0
; TotalNumVgprs: 0
; ScratchSize: 0
; MemoryBound: 0
; FloatMode: 240
; IeeeMode: 1
; LDSByteSize: 0 bytes/workgroup (compile time only)
; SGPRBlocks: 0
; VGPRBlocks: 0
; NumSGPRsForWavesPerEU: 4
; NumVGPRsForWavesPerEU: 1
; AccumOffset: 4
; Occupancy: 8
; WaveLimiterHint : 0
; COMPUTE_PGM_RSRC2:SCRATCH_EN: 0
; COMPUTE_PGM_RSRC2:USER_SGPR: 6
; COMPUTE_PGM_RSRC2:TRAP_HANDLER: 0
; COMPUTE_PGM_RSRC2:TGID_X_EN: 1
; COMPUTE_PGM_RSRC2:TGID_Y_EN: 0
; COMPUTE_PGM_RSRC2:TGID_Z_EN: 0
; COMPUTE_PGM_RSRC2:TIDIG_COMP_CNT: 0
; COMPUTE_PGM_RSRC3_GFX90A:ACCUM_OFFSET: 0
; COMPUTE_PGM_RSRC3_GFX90A:TG_SPLIT: 0
	.section	.text._ZN7rocprim17ROCPRIM_400000_NS6detail17trampoline_kernelINS0_14default_configENS1_35adjacent_difference_config_selectorILb0E14custom_numericEEZNS1_24adjacent_difference_implIS3_Lb0ELb0EPS5_S8_N6thrust23THRUST_200600_302600_NS4plusIS5_EEEE10hipError_tPvRmT2_T3_mT4_P12ihipStream_tbEUlT_E_NS1_11comp_targetILNS1_3genE9ELNS1_11target_archE1100ELNS1_3gpuE3ELNS1_3repE0EEENS1_30default_config_static_selectorELNS0_4arch9wavefront6targetE1EEEvT1_,"axG",@progbits,_ZN7rocprim17ROCPRIM_400000_NS6detail17trampoline_kernelINS0_14default_configENS1_35adjacent_difference_config_selectorILb0E14custom_numericEEZNS1_24adjacent_difference_implIS3_Lb0ELb0EPS5_S8_N6thrust23THRUST_200600_302600_NS4plusIS5_EEEE10hipError_tPvRmT2_T3_mT4_P12ihipStream_tbEUlT_E_NS1_11comp_targetILNS1_3genE9ELNS1_11target_archE1100ELNS1_3gpuE3ELNS1_3repE0EEENS1_30default_config_static_selectorELNS0_4arch9wavefront6targetE1EEEvT1_,comdat
	.protected	_ZN7rocprim17ROCPRIM_400000_NS6detail17trampoline_kernelINS0_14default_configENS1_35adjacent_difference_config_selectorILb0E14custom_numericEEZNS1_24adjacent_difference_implIS3_Lb0ELb0EPS5_S8_N6thrust23THRUST_200600_302600_NS4plusIS5_EEEE10hipError_tPvRmT2_T3_mT4_P12ihipStream_tbEUlT_E_NS1_11comp_targetILNS1_3genE9ELNS1_11target_archE1100ELNS1_3gpuE3ELNS1_3repE0EEENS1_30default_config_static_selectorELNS0_4arch9wavefront6targetE1EEEvT1_ ; -- Begin function _ZN7rocprim17ROCPRIM_400000_NS6detail17trampoline_kernelINS0_14default_configENS1_35adjacent_difference_config_selectorILb0E14custom_numericEEZNS1_24adjacent_difference_implIS3_Lb0ELb0EPS5_S8_N6thrust23THRUST_200600_302600_NS4plusIS5_EEEE10hipError_tPvRmT2_T3_mT4_P12ihipStream_tbEUlT_E_NS1_11comp_targetILNS1_3genE9ELNS1_11target_archE1100ELNS1_3gpuE3ELNS1_3repE0EEENS1_30default_config_static_selectorELNS0_4arch9wavefront6targetE1EEEvT1_
	.globl	_ZN7rocprim17ROCPRIM_400000_NS6detail17trampoline_kernelINS0_14default_configENS1_35adjacent_difference_config_selectorILb0E14custom_numericEEZNS1_24adjacent_difference_implIS3_Lb0ELb0EPS5_S8_N6thrust23THRUST_200600_302600_NS4plusIS5_EEEE10hipError_tPvRmT2_T3_mT4_P12ihipStream_tbEUlT_E_NS1_11comp_targetILNS1_3genE9ELNS1_11target_archE1100ELNS1_3gpuE3ELNS1_3repE0EEENS1_30default_config_static_selectorELNS0_4arch9wavefront6targetE1EEEvT1_
	.p2align	8
	.type	_ZN7rocprim17ROCPRIM_400000_NS6detail17trampoline_kernelINS0_14default_configENS1_35adjacent_difference_config_selectorILb0E14custom_numericEEZNS1_24adjacent_difference_implIS3_Lb0ELb0EPS5_S8_N6thrust23THRUST_200600_302600_NS4plusIS5_EEEE10hipError_tPvRmT2_T3_mT4_P12ihipStream_tbEUlT_E_NS1_11comp_targetILNS1_3genE9ELNS1_11target_archE1100ELNS1_3gpuE3ELNS1_3repE0EEENS1_30default_config_static_selectorELNS0_4arch9wavefront6targetE1EEEvT1_,@function
_ZN7rocprim17ROCPRIM_400000_NS6detail17trampoline_kernelINS0_14default_configENS1_35adjacent_difference_config_selectorILb0E14custom_numericEEZNS1_24adjacent_difference_implIS3_Lb0ELb0EPS5_S8_N6thrust23THRUST_200600_302600_NS4plusIS5_EEEE10hipError_tPvRmT2_T3_mT4_P12ihipStream_tbEUlT_E_NS1_11comp_targetILNS1_3genE9ELNS1_11target_archE1100ELNS1_3gpuE3ELNS1_3repE0EEENS1_30default_config_static_selectorELNS0_4arch9wavefront6targetE1EEEvT1_: ; @_ZN7rocprim17ROCPRIM_400000_NS6detail17trampoline_kernelINS0_14default_configENS1_35adjacent_difference_config_selectorILb0E14custom_numericEEZNS1_24adjacent_difference_implIS3_Lb0ELb0EPS5_S8_N6thrust23THRUST_200600_302600_NS4plusIS5_EEEE10hipError_tPvRmT2_T3_mT4_P12ihipStream_tbEUlT_E_NS1_11comp_targetILNS1_3genE9ELNS1_11target_archE1100ELNS1_3gpuE3ELNS1_3repE0EEENS1_30default_config_static_selectorELNS0_4arch9wavefront6targetE1EEEvT1_
; %bb.0:
	.section	.rodata,"a",@progbits
	.p2align	6, 0x0
	.amdhsa_kernel _ZN7rocprim17ROCPRIM_400000_NS6detail17trampoline_kernelINS0_14default_configENS1_35adjacent_difference_config_selectorILb0E14custom_numericEEZNS1_24adjacent_difference_implIS3_Lb0ELb0EPS5_S8_N6thrust23THRUST_200600_302600_NS4plusIS5_EEEE10hipError_tPvRmT2_T3_mT4_P12ihipStream_tbEUlT_E_NS1_11comp_targetILNS1_3genE9ELNS1_11target_archE1100ELNS1_3gpuE3ELNS1_3repE0EEENS1_30default_config_static_selectorELNS0_4arch9wavefront6targetE1EEEvT1_
		.amdhsa_group_segment_fixed_size 0
		.amdhsa_private_segment_fixed_size 0
		.amdhsa_kernarg_size 56
		.amdhsa_user_sgpr_count 6
		.amdhsa_user_sgpr_private_segment_buffer 1
		.amdhsa_user_sgpr_dispatch_ptr 0
		.amdhsa_user_sgpr_queue_ptr 0
		.amdhsa_user_sgpr_kernarg_segment_ptr 1
		.amdhsa_user_sgpr_dispatch_id 0
		.amdhsa_user_sgpr_flat_scratch_init 0
		.amdhsa_user_sgpr_kernarg_preload_length 0
		.amdhsa_user_sgpr_kernarg_preload_offset 0
		.amdhsa_user_sgpr_private_segment_size 0
		.amdhsa_uses_dynamic_stack 0
		.amdhsa_system_sgpr_private_segment_wavefront_offset 0
		.amdhsa_system_sgpr_workgroup_id_x 1
		.amdhsa_system_sgpr_workgroup_id_y 0
		.amdhsa_system_sgpr_workgroup_id_z 0
		.amdhsa_system_sgpr_workgroup_info 0
		.amdhsa_system_vgpr_workitem_id 0
		.amdhsa_next_free_vgpr 1
		.amdhsa_next_free_sgpr 0
		.amdhsa_accum_offset 4
		.amdhsa_reserve_vcc 0
		.amdhsa_reserve_flat_scratch 0
		.amdhsa_float_round_mode_32 0
		.amdhsa_float_round_mode_16_64 0
		.amdhsa_float_denorm_mode_32 3
		.amdhsa_float_denorm_mode_16_64 3
		.amdhsa_dx10_clamp 1
		.amdhsa_ieee_mode 1
		.amdhsa_fp16_overflow 0
		.amdhsa_tg_split 0
		.amdhsa_exception_fp_ieee_invalid_op 0
		.amdhsa_exception_fp_denorm_src 0
		.amdhsa_exception_fp_ieee_div_zero 0
		.amdhsa_exception_fp_ieee_overflow 0
		.amdhsa_exception_fp_ieee_underflow 0
		.amdhsa_exception_fp_ieee_inexact 0
		.amdhsa_exception_int_div_zero 0
	.end_amdhsa_kernel
	.section	.text._ZN7rocprim17ROCPRIM_400000_NS6detail17trampoline_kernelINS0_14default_configENS1_35adjacent_difference_config_selectorILb0E14custom_numericEEZNS1_24adjacent_difference_implIS3_Lb0ELb0EPS5_S8_N6thrust23THRUST_200600_302600_NS4plusIS5_EEEE10hipError_tPvRmT2_T3_mT4_P12ihipStream_tbEUlT_E_NS1_11comp_targetILNS1_3genE9ELNS1_11target_archE1100ELNS1_3gpuE3ELNS1_3repE0EEENS1_30default_config_static_selectorELNS0_4arch9wavefront6targetE1EEEvT1_,"axG",@progbits,_ZN7rocprim17ROCPRIM_400000_NS6detail17trampoline_kernelINS0_14default_configENS1_35adjacent_difference_config_selectorILb0E14custom_numericEEZNS1_24adjacent_difference_implIS3_Lb0ELb0EPS5_S8_N6thrust23THRUST_200600_302600_NS4plusIS5_EEEE10hipError_tPvRmT2_T3_mT4_P12ihipStream_tbEUlT_E_NS1_11comp_targetILNS1_3genE9ELNS1_11target_archE1100ELNS1_3gpuE3ELNS1_3repE0EEENS1_30default_config_static_selectorELNS0_4arch9wavefront6targetE1EEEvT1_,comdat
.Lfunc_end241:
	.size	_ZN7rocprim17ROCPRIM_400000_NS6detail17trampoline_kernelINS0_14default_configENS1_35adjacent_difference_config_selectorILb0E14custom_numericEEZNS1_24adjacent_difference_implIS3_Lb0ELb0EPS5_S8_N6thrust23THRUST_200600_302600_NS4plusIS5_EEEE10hipError_tPvRmT2_T3_mT4_P12ihipStream_tbEUlT_E_NS1_11comp_targetILNS1_3genE9ELNS1_11target_archE1100ELNS1_3gpuE3ELNS1_3repE0EEENS1_30default_config_static_selectorELNS0_4arch9wavefront6targetE1EEEvT1_, .Lfunc_end241-_ZN7rocprim17ROCPRIM_400000_NS6detail17trampoline_kernelINS0_14default_configENS1_35adjacent_difference_config_selectorILb0E14custom_numericEEZNS1_24adjacent_difference_implIS3_Lb0ELb0EPS5_S8_N6thrust23THRUST_200600_302600_NS4plusIS5_EEEE10hipError_tPvRmT2_T3_mT4_P12ihipStream_tbEUlT_E_NS1_11comp_targetILNS1_3genE9ELNS1_11target_archE1100ELNS1_3gpuE3ELNS1_3repE0EEENS1_30default_config_static_selectorELNS0_4arch9wavefront6targetE1EEEvT1_
                                        ; -- End function
	.section	.AMDGPU.csdata,"",@progbits
; Kernel info:
; codeLenInByte = 0
; NumSgprs: 4
; NumVgprs: 0
; NumAgprs: 0
; TotalNumVgprs: 0
; ScratchSize: 0
; MemoryBound: 0
; FloatMode: 240
; IeeeMode: 1
; LDSByteSize: 0 bytes/workgroup (compile time only)
; SGPRBlocks: 0
; VGPRBlocks: 0
; NumSGPRsForWavesPerEU: 4
; NumVGPRsForWavesPerEU: 1
; AccumOffset: 4
; Occupancy: 8
; WaveLimiterHint : 0
; COMPUTE_PGM_RSRC2:SCRATCH_EN: 0
; COMPUTE_PGM_RSRC2:USER_SGPR: 6
; COMPUTE_PGM_RSRC2:TRAP_HANDLER: 0
; COMPUTE_PGM_RSRC2:TGID_X_EN: 1
; COMPUTE_PGM_RSRC2:TGID_Y_EN: 0
; COMPUTE_PGM_RSRC2:TGID_Z_EN: 0
; COMPUTE_PGM_RSRC2:TIDIG_COMP_CNT: 0
; COMPUTE_PGM_RSRC3_GFX90A:ACCUM_OFFSET: 0
; COMPUTE_PGM_RSRC3_GFX90A:TG_SPLIT: 0
	.section	.text._ZN7rocprim17ROCPRIM_400000_NS6detail17trampoline_kernelINS0_14default_configENS1_35adjacent_difference_config_selectorILb0E14custom_numericEEZNS1_24adjacent_difference_implIS3_Lb0ELb0EPS5_S8_N6thrust23THRUST_200600_302600_NS4plusIS5_EEEE10hipError_tPvRmT2_T3_mT4_P12ihipStream_tbEUlT_E_NS1_11comp_targetILNS1_3genE8ELNS1_11target_archE1030ELNS1_3gpuE2ELNS1_3repE0EEENS1_30default_config_static_selectorELNS0_4arch9wavefront6targetE1EEEvT1_,"axG",@progbits,_ZN7rocprim17ROCPRIM_400000_NS6detail17trampoline_kernelINS0_14default_configENS1_35adjacent_difference_config_selectorILb0E14custom_numericEEZNS1_24adjacent_difference_implIS3_Lb0ELb0EPS5_S8_N6thrust23THRUST_200600_302600_NS4plusIS5_EEEE10hipError_tPvRmT2_T3_mT4_P12ihipStream_tbEUlT_E_NS1_11comp_targetILNS1_3genE8ELNS1_11target_archE1030ELNS1_3gpuE2ELNS1_3repE0EEENS1_30default_config_static_selectorELNS0_4arch9wavefront6targetE1EEEvT1_,comdat
	.protected	_ZN7rocprim17ROCPRIM_400000_NS6detail17trampoline_kernelINS0_14default_configENS1_35adjacent_difference_config_selectorILb0E14custom_numericEEZNS1_24adjacent_difference_implIS3_Lb0ELb0EPS5_S8_N6thrust23THRUST_200600_302600_NS4plusIS5_EEEE10hipError_tPvRmT2_T3_mT4_P12ihipStream_tbEUlT_E_NS1_11comp_targetILNS1_3genE8ELNS1_11target_archE1030ELNS1_3gpuE2ELNS1_3repE0EEENS1_30default_config_static_selectorELNS0_4arch9wavefront6targetE1EEEvT1_ ; -- Begin function _ZN7rocprim17ROCPRIM_400000_NS6detail17trampoline_kernelINS0_14default_configENS1_35adjacent_difference_config_selectorILb0E14custom_numericEEZNS1_24adjacent_difference_implIS3_Lb0ELb0EPS5_S8_N6thrust23THRUST_200600_302600_NS4plusIS5_EEEE10hipError_tPvRmT2_T3_mT4_P12ihipStream_tbEUlT_E_NS1_11comp_targetILNS1_3genE8ELNS1_11target_archE1030ELNS1_3gpuE2ELNS1_3repE0EEENS1_30default_config_static_selectorELNS0_4arch9wavefront6targetE1EEEvT1_
	.globl	_ZN7rocprim17ROCPRIM_400000_NS6detail17trampoline_kernelINS0_14default_configENS1_35adjacent_difference_config_selectorILb0E14custom_numericEEZNS1_24adjacent_difference_implIS3_Lb0ELb0EPS5_S8_N6thrust23THRUST_200600_302600_NS4plusIS5_EEEE10hipError_tPvRmT2_T3_mT4_P12ihipStream_tbEUlT_E_NS1_11comp_targetILNS1_3genE8ELNS1_11target_archE1030ELNS1_3gpuE2ELNS1_3repE0EEENS1_30default_config_static_selectorELNS0_4arch9wavefront6targetE1EEEvT1_
	.p2align	8
	.type	_ZN7rocprim17ROCPRIM_400000_NS6detail17trampoline_kernelINS0_14default_configENS1_35adjacent_difference_config_selectorILb0E14custom_numericEEZNS1_24adjacent_difference_implIS3_Lb0ELb0EPS5_S8_N6thrust23THRUST_200600_302600_NS4plusIS5_EEEE10hipError_tPvRmT2_T3_mT4_P12ihipStream_tbEUlT_E_NS1_11comp_targetILNS1_3genE8ELNS1_11target_archE1030ELNS1_3gpuE2ELNS1_3repE0EEENS1_30default_config_static_selectorELNS0_4arch9wavefront6targetE1EEEvT1_,@function
_ZN7rocprim17ROCPRIM_400000_NS6detail17trampoline_kernelINS0_14default_configENS1_35adjacent_difference_config_selectorILb0E14custom_numericEEZNS1_24adjacent_difference_implIS3_Lb0ELb0EPS5_S8_N6thrust23THRUST_200600_302600_NS4plusIS5_EEEE10hipError_tPvRmT2_T3_mT4_P12ihipStream_tbEUlT_E_NS1_11comp_targetILNS1_3genE8ELNS1_11target_archE1030ELNS1_3gpuE2ELNS1_3repE0EEENS1_30default_config_static_selectorELNS0_4arch9wavefront6targetE1EEEvT1_: ; @_ZN7rocprim17ROCPRIM_400000_NS6detail17trampoline_kernelINS0_14default_configENS1_35adjacent_difference_config_selectorILb0E14custom_numericEEZNS1_24adjacent_difference_implIS3_Lb0ELb0EPS5_S8_N6thrust23THRUST_200600_302600_NS4plusIS5_EEEE10hipError_tPvRmT2_T3_mT4_P12ihipStream_tbEUlT_E_NS1_11comp_targetILNS1_3genE8ELNS1_11target_archE1030ELNS1_3gpuE2ELNS1_3repE0EEENS1_30default_config_static_selectorELNS0_4arch9wavefront6targetE1EEEvT1_
; %bb.0:
	.section	.rodata,"a",@progbits
	.p2align	6, 0x0
	.amdhsa_kernel _ZN7rocprim17ROCPRIM_400000_NS6detail17trampoline_kernelINS0_14default_configENS1_35adjacent_difference_config_selectorILb0E14custom_numericEEZNS1_24adjacent_difference_implIS3_Lb0ELb0EPS5_S8_N6thrust23THRUST_200600_302600_NS4plusIS5_EEEE10hipError_tPvRmT2_T3_mT4_P12ihipStream_tbEUlT_E_NS1_11comp_targetILNS1_3genE8ELNS1_11target_archE1030ELNS1_3gpuE2ELNS1_3repE0EEENS1_30default_config_static_selectorELNS0_4arch9wavefront6targetE1EEEvT1_
		.amdhsa_group_segment_fixed_size 0
		.amdhsa_private_segment_fixed_size 0
		.amdhsa_kernarg_size 56
		.amdhsa_user_sgpr_count 6
		.amdhsa_user_sgpr_private_segment_buffer 1
		.amdhsa_user_sgpr_dispatch_ptr 0
		.amdhsa_user_sgpr_queue_ptr 0
		.amdhsa_user_sgpr_kernarg_segment_ptr 1
		.amdhsa_user_sgpr_dispatch_id 0
		.amdhsa_user_sgpr_flat_scratch_init 0
		.amdhsa_user_sgpr_kernarg_preload_length 0
		.amdhsa_user_sgpr_kernarg_preload_offset 0
		.amdhsa_user_sgpr_private_segment_size 0
		.amdhsa_uses_dynamic_stack 0
		.amdhsa_system_sgpr_private_segment_wavefront_offset 0
		.amdhsa_system_sgpr_workgroup_id_x 1
		.amdhsa_system_sgpr_workgroup_id_y 0
		.amdhsa_system_sgpr_workgroup_id_z 0
		.amdhsa_system_sgpr_workgroup_info 0
		.amdhsa_system_vgpr_workitem_id 0
		.amdhsa_next_free_vgpr 1
		.amdhsa_next_free_sgpr 0
		.amdhsa_accum_offset 4
		.amdhsa_reserve_vcc 0
		.amdhsa_reserve_flat_scratch 0
		.amdhsa_float_round_mode_32 0
		.amdhsa_float_round_mode_16_64 0
		.amdhsa_float_denorm_mode_32 3
		.amdhsa_float_denorm_mode_16_64 3
		.amdhsa_dx10_clamp 1
		.amdhsa_ieee_mode 1
		.amdhsa_fp16_overflow 0
		.amdhsa_tg_split 0
		.amdhsa_exception_fp_ieee_invalid_op 0
		.amdhsa_exception_fp_denorm_src 0
		.amdhsa_exception_fp_ieee_div_zero 0
		.amdhsa_exception_fp_ieee_overflow 0
		.amdhsa_exception_fp_ieee_underflow 0
		.amdhsa_exception_fp_ieee_inexact 0
		.amdhsa_exception_int_div_zero 0
	.end_amdhsa_kernel
	.section	.text._ZN7rocprim17ROCPRIM_400000_NS6detail17trampoline_kernelINS0_14default_configENS1_35adjacent_difference_config_selectorILb0E14custom_numericEEZNS1_24adjacent_difference_implIS3_Lb0ELb0EPS5_S8_N6thrust23THRUST_200600_302600_NS4plusIS5_EEEE10hipError_tPvRmT2_T3_mT4_P12ihipStream_tbEUlT_E_NS1_11comp_targetILNS1_3genE8ELNS1_11target_archE1030ELNS1_3gpuE2ELNS1_3repE0EEENS1_30default_config_static_selectorELNS0_4arch9wavefront6targetE1EEEvT1_,"axG",@progbits,_ZN7rocprim17ROCPRIM_400000_NS6detail17trampoline_kernelINS0_14default_configENS1_35adjacent_difference_config_selectorILb0E14custom_numericEEZNS1_24adjacent_difference_implIS3_Lb0ELb0EPS5_S8_N6thrust23THRUST_200600_302600_NS4plusIS5_EEEE10hipError_tPvRmT2_T3_mT4_P12ihipStream_tbEUlT_E_NS1_11comp_targetILNS1_3genE8ELNS1_11target_archE1030ELNS1_3gpuE2ELNS1_3repE0EEENS1_30default_config_static_selectorELNS0_4arch9wavefront6targetE1EEEvT1_,comdat
.Lfunc_end242:
	.size	_ZN7rocprim17ROCPRIM_400000_NS6detail17trampoline_kernelINS0_14default_configENS1_35adjacent_difference_config_selectorILb0E14custom_numericEEZNS1_24adjacent_difference_implIS3_Lb0ELb0EPS5_S8_N6thrust23THRUST_200600_302600_NS4plusIS5_EEEE10hipError_tPvRmT2_T3_mT4_P12ihipStream_tbEUlT_E_NS1_11comp_targetILNS1_3genE8ELNS1_11target_archE1030ELNS1_3gpuE2ELNS1_3repE0EEENS1_30default_config_static_selectorELNS0_4arch9wavefront6targetE1EEEvT1_, .Lfunc_end242-_ZN7rocprim17ROCPRIM_400000_NS6detail17trampoline_kernelINS0_14default_configENS1_35adjacent_difference_config_selectorILb0E14custom_numericEEZNS1_24adjacent_difference_implIS3_Lb0ELb0EPS5_S8_N6thrust23THRUST_200600_302600_NS4plusIS5_EEEE10hipError_tPvRmT2_T3_mT4_P12ihipStream_tbEUlT_E_NS1_11comp_targetILNS1_3genE8ELNS1_11target_archE1030ELNS1_3gpuE2ELNS1_3repE0EEENS1_30default_config_static_selectorELNS0_4arch9wavefront6targetE1EEEvT1_
                                        ; -- End function
	.section	.AMDGPU.csdata,"",@progbits
; Kernel info:
; codeLenInByte = 0
; NumSgprs: 4
; NumVgprs: 0
; NumAgprs: 0
; TotalNumVgprs: 0
; ScratchSize: 0
; MemoryBound: 0
; FloatMode: 240
; IeeeMode: 1
; LDSByteSize: 0 bytes/workgroup (compile time only)
; SGPRBlocks: 0
; VGPRBlocks: 0
; NumSGPRsForWavesPerEU: 4
; NumVGPRsForWavesPerEU: 1
; AccumOffset: 4
; Occupancy: 8
; WaveLimiterHint : 0
; COMPUTE_PGM_RSRC2:SCRATCH_EN: 0
; COMPUTE_PGM_RSRC2:USER_SGPR: 6
; COMPUTE_PGM_RSRC2:TRAP_HANDLER: 0
; COMPUTE_PGM_RSRC2:TGID_X_EN: 1
; COMPUTE_PGM_RSRC2:TGID_Y_EN: 0
; COMPUTE_PGM_RSRC2:TGID_Z_EN: 0
; COMPUTE_PGM_RSRC2:TIDIG_COMP_CNT: 0
; COMPUTE_PGM_RSRC3_GFX90A:ACCUM_OFFSET: 0
; COMPUTE_PGM_RSRC3_GFX90A:TG_SPLIT: 0
	.section	.text._ZN7rocprim17ROCPRIM_400000_NS6detail17trampoline_kernelINS0_14default_configENS1_25transform_config_selectorI14custom_numericLb0EEEZNS1_14transform_implILb0ES3_S6_NS0_18transform_iteratorINS0_17counting_iteratorImlEEZNS1_24adjacent_difference_implIS3_Lb1ELb0EPS5_SC_N6thrust23THRUST_200600_302600_NS4plusIS5_EEEE10hipError_tPvRmT2_T3_mT4_P12ihipStream_tbEUlmE_S5_EESC_NS0_8identityIvEEEESH_SK_SL_mSM_SO_bEUlT_E_NS1_11comp_targetILNS1_3genE0ELNS1_11target_archE4294967295ELNS1_3gpuE0ELNS1_3repE0EEENS1_30default_config_static_selectorELNS0_4arch9wavefront6targetE1EEEvT1_,"axG",@progbits,_ZN7rocprim17ROCPRIM_400000_NS6detail17trampoline_kernelINS0_14default_configENS1_25transform_config_selectorI14custom_numericLb0EEEZNS1_14transform_implILb0ES3_S6_NS0_18transform_iteratorINS0_17counting_iteratorImlEEZNS1_24adjacent_difference_implIS3_Lb1ELb0EPS5_SC_N6thrust23THRUST_200600_302600_NS4plusIS5_EEEE10hipError_tPvRmT2_T3_mT4_P12ihipStream_tbEUlmE_S5_EESC_NS0_8identityIvEEEESH_SK_SL_mSM_SO_bEUlT_E_NS1_11comp_targetILNS1_3genE0ELNS1_11target_archE4294967295ELNS1_3gpuE0ELNS1_3repE0EEENS1_30default_config_static_selectorELNS0_4arch9wavefront6targetE1EEEvT1_,comdat
	.protected	_ZN7rocprim17ROCPRIM_400000_NS6detail17trampoline_kernelINS0_14default_configENS1_25transform_config_selectorI14custom_numericLb0EEEZNS1_14transform_implILb0ES3_S6_NS0_18transform_iteratorINS0_17counting_iteratorImlEEZNS1_24adjacent_difference_implIS3_Lb1ELb0EPS5_SC_N6thrust23THRUST_200600_302600_NS4plusIS5_EEEE10hipError_tPvRmT2_T3_mT4_P12ihipStream_tbEUlmE_S5_EESC_NS0_8identityIvEEEESH_SK_SL_mSM_SO_bEUlT_E_NS1_11comp_targetILNS1_3genE0ELNS1_11target_archE4294967295ELNS1_3gpuE0ELNS1_3repE0EEENS1_30default_config_static_selectorELNS0_4arch9wavefront6targetE1EEEvT1_ ; -- Begin function _ZN7rocprim17ROCPRIM_400000_NS6detail17trampoline_kernelINS0_14default_configENS1_25transform_config_selectorI14custom_numericLb0EEEZNS1_14transform_implILb0ES3_S6_NS0_18transform_iteratorINS0_17counting_iteratorImlEEZNS1_24adjacent_difference_implIS3_Lb1ELb0EPS5_SC_N6thrust23THRUST_200600_302600_NS4plusIS5_EEEE10hipError_tPvRmT2_T3_mT4_P12ihipStream_tbEUlmE_S5_EESC_NS0_8identityIvEEEESH_SK_SL_mSM_SO_bEUlT_E_NS1_11comp_targetILNS1_3genE0ELNS1_11target_archE4294967295ELNS1_3gpuE0ELNS1_3repE0EEENS1_30default_config_static_selectorELNS0_4arch9wavefront6targetE1EEEvT1_
	.globl	_ZN7rocprim17ROCPRIM_400000_NS6detail17trampoline_kernelINS0_14default_configENS1_25transform_config_selectorI14custom_numericLb0EEEZNS1_14transform_implILb0ES3_S6_NS0_18transform_iteratorINS0_17counting_iteratorImlEEZNS1_24adjacent_difference_implIS3_Lb1ELb0EPS5_SC_N6thrust23THRUST_200600_302600_NS4plusIS5_EEEE10hipError_tPvRmT2_T3_mT4_P12ihipStream_tbEUlmE_S5_EESC_NS0_8identityIvEEEESH_SK_SL_mSM_SO_bEUlT_E_NS1_11comp_targetILNS1_3genE0ELNS1_11target_archE4294967295ELNS1_3gpuE0ELNS1_3repE0EEENS1_30default_config_static_selectorELNS0_4arch9wavefront6targetE1EEEvT1_
	.p2align	8
	.type	_ZN7rocprim17ROCPRIM_400000_NS6detail17trampoline_kernelINS0_14default_configENS1_25transform_config_selectorI14custom_numericLb0EEEZNS1_14transform_implILb0ES3_S6_NS0_18transform_iteratorINS0_17counting_iteratorImlEEZNS1_24adjacent_difference_implIS3_Lb1ELb0EPS5_SC_N6thrust23THRUST_200600_302600_NS4plusIS5_EEEE10hipError_tPvRmT2_T3_mT4_P12ihipStream_tbEUlmE_S5_EESC_NS0_8identityIvEEEESH_SK_SL_mSM_SO_bEUlT_E_NS1_11comp_targetILNS1_3genE0ELNS1_11target_archE4294967295ELNS1_3gpuE0ELNS1_3repE0EEENS1_30default_config_static_selectorELNS0_4arch9wavefront6targetE1EEEvT1_,@function
_ZN7rocprim17ROCPRIM_400000_NS6detail17trampoline_kernelINS0_14default_configENS1_25transform_config_selectorI14custom_numericLb0EEEZNS1_14transform_implILb0ES3_S6_NS0_18transform_iteratorINS0_17counting_iteratorImlEEZNS1_24adjacent_difference_implIS3_Lb1ELb0EPS5_SC_N6thrust23THRUST_200600_302600_NS4plusIS5_EEEE10hipError_tPvRmT2_T3_mT4_P12ihipStream_tbEUlmE_S5_EESC_NS0_8identityIvEEEESH_SK_SL_mSM_SO_bEUlT_E_NS1_11comp_targetILNS1_3genE0ELNS1_11target_archE4294967295ELNS1_3gpuE0ELNS1_3repE0EEENS1_30default_config_static_selectorELNS0_4arch9wavefront6targetE1EEEvT1_: ; @_ZN7rocprim17ROCPRIM_400000_NS6detail17trampoline_kernelINS0_14default_configENS1_25transform_config_selectorI14custom_numericLb0EEEZNS1_14transform_implILb0ES3_S6_NS0_18transform_iteratorINS0_17counting_iteratorImlEEZNS1_24adjacent_difference_implIS3_Lb1ELb0EPS5_SC_N6thrust23THRUST_200600_302600_NS4plusIS5_EEEE10hipError_tPvRmT2_T3_mT4_P12ihipStream_tbEUlmE_S5_EESC_NS0_8identityIvEEEESH_SK_SL_mSM_SO_bEUlT_E_NS1_11comp_targetILNS1_3genE0ELNS1_11target_archE4294967295ELNS1_3gpuE0ELNS1_3repE0EEENS1_30default_config_static_selectorELNS0_4arch9wavefront6targetE1EEEvT1_
; %bb.0:
	.section	.rodata,"a",@progbits
	.p2align	6, 0x0
	.amdhsa_kernel _ZN7rocprim17ROCPRIM_400000_NS6detail17trampoline_kernelINS0_14default_configENS1_25transform_config_selectorI14custom_numericLb0EEEZNS1_14transform_implILb0ES3_S6_NS0_18transform_iteratorINS0_17counting_iteratorImlEEZNS1_24adjacent_difference_implIS3_Lb1ELb0EPS5_SC_N6thrust23THRUST_200600_302600_NS4plusIS5_EEEE10hipError_tPvRmT2_T3_mT4_P12ihipStream_tbEUlmE_S5_EESC_NS0_8identityIvEEEESH_SK_SL_mSM_SO_bEUlT_E_NS1_11comp_targetILNS1_3genE0ELNS1_11target_archE4294967295ELNS1_3gpuE0ELNS1_3repE0EEENS1_30default_config_static_selectorELNS0_4arch9wavefront6targetE1EEEvT1_
		.amdhsa_group_segment_fixed_size 0
		.amdhsa_private_segment_fixed_size 0
		.amdhsa_kernarg_size 56
		.amdhsa_user_sgpr_count 6
		.amdhsa_user_sgpr_private_segment_buffer 1
		.amdhsa_user_sgpr_dispatch_ptr 0
		.amdhsa_user_sgpr_queue_ptr 0
		.amdhsa_user_sgpr_kernarg_segment_ptr 1
		.amdhsa_user_sgpr_dispatch_id 0
		.amdhsa_user_sgpr_flat_scratch_init 0
		.amdhsa_user_sgpr_kernarg_preload_length 0
		.amdhsa_user_sgpr_kernarg_preload_offset 0
		.amdhsa_user_sgpr_private_segment_size 0
		.amdhsa_uses_dynamic_stack 0
		.amdhsa_system_sgpr_private_segment_wavefront_offset 0
		.amdhsa_system_sgpr_workgroup_id_x 1
		.amdhsa_system_sgpr_workgroup_id_y 0
		.amdhsa_system_sgpr_workgroup_id_z 0
		.amdhsa_system_sgpr_workgroup_info 0
		.amdhsa_system_vgpr_workitem_id 0
		.amdhsa_next_free_vgpr 1
		.amdhsa_next_free_sgpr 0
		.amdhsa_accum_offset 4
		.amdhsa_reserve_vcc 0
		.amdhsa_reserve_flat_scratch 0
		.amdhsa_float_round_mode_32 0
		.amdhsa_float_round_mode_16_64 0
		.amdhsa_float_denorm_mode_32 3
		.amdhsa_float_denorm_mode_16_64 3
		.amdhsa_dx10_clamp 1
		.amdhsa_ieee_mode 1
		.amdhsa_fp16_overflow 0
		.amdhsa_tg_split 0
		.amdhsa_exception_fp_ieee_invalid_op 0
		.amdhsa_exception_fp_denorm_src 0
		.amdhsa_exception_fp_ieee_div_zero 0
		.amdhsa_exception_fp_ieee_overflow 0
		.amdhsa_exception_fp_ieee_underflow 0
		.amdhsa_exception_fp_ieee_inexact 0
		.amdhsa_exception_int_div_zero 0
	.end_amdhsa_kernel
	.section	.text._ZN7rocprim17ROCPRIM_400000_NS6detail17trampoline_kernelINS0_14default_configENS1_25transform_config_selectorI14custom_numericLb0EEEZNS1_14transform_implILb0ES3_S6_NS0_18transform_iteratorINS0_17counting_iteratorImlEEZNS1_24adjacent_difference_implIS3_Lb1ELb0EPS5_SC_N6thrust23THRUST_200600_302600_NS4plusIS5_EEEE10hipError_tPvRmT2_T3_mT4_P12ihipStream_tbEUlmE_S5_EESC_NS0_8identityIvEEEESH_SK_SL_mSM_SO_bEUlT_E_NS1_11comp_targetILNS1_3genE0ELNS1_11target_archE4294967295ELNS1_3gpuE0ELNS1_3repE0EEENS1_30default_config_static_selectorELNS0_4arch9wavefront6targetE1EEEvT1_,"axG",@progbits,_ZN7rocprim17ROCPRIM_400000_NS6detail17trampoline_kernelINS0_14default_configENS1_25transform_config_selectorI14custom_numericLb0EEEZNS1_14transform_implILb0ES3_S6_NS0_18transform_iteratorINS0_17counting_iteratorImlEEZNS1_24adjacent_difference_implIS3_Lb1ELb0EPS5_SC_N6thrust23THRUST_200600_302600_NS4plusIS5_EEEE10hipError_tPvRmT2_T3_mT4_P12ihipStream_tbEUlmE_S5_EESC_NS0_8identityIvEEEESH_SK_SL_mSM_SO_bEUlT_E_NS1_11comp_targetILNS1_3genE0ELNS1_11target_archE4294967295ELNS1_3gpuE0ELNS1_3repE0EEENS1_30default_config_static_selectorELNS0_4arch9wavefront6targetE1EEEvT1_,comdat
.Lfunc_end243:
	.size	_ZN7rocprim17ROCPRIM_400000_NS6detail17trampoline_kernelINS0_14default_configENS1_25transform_config_selectorI14custom_numericLb0EEEZNS1_14transform_implILb0ES3_S6_NS0_18transform_iteratorINS0_17counting_iteratorImlEEZNS1_24adjacent_difference_implIS3_Lb1ELb0EPS5_SC_N6thrust23THRUST_200600_302600_NS4plusIS5_EEEE10hipError_tPvRmT2_T3_mT4_P12ihipStream_tbEUlmE_S5_EESC_NS0_8identityIvEEEESH_SK_SL_mSM_SO_bEUlT_E_NS1_11comp_targetILNS1_3genE0ELNS1_11target_archE4294967295ELNS1_3gpuE0ELNS1_3repE0EEENS1_30default_config_static_selectorELNS0_4arch9wavefront6targetE1EEEvT1_, .Lfunc_end243-_ZN7rocprim17ROCPRIM_400000_NS6detail17trampoline_kernelINS0_14default_configENS1_25transform_config_selectorI14custom_numericLb0EEEZNS1_14transform_implILb0ES3_S6_NS0_18transform_iteratorINS0_17counting_iteratorImlEEZNS1_24adjacent_difference_implIS3_Lb1ELb0EPS5_SC_N6thrust23THRUST_200600_302600_NS4plusIS5_EEEE10hipError_tPvRmT2_T3_mT4_P12ihipStream_tbEUlmE_S5_EESC_NS0_8identityIvEEEESH_SK_SL_mSM_SO_bEUlT_E_NS1_11comp_targetILNS1_3genE0ELNS1_11target_archE4294967295ELNS1_3gpuE0ELNS1_3repE0EEENS1_30default_config_static_selectorELNS0_4arch9wavefront6targetE1EEEvT1_
                                        ; -- End function
	.section	.AMDGPU.csdata,"",@progbits
; Kernel info:
; codeLenInByte = 0
; NumSgprs: 4
; NumVgprs: 0
; NumAgprs: 0
; TotalNumVgprs: 0
; ScratchSize: 0
; MemoryBound: 0
; FloatMode: 240
; IeeeMode: 1
; LDSByteSize: 0 bytes/workgroup (compile time only)
; SGPRBlocks: 0
; VGPRBlocks: 0
; NumSGPRsForWavesPerEU: 4
; NumVGPRsForWavesPerEU: 1
; AccumOffset: 4
; Occupancy: 8
; WaveLimiterHint : 0
; COMPUTE_PGM_RSRC2:SCRATCH_EN: 0
; COMPUTE_PGM_RSRC2:USER_SGPR: 6
; COMPUTE_PGM_RSRC2:TRAP_HANDLER: 0
; COMPUTE_PGM_RSRC2:TGID_X_EN: 1
; COMPUTE_PGM_RSRC2:TGID_Y_EN: 0
; COMPUTE_PGM_RSRC2:TGID_Z_EN: 0
; COMPUTE_PGM_RSRC2:TIDIG_COMP_CNT: 0
; COMPUTE_PGM_RSRC3_GFX90A:ACCUM_OFFSET: 0
; COMPUTE_PGM_RSRC3_GFX90A:TG_SPLIT: 0
	.section	.text._ZN7rocprim17ROCPRIM_400000_NS6detail17trampoline_kernelINS0_14default_configENS1_25transform_config_selectorI14custom_numericLb0EEEZNS1_14transform_implILb0ES3_S6_NS0_18transform_iteratorINS0_17counting_iteratorImlEEZNS1_24adjacent_difference_implIS3_Lb1ELb0EPS5_SC_N6thrust23THRUST_200600_302600_NS4plusIS5_EEEE10hipError_tPvRmT2_T3_mT4_P12ihipStream_tbEUlmE_S5_EESC_NS0_8identityIvEEEESH_SK_SL_mSM_SO_bEUlT_E_NS1_11comp_targetILNS1_3genE5ELNS1_11target_archE942ELNS1_3gpuE9ELNS1_3repE0EEENS1_30default_config_static_selectorELNS0_4arch9wavefront6targetE1EEEvT1_,"axG",@progbits,_ZN7rocprim17ROCPRIM_400000_NS6detail17trampoline_kernelINS0_14default_configENS1_25transform_config_selectorI14custom_numericLb0EEEZNS1_14transform_implILb0ES3_S6_NS0_18transform_iteratorINS0_17counting_iteratorImlEEZNS1_24adjacent_difference_implIS3_Lb1ELb0EPS5_SC_N6thrust23THRUST_200600_302600_NS4plusIS5_EEEE10hipError_tPvRmT2_T3_mT4_P12ihipStream_tbEUlmE_S5_EESC_NS0_8identityIvEEEESH_SK_SL_mSM_SO_bEUlT_E_NS1_11comp_targetILNS1_3genE5ELNS1_11target_archE942ELNS1_3gpuE9ELNS1_3repE0EEENS1_30default_config_static_selectorELNS0_4arch9wavefront6targetE1EEEvT1_,comdat
	.protected	_ZN7rocprim17ROCPRIM_400000_NS6detail17trampoline_kernelINS0_14default_configENS1_25transform_config_selectorI14custom_numericLb0EEEZNS1_14transform_implILb0ES3_S6_NS0_18transform_iteratorINS0_17counting_iteratorImlEEZNS1_24adjacent_difference_implIS3_Lb1ELb0EPS5_SC_N6thrust23THRUST_200600_302600_NS4plusIS5_EEEE10hipError_tPvRmT2_T3_mT4_P12ihipStream_tbEUlmE_S5_EESC_NS0_8identityIvEEEESH_SK_SL_mSM_SO_bEUlT_E_NS1_11comp_targetILNS1_3genE5ELNS1_11target_archE942ELNS1_3gpuE9ELNS1_3repE0EEENS1_30default_config_static_selectorELNS0_4arch9wavefront6targetE1EEEvT1_ ; -- Begin function _ZN7rocprim17ROCPRIM_400000_NS6detail17trampoline_kernelINS0_14default_configENS1_25transform_config_selectorI14custom_numericLb0EEEZNS1_14transform_implILb0ES3_S6_NS0_18transform_iteratorINS0_17counting_iteratorImlEEZNS1_24adjacent_difference_implIS3_Lb1ELb0EPS5_SC_N6thrust23THRUST_200600_302600_NS4plusIS5_EEEE10hipError_tPvRmT2_T3_mT4_P12ihipStream_tbEUlmE_S5_EESC_NS0_8identityIvEEEESH_SK_SL_mSM_SO_bEUlT_E_NS1_11comp_targetILNS1_3genE5ELNS1_11target_archE942ELNS1_3gpuE9ELNS1_3repE0EEENS1_30default_config_static_selectorELNS0_4arch9wavefront6targetE1EEEvT1_
	.globl	_ZN7rocprim17ROCPRIM_400000_NS6detail17trampoline_kernelINS0_14default_configENS1_25transform_config_selectorI14custom_numericLb0EEEZNS1_14transform_implILb0ES3_S6_NS0_18transform_iteratorINS0_17counting_iteratorImlEEZNS1_24adjacent_difference_implIS3_Lb1ELb0EPS5_SC_N6thrust23THRUST_200600_302600_NS4plusIS5_EEEE10hipError_tPvRmT2_T3_mT4_P12ihipStream_tbEUlmE_S5_EESC_NS0_8identityIvEEEESH_SK_SL_mSM_SO_bEUlT_E_NS1_11comp_targetILNS1_3genE5ELNS1_11target_archE942ELNS1_3gpuE9ELNS1_3repE0EEENS1_30default_config_static_selectorELNS0_4arch9wavefront6targetE1EEEvT1_
	.p2align	8
	.type	_ZN7rocprim17ROCPRIM_400000_NS6detail17trampoline_kernelINS0_14default_configENS1_25transform_config_selectorI14custom_numericLb0EEEZNS1_14transform_implILb0ES3_S6_NS0_18transform_iteratorINS0_17counting_iteratorImlEEZNS1_24adjacent_difference_implIS3_Lb1ELb0EPS5_SC_N6thrust23THRUST_200600_302600_NS4plusIS5_EEEE10hipError_tPvRmT2_T3_mT4_P12ihipStream_tbEUlmE_S5_EESC_NS0_8identityIvEEEESH_SK_SL_mSM_SO_bEUlT_E_NS1_11comp_targetILNS1_3genE5ELNS1_11target_archE942ELNS1_3gpuE9ELNS1_3repE0EEENS1_30default_config_static_selectorELNS0_4arch9wavefront6targetE1EEEvT1_,@function
_ZN7rocprim17ROCPRIM_400000_NS6detail17trampoline_kernelINS0_14default_configENS1_25transform_config_selectorI14custom_numericLb0EEEZNS1_14transform_implILb0ES3_S6_NS0_18transform_iteratorINS0_17counting_iteratorImlEEZNS1_24adjacent_difference_implIS3_Lb1ELb0EPS5_SC_N6thrust23THRUST_200600_302600_NS4plusIS5_EEEE10hipError_tPvRmT2_T3_mT4_P12ihipStream_tbEUlmE_S5_EESC_NS0_8identityIvEEEESH_SK_SL_mSM_SO_bEUlT_E_NS1_11comp_targetILNS1_3genE5ELNS1_11target_archE942ELNS1_3gpuE9ELNS1_3repE0EEENS1_30default_config_static_selectorELNS0_4arch9wavefront6targetE1EEEvT1_: ; @_ZN7rocprim17ROCPRIM_400000_NS6detail17trampoline_kernelINS0_14default_configENS1_25transform_config_selectorI14custom_numericLb0EEEZNS1_14transform_implILb0ES3_S6_NS0_18transform_iteratorINS0_17counting_iteratorImlEEZNS1_24adjacent_difference_implIS3_Lb1ELb0EPS5_SC_N6thrust23THRUST_200600_302600_NS4plusIS5_EEEE10hipError_tPvRmT2_T3_mT4_P12ihipStream_tbEUlmE_S5_EESC_NS0_8identityIvEEEESH_SK_SL_mSM_SO_bEUlT_E_NS1_11comp_targetILNS1_3genE5ELNS1_11target_archE942ELNS1_3gpuE9ELNS1_3repE0EEENS1_30default_config_static_selectorELNS0_4arch9wavefront6targetE1EEEvT1_
; %bb.0:
	.section	.rodata,"a",@progbits
	.p2align	6, 0x0
	.amdhsa_kernel _ZN7rocprim17ROCPRIM_400000_NS6detail17trampoline_kernelINS0_14default_configENS1_25transform_config_selectorI14custom_numericLb0EEEZNS1_14transform_implILb0ES3_S6_NS0_18transform_iteratorINS0_17counting_iteratorImlEEZNS1_24adjacent_difference_implIS3_Lb1ELb0EPS5_SC_N6thrust23THRUST_200600_302600_NS4plusIS5_EEEE10hipError_tPvRmT2_T3_mT4_P12ihipStream_tbEUlmE_S5_EESC_NS0_8identityIvEEEESH_SK_SL_mSM_SO_bEUlT_E_NS1_11comp_targetILNS1_3genE5ELNS1_11target_archE942ELNS1_3gpuE9ELNS1_3repE0EEENS1_30default_config_static_selectorELNS0_4arch9wavefront6targetE1EEEvT1_
		.amdhsa_group_segment_fixed_size 0
		.amdhsa_private_segment_fixed_size 0
		.amdhsa_kernarg_size 56
		.amdhsa_user_sgpr_count 6
		.amdhsa_user_sgpr_private_segment_buffer 1
		.amdhsa_user_sgpr_dispatch_ptr 0
		.amdhsa_user_sgpr_queue_ptr 0
		.amdhsa_user_sgpr_kernarg_segment_ptr 1
		.amdhsa_user_sgpr_dispatch_id 0
		.amdhsa_user_sgpr_flat_scratch_init 0
		.amdhsa_user_sgpr_kernarg_preload_length 0
		.amdhsa_user_sgpr_kernarg_preload_offset 0
		.amdhsa_user_sgpr_private_segment_size 0
		.amdhsa_uses_dynamic_stack 0
		.amdhsa_system_sgpr_private_segment_wavefront_offset 0
		.amdhsa_system_sgpr_workgroup_id_x 1
		.amdhsa_system_sgpr_workgroup_id_y 0
		.amdhsa_system_sgpr_workgroup_id_z 0
		.amdhsa_system_sgpr_workgroup_info 0
		.amdhsa_system_vgpr_workitem_id 0
		.amdhsa_next_free_vgpr 1
		.amdhsa_next_free_sgpr 0
		.amdhsa_accum_offset 4
		.amdhsa_reserve_vcc 0
		.amdhsa_reserve_flat_scratch 0
		.amdhsa_float_round_mode_32 0
		.amdhsa_float_round_mode_16_64 0
		.amdhsa_float_denorm_mode_32 3
		.amdhsa_float_denorm_mode_16_64 3
		.amdhsa_dx10_clamp 1
		.amdhsa_ieee_mode 1
		.amdhsa_fp16_overflow 0
		.amdhsa_tg_split 0
		.amdhsa_exception_fp_ieee_invalid_op 0
		.amdhsa_exception_fp_denorm_src 0
		.amdhsa_exception_fp_ieee_div_zero 0
		.amdhsa_exception_fp_ieee_overflow 0
		.amdhsa_exception_fp_ieee_underflow 0
		.amdhsa_exception_fp_ieee_inexact 0
		.amdhsa_exception_int_div_zero 0
	.end_amdhsa_kernel
	.section	.text._ZN7rocprim17ROCPRIM_400000_NS6detail17trampoline_kernelINS0_14default_configENS1_25transform_config_selectorI14custom_numericLb0EEEZNS1_14transform_implILb0ES3_S6_NS0_18transform_iteratorINS0_17counting_iteratorImlEEZNS1_24adjacent_difference_implIS3_Lb1ELb0EPS5_SC_N6thrust23THRUST_200600_302600_NS4plusIS5_EEEE10hipError_tPvRmT2_T3_mT4_P12ihipStream_tbEUlmE_S5_EESC_NS0_8identityIvEEEESH_SK_SL_mSM_SO_bEUlT_E_NS1_11comp_targetILNS1_3genE5ELNS1_11target_archE942ELNS1_3gpuE9ELNS1_3repE0EEENS1_30default_config_static_selectorELNS0_4arch9wavefront6targetE1EEEvT1_,"axG",@progbits,_ZN7rocprim17ROCPRIM_400000_NS6detail17trampoline_kernelINS0_14default_configENS1_25transform_config_selectorI14custom_numericLb0EEEZNS1_14transform_implILb0ES3_S6_NS0_18transform_iteratorINS0_17counting_iteratorImlEEZNS1_24adjacent_difference_implIS3_Lb1ELb0EPS5_SC_N6thrust23THRUST_200600_302600_NS4plusIS5_EEEE10hipError_tPvRmT2_T3_mT4_P12ihipStream_tbEUlmE_S5_EESC_NS0_8identityIvEEEESH_SK_SL_mSM_SO_bEUlT_E_NS1_11comp_targetILNS1_3genE5ELNS1_11target_archE942ELNS1_3gpuE9ELNS1_3repE0EEENS1_30default_config_static_selectorELNS0_4arch9wavefront6targetE1EEEvT1_,comdat
.Lfunc_end244:
	.size	_ZN7rocprim17ROCPRIM_400000_NS6detail17trampoline_kernelINS0_14default_configENS1_25transform_config_selectorI14custom_numericLb0EEEZNS1_14transform_implILb0ES3_S6_NS0_18transform_iteratorINS0_17counting_iteratorImlEEZNS1_24adjacent_difference_implIS3_Lb1ELb0EPS5_SC_N6thrust23THRUST_200600_302600_NS4plusIS5_EEEE10hipError_tPvRmT2_T3_mT4_P12ihipStream_tbEUlmE_S5_EESC_NS0_8identityIvEEEESH_SK_SL_mSM_SO_bEUlT_E_NS1_11comp_targetILNS1_3genE5ELNS1_11target_archE942ELNS1_3gpuE9ELNS1_3repE0EEENS1_30default_config_static_selectorELNS0_4arch9wavefront6targetE1EEEvT1_, .Lfunc_end244-_ZN7rocprim17ROCPRIM_400000_NS6detail17trampoline_kernelINS0_14default_configENS1_25transform_config_selectorI14custom_numericLb0EEEZNS1_14transform_implILb0ES3_S6_NS0_18transform_iteratorINS0_17counting_iteratorImlEEZNS1_24adjacent_difference_implIS3_Lb1ELb0EPS5_SC_N6thrust23THRUST_200600_302600_NS4plusIS5_EEEE10hipError_tPvRmT2_T3_mT4_P12ihipStream_tbEUlmE_S5_EESC_NS0_8identityIvEEEESH_SK_SL_mSM_SO_bEUlT_E_NS1_11comp_targetILNS1_3genE5ELNS1_11target_archE942ELNS1_3gpuE9ELNS1_3repE0EEENS1_30default_config_static_selectorELNS0_4arch9wavefront6targetE1EEEvT1_
                                        ; -- End function
	.section	.AMDGPU.csdata,"",@progbits
; Kernel info:
; codeLenInByte = 0
; NumSgprs: 4
; NumVgprs: 0
; NumAgprs: 0
; TotalNumVgprs: 0
; ScratchSize: 0
; MemoryBound: 0
; FloatMode: 240
; IeeeMode: 1
; LDSByteSize: 0 bytes/workgroup (compile time only)
; SGPRBlocks: 0
; VGPRBlocks: 0
; NumSGPRsForWavesPerEU: 4
; NumVGPRsForWavesPerEU: 1
; AccumOffset: 4
; Occupancy: 8
; WaveLimiterHint : 0
; COMPUTE_PGM_RSRC2:SCRATCH_EN: 0
; COMPUTE_PGM_RSRC2:USER_SGPR: 6
; COMPUTE_PGM_RSRC2:TRAP_HANDLER: 0
; COMPUTE_PGM_RSRC2:TGID_X_EN: 1
; COMPUTE_PGM_RSRC2:TGID_Y_EN: 0
; COMPUTE_PGM_RSRC2:TGID_Z_EN: 0
; COMPUTE_PGM_RSRC2:TIDIG_COMP_CNT: 0
; COMPUTE_PGM_RSRC3_GFX90A:ACCUM_OFFSET: 0
; COMPUTE_PGM_RSRC3_GFX90A:TG_SPLIT: 0
	.section	.text._ZN7rocprim17ROCPRIM_400000_NS6detail17trampoline_kernelINS0_14default_configENS1_25transform_config_selectorI14custom_numericLb0EEEZNS1_14transform_implILb0ES3_S6_NS0_18transform_iteratorINS0_17counting_iteratorImlEEZNS1_24adjacent_difference_implIS3_Lb1ELb0EPS5_SC_N6thrust23THRUST_200600_302600_NS4plusIS5_EEEE10hipError_tPvRmT2_T3_mT4_P12ihipStream_tbEUlmE_S5_EESC_NS0_8identityIvEEEESH_SK_SL_mSM_SO_bEUlT_E_NS1_11comp_targetILNS1_3genE4ELNS1_11target_archE910ELNS1_3gpuE8ELNS1_3repE0EEENS1_30default_config_static_selectorELNS0_4arch9wavefront6targetE1EEEvT1_,"axG",@progbits,_ZN7rocprim17ROCPRIM_400000_NS6detail17trampoline_kernelINS0_14default_configENS1_25transform_config_selectorI14custom_numericLb0EEEZNS1_14transform_implILb0ES3_S6_NS0_18transform_iteratorINS0_17counting_iteratorImlEEZNS1_24adjacent_difference_implIS3_Lb1ELb0EPS5_SC_N6thrust23THRUST_200600_302600_NS4plusIS5_EEEE10hipError_tPvRmT2_T3_mT4_P12ihipStream_tbEUlmE_S5_EESC_NS0_8identityIvEEEESH_SK_SL_mSM_SO_bEUlT_E_NS1_11comp_targetILNS1_3genE4ELNS1_11target_archE910ELNS1_3gpuE8ELNS1_3repE0EEENS1_30default_config_static_selectorELNS0_4arch9wavefront6targetE1EEEvT1_,comdat
	.protected	_ZN7rocprim17ROCPRIM_400000_NS6detail17trampoline_kernelINS0_14default_configENS1_25transform_config_selectorI14custom_numericLb0EEEZNS1_14transform_implILb0ES3_S6_NS0_18transform_iteratorINS0_17counting_iteratorImlEEZNS1_24adjacent_difference_implIS3_Lb1ELb0EPS5_SC_N6thrust23THRUST_200600_302600_NS4plusIS5_EEEE10hipError_tPvRmT2_T3_mT4_P12ihipStream_tbEUlmE_S5_EESC_NS0_8identityIvEEEESH_SK_SL_mSM_SO_bEUlT_E_NS1_11comp_targetILNS1_3genE4ELNS1_11target_archE910ELNS1_3gpuE8ELNS1_3repE0EEENS1_30default_config_static_selectorELNS0_4arch9wavefront6targetE1EEEvT1_ ; -- Begin function _ZN7rocprim17ROCPRIM_400000_NS6detail17trampoline_kernelINS0_14default_configENS1_25transform_config_selectorI14custom_numericLb0EEEZNS1_14transform_implILb0ES3_S6_NS0_18transform_iteratorINS0_17counting_iteratorImlEEZNS1_24adjacent_difference_implIS3_Lb1ELb0EPS5_SC_N6thrust23THRUST_200600_302600_NS4plusIS5_EEEE10hipError_tPvRmT2_T3_mT4_P12ihipStream_tbEUlmE_S5_EESC_NS0_8identityIvEEEESH_SK_SL_mSM_SO_bEUlT_E_NS1_11comp_targetILNS1_3genE4ELNS1_11target_archE910ELNS1_3gpuE8ELNS1_3repE0EEENS1_30default_config_static_selectorELNS0_4arch9wavefront6targetE1EEEvT1_
	.globl	_ZN7rocprim17ROCPRIM_400000_NS6detail17trampoline_kernelINS0_14default_configENS1_25transform_config_selectorI14custom_numericLb0EEEZNS1_14transform_implILb0ES3_S6_NS0_18transform_iteratorINS0_17counting_iteratorImlEEZNS1_24adjacent_difference_implIS3_Lb1ELb0EPS5_SC_N6thrust23THRUST_200600_302600_NS4plusIS5_EEEE10hipError_tPvRmT2_T3_mT4_P12ihipStream_tbEUlmE_S5_EESC_NS0_8identityIvEEEESH_SK_SL_mSM_SO_bEUlT_E_NS1_11comp_targetILNS1_3genE4ELNS1_11target_archE910ELNS1_3gpuE8ELNS1_3repE0EEENS1_30default_config_static_selectorELNS0_4arch9wavefront6targetE1EEEvT1_
	.p2align	8
	.type	_ZN7rocprim17ROCPRIM_400000_NS6detail17trampoline_kernelINS0_14default_configENS1_25transform_config_selectorI14custom_numericLb0EEEZNS1_14transform_implILb0ES3_S6_NS0_18transform_iteratorINS0_17counting_iteratorImlEEZNS1_24adjacent_difference_implIS3_Lb1ELb0EPS5_SC_N6thrust23THRUST_200600_302600_NS4plusIS5_EEEE10hipError_tPvRmT2_T3_mT4_P12ihipStream_tbEUlmE_S5_EESC_NS0_8identityIvEEEESH_SK_SL_mSM_SO_bEUlT_E_NS1_11comp_targetILNS1_3genE4ELNS1_11target_archE910ELNS1_3gpuE8ELNS1_3repE0EEENS1_30default_config_static_selectorELNS0_4arch9wavefront6targetE1EEEvT1_,@function
_ZN7rocprim17ROCPRIM_400000_NS6detail17trampoline_kernelINS0_14default_configENS1_25transform_config_selectorI14custom_numericLb0EEEZNS1_14transform_implILb0ES3_S6_NS0_18transform_iteratorINS0_17counting_iteratorImlEEZNS1_24adjacent_difference_implIS3_Lb1ELb0EPS5_SC_N6thrust23THRUST_200600_302600_NS4plusIS5_EEEE10hipError_tPvRmT2_T3_mT4_P12ihipStream_tbEUlmE_S5_EESC_NS0_8identityIvEEEESH_SK_SL_mSM_SO_bEUlT_E_NS1_11comp_targetILNS1_3genE4ELNS1_11target_archE910ELNS1_3gpuE8ELNS1_3repE0EEENS1_30default_config_static_selectorELNS0_4arch9wavefront6targetE1EEEvT1_: ; @_ZN7rocprim17ROCPRIM_400000_NS6detail17trampoline_kernelINS0_14default_configENS1_25transform_config_selectorI14custom_numericLb0EEEZNS1_14transform_implILb0ES3_S6_NS0_18transform_iteratorINS0_17counting_iteratorImlEEZNS1_24adjacent_difference_implIS3_Lb1ELb0EPS5_SC_N6thrust23THRUST_200600_302600_NS4plusIS5_EEEE10hipError_tPvRmT2_T3_mT4_P12ihipStream_tbEUlmE_S5_EESC_NS0_8identityIvEEEESH_SK_SL_mSM_SO_bEUlT_E_NS1_11comp_targetILNS1_3genE4ELNS1_11target_archE910ELNS1_3gpuE8ELNS1_3repE0EEENS1_30default_config_static_selectorELNS0_4arch9wavefront6targetE1EEEvT1_
; %bb.0:
	s_load_dwordx4 s[0:3], s[4:5], 0x18
	s_load_dwordx4 s[8:11], s[4:5], 0x0
	s_load_dword s12, s[4:5], 0x10
	s_load_dwordx2 s[14:15], s[4:5], 0x28
	s_load_dword s7, s[4:5], 0x38
	s_waitcnt lgkmcnt(0)
	s_mul_i32 s3, s1, 20
	s_mul_hi_u32 s4, s0, 20
	s_add_i32 s4, s4, s3
	s_mul_i32 s3, s0, 20
	s_add_u32 s13, s14, s3
	s_addc_u32 s14, s15, s4
	s_mul_i32 s3, s6, 0x300
	s_add_i32 s7, s7, -1
	s_add_u32 s4, s8, s3
	s_addc_u32 s5, s9, 0
	s_add_u32 s15, s4, s0
	s_addc_u32 s16, s5, s1
	s_cmp_lg_u32 s6, s7
	s_mul_hi_u32 s8, s3, 20
	s_mul_i32 s9, s3, 20
	s_cbranch_scc0 .LBB245_2
; %bb.1:
	v_add_co_u32_e32 v2, vcc, s15, v0
	v_mov_b32_e32 v1, s16
	v_mad_u64_u32 v[2:3], s[0:1], v2, s12, 0
	v_addc_co_u32_e32 v1, vcc, 0, v1, vcc
	v_mov_b32_e32 v4, v3
	v_mad_u64_u32 v[2:3], s[0:1], v2, 20, s[10:11]
	v_mad_u64_u32 v[4:5], s[0:1], v1, s12, v[4:5]
	v_mov_b32_e32 v6, v3
	v_mad_u64_u32 v[4:5], s[0:1], v4, 20, v[6:7]
	v_mov_b32_e32 v3, v4
	s_lshl_b32 s4, s12, 8
	global_load_dword v4, v[2:3], off
	v_mad_u64_u32 v[2:3], s[0:1], s4, 20, v[2:3]
	s_lshr_b32 s0, s12, 24
	s_mul_i32 s5, s0, 20
	v_add_u32_e32 v3, s5, v3
	global_load_dword v12, v[2:3], off
	v_mad_u64_u32 v[2:3], s[0:1], s4, 20, v[2:3]
	v_add_u32_e32 v3, s5, v3
	global_load_dword v2, v[2:3], off
	s_add_u32 s4, s13, s9
	s_addc_u32 s5, s14, s8
	v_mad_u64_u32 v[10:11], s[4:5], v0, 20, s[4:5]
	v_add_co_u32_e32 v8, vcc, 0x1000, v10
	v_addc_co_u32_e32 v9, vcc, 0, v11, vcc
	s_mov_b64 s[4:5], -1
	s_waitcnt vmcnt(2)
	v_mov_b32_e32 v5, v4
	v_mov_b32_e32 v6, v4
	;; [unrolled: 1-line block ×3, first 2 shown]
	global_store_dword v[10:11], v4, off offset:16
	global_store_dwordx4 v[10:11], v[4:7], off
	s_waitcnt vmcnt(3)
	v_mov_b32_e32 v13, v12
	v_mov_b32_e32 v14, v12
	v_mov_b32_e32 v15, v12
	global_store_dword v[8:9], v12, off offset:1040
	global_store_dwordx4 v[8:9], v[12:15], off offset:1024
	s_cbranch_execz .LBB245_3
	s_branch .LBB245_14
.LBB245_2:
	s_mov_b64 s[4:5], 0
                                        ; implicit-def: $vgpr2
                                        ; implicit-def: $vgpr10_vgpr11
.LBB245_3:
	s_sub_i32 s6, s2, s3
	v_cmp_gt_u32_e32 vcc, s6, v0
	v_mov_b32_e32 v4, 0
	v_mov_b32_e32 v6, 0
	s_and_saveexec_b64 s[2:3], vcc
	s_cbranch_execz .LBB245_5
; %bb.4:
	v_mov_b32_e32 v1, s16
	s_waitcnt vmcnt(4)
	v_add_co_u32_e64 v2, s[0:1], s15, v0
	v_addc_co_u32_e64 v1, s[0:1], 0, v1, s[0:1]
	v_mad_u64_u32 v[2:3], s[0:1], v2, s12, 0
	v_mov_b32_e32 v6, v3
	v_mad_u64_u32 v[2:3], s[0:1], v2, 20, s[10:11]
	v_mad_u64_u32 v[6:7], s[0:1], v1, s12, v[6:7]
	v_mov_b32_e32 v8, v3
	v_mad_u64_u32 v[6:7], s[0:1], v6, 20, v[8:9]
	v_mov_b32_e32 v3, v6
	global_load_dword v6, v[2:3], off
.LBB245_5:
	s_or_b64 exec, exec, s[2:3]
	v_or_b32_e32 v1, 0x100, v0
	v_cmp_gt_u32_e64 s[0:1], s6, v1
	s_and_saveexec_b64 s[4:5], s[0:1]
	s_cbranch_execz .LBB245_7
; %bb.6:
	s_waitcnt vmcnt(4)
	v_mov_b32_e32 v2, s16
	v_add_co_u32_e64 v1, s[2:3], s15, v1
	v_addc_co_u32_e64 v5, s[2:3], 0, v2, s[2:3]
	v_mad_u64_u32 v[2:3], s[2:3], v1, s12, 0
	v_mov_b32_e32 v4, v3
	v_mad_u64_u32 v[2:3], s[2:3], v2, 20, s[10:11]
	v_mad_u64_u32 v[4:5], s[2:3], v5, s12, v[4:5]
	v_mov_b32_e32 v8, v3
	v_mad_u64_u32 v[4:5], s[2:3], v4, 20, v[8:9]
	v_mov_b32_e32 v3, v4
	global_load_dword v4, v[2:3], off
.LBB245_7:
	s_or_b64 exec, exec, s[4:5]
	v_or_b32_e32 v1, 0x200, v0
	v_cmp_gt_u32_e64 s[4:5], s6, v1
	s_waitcnt vmcnt(4)
	v_mov_b32_e32 v2, 0
	s_and_saveexec_b64 s[6:7], s[4:5]
	s_cbranch_execz .LBB245_9
; %bb.8:
	v_mov_b32_e32 v2, s16
	v_add_co_u32_e64 v1, s[2:3], s15, v1
	v_addc_co_u32_e64 v5, s[2:3], 0, v2, s[2:3]
	v_mad_u64_u32 v[2:3], s[2:3], v1, s12, 0
	v_mov_b32_e32 v8, v3
	v_mad_u64_u32 v[2:3], s[2:3], v2, 20, s[10:11]
	v_mad_u64_u32 v[8:9], s[2:3], v5, s12, v[8:9]
	v_mov_b32_e32 v10, v3
	v_mad_u64_u32 v[8:9], s[2:3], v8, 20, v[10:11]
	v_mov_b32_e32 v3, v8
	global_load_dword v2, v[2:3], off
.LBB245_9:
	s_or_b64 exec, exec, s[6:7]
	s_add_u32 s2, s13, s9
	s_addc_u32 s3, s14, s8
	v_mad_u64_u32 v[10:11], s[2:3], v0, 20, s[2:3]
	s_and_saveexec_b64 s[2:3], vcc
	s_cbranch_execz .LBB245_11
; %bb.10:
	s_waitcnt vmcnt(0)
	v_mov_b32_e32 v7, v6
	v_mov_b32_e32 v8, v6
	v_mov_b32_e32 v9, v6
	global_store_dwordx4 v[10:11], v[6:9], off
	global_store_dword v[10:11], v6, off offset:16
.LBB245_11:
	s_or_b64 exec, exec, s[2:3]
	s_and_saveexec_b64 s[2:3], s[0:1]
	s_cbranch_execz .LBB245_13
; %bb.12:
	v_add_co_u32_e32 v0, vcc, 0x1000, v10
	s_waitcnt vmcnt(0)
	v_mov_b32_e32 v5, v4
	v_mov_b32_e32 v6, v4
	;; [unrolled: 1-line block ×3, first 2 shown]
	v_addc_co_u32_e32 v1, vcc, 0, v11, vcc
	global_store_dwordx4 v[0:1], v[4:7], off offset:1024
	global_store_dword v[0:1], v4, off offset:1040
.LBB245_13:
	s_or_b64 exec, exec, s[2:3]
.LBB245_14:
	s_and_saveexec_b64 s[0:1], s[4:5]
	s_cbranch_execnz .LBB245_16
; %bb.15:
	s_endpgm
.LBB245_16:
	v_add_co_u32_e32 v0, vcc, 0x2000, v10
	s_waitcnt vmcnt(0)
	v_mov_b32_e32 v3, v2
	v_mov_b32_e32 v4, v2
	;; [unrolled: 1-line block ×3, first 2 shown]
	v_addc_co_u32_e32 v1, vcc, 0, v11, vcc
	global_store_dwordx4 v[0:1], v[2:5], off offset:2048
	global_store_dword v[0:1], v2, off offset:2064
	s_endpgm
	.section	.rodata,"a",@progbits
	.p2align	6, 0x0
	.amdhsa_kernel _ZN7rocprim17ROCPRIM_400000_NS6detail17trampoline_kernelINS0_14default_configENS1_25transform_config_selectorI14custom_numericLb0EEEZNS1_14transform_implILb0ES3_S6_NS0_18transform_iteratorINS0_17counting_iteratorImlEEZNS1_24adjacent_difference_implIS3_Lb1ELb0EPS5_SC_N6thrust23THRUST_200600_302600_NS4plusIS5_EEEE10hipError_tPvRmT2_T3_mT4_P12ihipStream_tbEUlmE_S5_EESC_NS0_8identityIvEEEESH_SK_SL_mSM_SO_bEUlT_E_NS1_11comp_targetILNS1_3genE4ELNS1_11target_archE910ELNS1_3gpuE8ELNS1_3repE0EEENS1_30default_config_static_selectorELNS0_4arch9wavefront6targetE1EEEvT1_
		.amdhsa_group_segment_fixed_size 0
		.amdhsa_private_segment_fixed_size 0
		.amdhsa_kernarg_size 312
		.amdhsa_user_sgpr_count 6
		.amdhsa_user_sgpr_private_segment_buffer 1
		.amdhsa_user_sgpr_dispatch_ptr 0
		.amdhsa_user_sgpr_queue_ptr 0
		.amdhsa_user_sgpr_kernarg_segment_ptr 1
		.amdhsa_user_sgpr_dispatch_id 0
		.amdhsa_user_sgpr_flat_scratch_init 0
		.amdhsa_user_sgpr_kernarg_preload_length 0
		.amdhsa_user_sgpr_kernarg_preload_offset 0
		.amdhsa_user_sgpr_private_segment_size 0
		.amdhsa_uses_dynamic_stack 0
		.amdhsa_system_sgpr_private_segment_wavefront_offset 0
		.amdhsa_system_sgpr_workgroup_id_x 1
		.amdhsa_system_sgpr_workgroup_id_y 0
		.amdhsa_system_sgpr_workgroup_id_z 0
		.amdhsa_system_sgpr_workgroup_info 0
		.amdhsa_system_vgpr_workitem_id 0
		.amdhsa_next_free_vgpr 16
		.amdhsa_next_free_sgpr 17
		.amdhsa_accum_offset 16
		.amdhsa_reserve_vcc 1
		.amdhsa_reserve_flat_scratch 0
		.amdhsa_float_round_mode_32 0
		.amdhsa_float_round_mode_16_64 0
		.amdhsa_float_denorm_mode_32 3
		.amdhsa_float_denorm_mode_16_64 3
		.amdhsa_dx10_clamp 1
		.amdhsa_ieee_mode 1
		.amdhsa_fp16_overflow 0
		.amdhsa_tg_split 0
		.amdhsa_exception_fp_ieee_invalid_op 0
		.amdhsa_exception_fp_denorm_src 0
		.amdhsa_exception_fp_ieee_div_zero 0
		.amdhsa_exception_fp_ieee_overflow 0
		.amdhsa_exception_fp_ieee_underflow 0
		.amdhsa_exception_fp_ieee_inexact 0
		.amdhsa_exception_int_div_zero 0
	.end_amdhsa_kernel
	.section	.text._ZN7rocprim17ROCPRIM_400000_NS6detail17trampoline_kernelINS0_14default_configENS1_25transform_config_selectorI14custom_numericLb0EEEZNS1_14transform_implILb0ES3_S6_NS0_18transform_iteratorINS0_17counting_iteratorImlEEZNS1_24adjacent_difference_implIS3_Lb1ELb0EPS5_SC_N6thrust23THRUST_200600_302600_NS4plusIS5_EEEE10hipError_tPvRmT2_T3_mT4_P12ihipStream_tbEUlmE_S5_EESC_NS0_8identityIvEEEESH_SK_SL_mSM_SO_bEUlT_E_NS1_11comp_targetILNS1_3genE4ELNS1_11target_archE910ELNS1_3gpuE8ELNS1_3repE0EEENS1_30default_config_static_selectorELNS0_4arch9wavefront6targetE1EEEvT1_,"axG",@progbits,_ZN7rocprim17ROCPRIM_400000_NS6detail17trampoline_kernelINS0_14default_configENS1_25transform_config_selectorI14custom_numericLb0EEEZNS1_14transform_implILb0ES3_S6_NS0_18transform_iteratorINS0_17counting_iteratorImlEEZNS1_24adjacent_difference_implIS3_Lb1ELb0EPS5_SC_N6thrust23THRUST_200600_302600_NS4plusIS5_EEEE10hipError_tPvRmT2_T3_mT4_P12ihipStream_tbEUlmE_S5_EESC_NS0_8identityIvEEEESH_SK_SL_mSM_SO_bEUlT_E_NS1_11comp_targetILNS1_3genE4ELNS1_11target_archE910ELNS1_3gpuE8ELNS1_3repE0EEENS1_30default_config_static_selectorELNS0_4arch9wavefront6targetE1EEEvT1_,comdat
.Lfunc_end245:
	.size	_ZN7rocprim17ROCPRIM_400000_NS6detail17trampoline_kernelINS0_14default_configENS1_25transform_config_selectorI14custom_numericLb0EEEZNS1_14transform_implILb0ES3_S6_NS0_18transform_iteratorINS0_17counting_iteratorImlEEZNS1_24adjacent_difference_implIS3_Lb1ELb0EPS5_SC_N6thrust23THRUST_200600_302600_NS4plusIS5_EEEE10hipError_tPvRmT2_T3_mT4_P12ihipStream_tbEUlmE_S5_EESC_NS0_8identityIvEEEESH_SK_SL_mSM_SO_bEUlT_E_NS1_11comp_targetILNS1_3genE4ELNS1_11target_archE910ELNS1_3gpuE8ELNS1_3repE0EEENS1_30default_config_static_selectorELNS0_4arch9wavefront6targetE1EEEvT1_, .Lfunc_end245-_ZN7rocprim17ROCPRIM_400000_NS6detail17trampoline_kernelINS0_14default_configENS1_25transform_config_selectorI14custom_numericLb0EEEZNS1_14transform_implILb0ES3_S6_NS0_18transform_iteratorINS0_17counting_iteratorImlEEZNS1_24adjacent_difference_implIS3_Lb1ELb0EPS5_SC_N6thrust23THRUST_200600_302600_NS4plusIS5_EEEE10hipError_tPvRmT2_T3_mT4_P12ihipStream_tbEUlmE_S5_EESC_NS0_8identityIvEEEESH_SK_SL_mSM_SO_bEUlT_E_NS1_11comp_targetILNS1_3genE4ELNS1_11target_archE910ELNS1_3gpuE8ELNS1_3repE0EEENS1_30default_config_static_selectorELNS0_4arch9wavefront6targetE1EEEvT1_
                                        ; -- End function
	.section	.AMDGPU.csdata,"",@progbits
; Kernel info:
; codeLenInByte = 828
; NumSgprs: 21
; NumVgprs: 16
; NumAgprs: 0
; TotalNumVgprs: 16
; ScratchSize: 0
; MemoryBound: 0
; FloatMode: 240
; IeeeMode: 1
; LDSByteSize: 0 bytes/workgroup (compile time only)
; SGPRBlocks: 2
; VGPRBlocks: 1
; NumSGPRsForWavesPerEU: 21
; NumVGPRsForWavesPerEU: 16
; AccumOffset: 16
; Occupancy: 8
; WaveLimiterHint : 1
; COMPUTE_PGM_RSRC2:SCRATCH_EN: 0
; COMPUTE_PGM_RSRC2:USER_SGPR: 6
; COMPUTE_PGM_RSRC2:TRAP_HANDLER: 0
; COMPUTE_PGM_RSRC2:TGID_X_EN: 1
; COMPUTE_PGM_RSRC2:TGID_Y_EN: 0
; COMPUTE_PGM_RSRC2:TGID_Z_EN: 0
; COMPUTE_PGM_RSRC2:TIDIG_COMP_CNT: 0
; COMPUTE_PGM_RSRC3_GFX90A:ACCUM_OFFSET: 3
; COMPUTE_PGM_RSRC3_GFX90A:TG_SPLIT: 0
	.section	.text._ZN7rocprim17ROCPRIM_400000_NS6detail17trampoline_kernelINS0_14default_configENS1_25transform_config_selectorI14custom_numericLb0EEEZNS1_14transform_implILb0ES3_S6_NS0_18transform_iteratorINS0_17counting_iteratorImlEEZNS1_24adjacent_difference_implIS3_Lb1ELb0EPS5_SC_N6thrust23THRUST_200600_302600_NS4plusIS5_EEEE10hipError_tPvRmT2_T3_mT4_P12ihipStream_tbEUlmE_S5_EESC_NS0_8identityIvEEEESH_SK_SL_mSM_SO_bEUlT_E_NS1_11comp_targetILNS1_3genE3ELNS1_11target_archE908ELNS1_3gpuE7ELNS1_3repE0EEENS1_30default_config_static_selectorELNS0_4arch9wavefront6targetE1EEEvT1_,"axG",@progbits,_ZN7rocprim17ROCPRIM_400000_NS6detail17trampoline_kernelINS0_14default_configENS1_25transform_config_selectorI14custom_numericLb0EEEZNS1_14transform_implILb0ES3_S6_NS0_18transform_iteratorINS0_17counting_iteratorImlEEZNS1_24adjacent_difference_implIS3_Lb1ELb0EPS5_SC_N6thrust23THRUST_200600_302600_NS4plusIS5_EEEE10hipError_tPvRmT2_T3_mT4_P12ihipStream_tbEUlmE_S5_EESC_NS0_8identityIvEEEESH_SK_SL_mSM_SO_bEUlT_E_NS1_11comp_targetILNS1_3genE3ELNS1_11target_archE908ELNS1_3gpuE7ELNS1_3repE0EEENS1_30default_config_static_selectorELNS0_4arch9wavefront6targetE1EEEvT1_,comdat
	.protected	_ZN7rocprim17ROCPRIM_400000_NS6detail17trampoline_kernelINS0_14default_configENS1_25transform_config_selectorI14custom_numericLb0EEEZNS1_14transform_implILb0ES3_S6_NS0_18transform_iteratorINS0_17counting_iteratorImlEEZNS1_24adjacent_difference_implIS3_Lb1ELb0EPS5_SC_N6thrust23THRUST_200600_302600_NS4plusIS5_EEEE10hipError_tPvRmT2_T3_mT4_P12ihipStream_tbEUlmE_S5_EESC_NS0_8identityIvEEEESH_SK_SL_mSM_SO_bEUlT_E_NS1_11comp_targetILNS1_3genE3ELNS1_11target_archE908ELNS1_3gpuE7ELNS1_3repE0EEENS1_30default_config_static_selectorELNS0_4arch9wavefront6targetE1EEEvT1_ ; -- Begin function _ZN7rocprim17ROCPRIM_400000_NS6detail17trampoline_kernelINS0_14default_configENS1_25transform_config_selectorI14custom_numericLb0EEEZNS1_14transform_implILb0ES3_S6_NS0_18transform_iteratorINS0_17counting_iteratorImlEEZNS1_24adjacent_difference_implIS3_Lb1ELb0EPS5_SC_N6thrust23THRUST_200600_302600_NS4plusIS5_EEEE10hipError_tPvRmT2_T3_mT4_P12ihipStream_tbEUlmE_S5_EESC_NS0_8identityIvEEEESH_SK_SL_mSM_SO_bEUlT_E_NS1_11comp_targetILNS1_3genE3ELNS1_11target_archE908ELNS1_3gpuE7ELNS1_3repE0EEENS1_30default_config_static_selectorELNS0_4arch9wavefront6targetE1EEEvT1_
	.globl	_ZN7rocprim17ROCPRIM_400000_NS6detail17trampoline_kernelINS0_14default_configENS1_25transform_config_selectorI14custom_numericLb0EEEZNS1_14transform_implILb0ES3_S6_NS0_18transform_iteratorINS0_17counting_iteratorImlEEZNS1_24adjacent_difference_implIS3_Lb1ELb0EPS5_SC_N6thrust23THRUST_200600_302600_NS4plusIS5_EEEE10hipError_tPvRmT2_T3_mT4_P12ihipStream_tbEUlmE_S5_EESC_NS0_8identityIvEEEESH_SK_SL_mSM_SO_bEUlT_E_NS1_11comp_targetILNS1_3genE3ELNS1_11target_archE908ELNS1_3gpuE7ELNS1_3repE0EEENS1_30default_config_static_selectorELNS0_4arch9wavefront6targetE1EEEvT1_
	.p2align	8
	.type	_ZN7rocprim17ROCPRIM_400000_NS6detail17trampoline_kernelINS0_14default_configENS1_25transform_config_selectorI14custom_numericLb0EEEZNS1_14transform_implILb0ES3_S6_NS0_18transform_iteratorINS0_17counting_iteratorImlEEZNS1_24adjacent_difference_implIS3_Lb1ELb0EPS5_SC_N6thrust23THRUST_200600_302600_NS4plusIS5_EEEE10hipError_tPvRmT2_T3_mT4_P12ihipStream_tbEUlmE_S5_EESC_NS0_8identityIvEEEESH_SK_SL_mSM_SO_bEUlT_E_NS1_11comp_targetILNS1_3genE3ELNS1_11target_archE908ELNS1_3gpuE7ELNS1_3repE0EEENS1_30default_config_static_selectorELNS0_4arch9wavefront6targetE1EEEvT1_,@function
_ZN7rocprim17ROCPRIM_400000_NS6detail17trampoline_kernelINS0_14default_configENS1_25transform_config_selectorI14custom_numericLb0EEEZNS1_14transform_implILb0ES3_S6_NS0_18transform_iteratorINS0_17counting_iteratorImlEEZNS1_24adjacent_difference_implIS3_Lb1ELb0EPS5_SC_N6thrust23THRUST_200600_302600_NS4plusIS5_EEEE10hipError_tPvRmT2_T3_mT4_P12ihipStream_tbEUlmE_S5_EESC_NS0_8identityIvEEEESH_SK_SL_mSM_SO_bEUlT_E_NS1_11comp_targetILNS1_3genE3ELNS1_11target_archE908ELNS1_3gpuE7ELNS1_3repE0EEENS1_30default_config_static_selectorELNS0_4arch9wavefront6targetE1EEEvT1_: ; @_ZN7rocprim17ROCPRIM_400000_NS6detail17trampoline_kernelINS0_14default_configENS1_25transform_config_selectorI14custom_numericLb0EEEZNS1_14transform_implILb0ES3_S6_NS0_18transform_iteratorINS0_17counting_iteratorImlEEZNS1_24adjacent_difference_implIS3_Lb1ELb0EPS5_SC_N6thrust23THRUST_200600_302600_NS4plusIS5_EEEE10hipError_tPvRmT2_T3_mT4_P12ihipStream_tbEUlmE_S5_EESC_NS0_8identityIvEEEESH_SK_SL_mSM_SO_bEUlT_E_NS1_11comp_targetILNS1_3genE3ELNS1_11target_archE908ELNS1_3gpuE7ELNS1_3repE0EEENS1_30default_config_static_selectorELNS0_4arch9wavefront6targetE1EEEvT1_
; %bb.0:
	.section	.rodata,"a",@progbits
	.p2align	6, 0x0
	.amdhsa_kernel _ZN7rocprim17ROCPRIM_400000_NS6detail17trampoline_kernelINS0_14default_configENS1_25transform_config_selectorI14custom_numericLb0EEEZNS1_14transform_implILb0ES3_S6_NS0_18transform_iteratorINS0_17counting_iteratorImlEEZNS1_24adjacent_difference_implIS3_Lb1ELb0EPS5_SC_N6thrust23THRUST_200600_302600_NS4plusIS5_EEEE10hipError_tPvRmT2_T3_mT4_P12ihipStream_tbEUlmE_S5_EESC_NS0_8identityIvEEEESH_SK_SL_mSM_SO_bEUlT_E_NS1_11comp_targetILNS1_3genE3ELNS1_11target_archE908ELNS1_3gpuE7ELNS1_3repE0EEENS1_30default_config_static_selectorELNS0_4arch9wavefront6targetE1EEEvT1_
		.amdhsa_group_segment_fixed_size 0
		.amdhsa_private_segment_fixed_size 0
		.amdhsa_kernarg_size 56
		.amdhsa_user_sgpr_count 6
		.amdhsa_user_sgpr_private_segment_buffer 1
		.amdhsa_user_sgpr_dispatch_ptr 0
		.amdhsa_user_sgpr_queue_ptr 0
		.amdhsa_user_sgpr_kernarg_segment_ptr 1
		.amdhsa_user_sgpr_dispatch_id 0
		.amdhsa_user_sgpr_flat_scratch_init 0
		.amdhsa_user_sgpr_kernarg_preload_length 0
		.amdhsa_user_sgpr_kernarg_preload_offset 0
		.amdhsa_user_sgpr_private_segment_size 0
		.amdhsa_uses_dynamic_stack 0
		.amdhsa_system_sgpr_private_segment_wavefront_offset 0
		.amdhsa_system_sgpr_workgroup_id_x 1
		.amdhsa_system_sgpr_workgroup_id_y 0
		.amdhsa_system_sgpr_workgroup_id_z 0
		.amdhsa_system_sgpr_workgroup_info 0
		.amdhsa_system_vgpr_workitem_id 0
		.amdhsa_next_free_vgpr 1
		.amdhsa_next_free_sgpr 0
		.amdhsa_accum_offset 4
		.amdhsa_reserve_vcc 0
		.amdhsa_reserve_flat_scratch 0
		.amdhsa_float_round_mode_32 0
		.amdhsa_float_round_mode_16_64 0
		.amdhsa_float_denorm_mode_32 3
		.amdhsa_float_denorm_mode_16_64 3
		.amdhsa_dx10_clamp 1
		.amdhsa_ieee_mode 1
		.amdhsa_fp16_overflow 0
		.amdhsa_tg_split 0
		.amdhsa_exception_fp_ieee_invalid_op 0
		.amdhsa_exception_fp_denorm_src 0
		.amdhsa_exception_fp_ieee_div_zero 0
		.amdhsa_exception_fp_ieee_overflow 0
		.amdhsa_exception_fp_ieee_underflow 0
		.amdhsa_exception_fp_ieee_inexact 0
		.amdhsa_exception_int_div_zero 0
	.end_amdhsa_kernel
	.section	.text._ZN7rocprim17ROCPRIM_400000_NS6detail17trampoline_kernelINS0_14default_configENS1_25transform_config_selectorI14custom_numericLb0EEEZNS1_14transform_implILb0ES3_S6_NS0_18transform_iteratorINS0_17counting_iteratorImlEEZNS1_24adjacent_difference_implIS3_Lb1ELb0EPS5_SC_N6thrust23THRUST_200600_302600_NS4plusIS5_EEEE10hipError_tPvRmT2_T3_mT4_P12ihipStream_tbEUlmE_S5_EESC_NS0_8identityIvEEEESH_SK_SL_mSM_SO_bEUlT_E_NS1_11comp_targetILNS1_3genE3ELNS1_11target_archE908ELNS1_3gpuE7ELNS1_3repE0EEENS1_30default_config_static_selectorELNS0_4arch9wavefront6targetE1EEEvT1_,"axG",@progbits,_ZN7rocprim17ROCPRIM_400000_NS6detail17trampoline_kernelINS0_14default_configENS1_25transform_config_selectorI14custom_numericLb0EEEZNS1_14transform_implILb0ES3_S6_NS0_18transform_iteratorINS0_17counting_iteratorImlEEZNS1_24adjacent_difference_implIS3_Lb1ELb0EPS5_SC_N6thrust23THRUST_200600_302600_NS4plusIS5_EEEE10hipError_tPvRmT2_T3_mT4_P12ihipStream_tbEUlmE_S5_EESC_NS0_8identityIvEEEESH_SK_SL_mSM_SO_bEUlT_E_NS1_11comp_targetILNS1_3genE3ELNS1_11target_archE908ELNS1_3gpuE7ELNS1_3repE0EEENS1_30default_config_static_selectorELNS0_4arch9wavefront6targetE1EEEvT1_,comdat
.Lfunc_end246:
	.size	_ZN7rocprim17ROCPRIM_400000_NS6detail17trampoline_kernelINS0_14default_configENS1_25transform_config_selectorI14custom_numericLb0EEEZNS1_14transform_implILb0ES3_S6_NS0_18transform_iteratorINS0_17counting_iteratorImlEEZNS1_24adjacent_difference_implIS3_Lb1ELb0EPS5_SC_N6thrust23THRUST_200600_302600_NS4plusIS5_EEEE10hipError_tPvRmT2_T3_mT4_P12ihipStream_tbEUlmE_S5_EESC_NS0_8identityIvEEEESH_SK_SL_mSM_SO_bEUlT_E_NS1_11comp_targetILNS1_3genE3ELNS1_11target_archE908ELNS1_3gpuE7ELNS1_3repE0EEENS1_30default_config_static_selectorELNS0_4arch9wavefront6targetE1EEEvT1_, .Lfunc_end246-_ZN7rocprim17ROCPRIM_400000_NS6detail17trampoline_kernelINS0_14default_configENS1_25transform_config_selectorI14custom_numericLb0EEEZNS1_14transform_implILb0ES3_S6_NS0_18transform_iteratorINS0_17counting_iteratorImlEEZNS1_24adjacent_difference_implIS3_Lb1ELb0EPS5_SC_N6thrust23THRUST_200600_302600_NS4plusIS5_EEEE10hipError_tPvRmT2_T3_mT4_P12ihipStream_tbEUlmE_S5_EESC_NS0_8identityIvEEEESH_SK_SL_mSM_SO_bEUlT_E_NS1_11comp_targetILNS1_3genE3ELNS1_11target_archE908ELNS1_3gpuE7ELNS1_3repE0EEENS1_30default_config_static_selectorELNS0_4arch9wavefront6targetE1EEEvT1_
                                        ; -- End function
	.section	.AMDGPU.csdata,"",@progbits
; Kernel info:
; codeLenInByte = 0
; NumSgprs: 4
; NumVgprs: 0
; NumAgprs: 0
; TotalNumVgprs: 0
; ScratchSize: 0
; MemoryBound: 0
; FloatMode: 240
; IeeeMode: 1
; LDSByteSize: 0 bytes/workgroup (compile time only)
; SGPRBlocks: 0
; VGPRBlocks: 0
; NumSGPRsForWavesPerEU: 4
; NumVGPRsForWavesPerEU: 1
; AccumOffset: 4
; Occupancy: 8
; WaveLimiterHint : 0
; COMPUTE_PGM_RSRC2:SCRATCH_EN: 0
; COMPUTE_PGM_RSRC2:USER_SGPR: 6
; COMPUTE_PGM_RSRC2:TRAP_HANDLER: 0
; COMPUTE_PGM_RSRC2:TGID_X_EN: 1
; COMPUTE_PGM_RSRC2:TGID_Y_EN: 0
; COMPUTE_PGM_RSRC2:TGID_Z_EN: 0
; COMPUTE_PGM_RSRC2:TIDIG_COMP_CNT: 0
; COMPUTE_PGM_RSRC3_GFX90A:ACCUM_OFFSET: 0
; COMPUTE_PGM_RSRC3_GFX90A:TG_SPLIT: 0
	.section	.text._ZN7rocprim17ROCPRIM_400000_NS6detail17trampoline_kernelINS0_14default_configENS1_25transform_config_selectorI14custom_numericLb0EEEZNS1_14transform_implILb0ES3_S6_NS0_18transform_iteratorINS0_17counting_iteratorImlEEZNS1_24adjacent_difference_implIS3_Lb1ELb0EPS5_SC_N6thrust23THRUST_200600_302600_NS4plusIS5_EEEE10hipError_tPvRmT2_T3_mT4_P12ihipStream_tbEUlmE_S5_EESC_NS0_8identityIvEEEESH_SK_SL_mSM_SO_bEUlT_E_NS1_11comp_targetILNS1_3genE2ELNS1_11target_archE906ELNS1_3gpuE6ELNS1_3repE0EEENS1_30default_config_static_selectorELNS0_4arch9wavefront6targetE1EEEvT1_,"axG",@progbits,_ZN7rocprim17ROCPRIM_400000_NS6detail17trampoline_kernelINS0_14default_configENS1_25transform_config_selectorI14custom_numericLb0EEEZNS1_14transform_implILb0ES3_S6_NS0_18transform_iteratorINS0_17counting_iteratorImlEEZNS1_24adjacent_difference_implIS3_Lb1ELb0EPS5_SC_N6thrust23THRUST_200600_302600_NS4plusIS5_EEEE10hipError_tPvRmT2_T3_mT4_P12ihipStream_tbEUlmE_S5_EESC_NS0_8identityIvEEEESH_SK_SL_mSM_SO_bEUlT_E_NS1_11comp_targetILNS1_3genE2ELNS1_11target_archE906ELNS1_3gpuE6ELNS1_3repE0EEENS1_30default_config_static_selectorELNS0_4arch9wavefront6targetE1EEEvT1_,comdat
	.protected	_ZN7rocprim17ROCPRIM_400000_NS6detail17trampoline_kernelINS0_14default_configENS1_25transform_config_selectorI14custom_numericLb0EEEZNS1_14transform_implILb0ES3_S6_NS0_18transform_iteratorINS0_17counting_iteratorImlEEZNS1_24adjacent_difference_implIS3_Lb1ELb0EPS5_SC_N6thrust23THRUST_200600_302600_NS4plusIS5_EEEE10hipError_tPvRmT2_T3_mT4_P12ihipStream_tbEUlmE_S5_EESC_NS0_8identityIvEEEESH_SK_SL_mSM_SO_bEUlT_E_NS1_11comp_targetILNS1_3genE2ELNS1_11target_archE906ELNS1_3gpuE6ELNS1_3repE0EEENS1_30default_config_static_selectorELNS0_4arch9wavefront6targetE1EEEvT1_ ; -- Begin function _ZN7rocprim17ROCPRIM_400000_NS6detail17trampoline_kernelINS0_14default_configENS1_25transform_config_selectorI14custom_numericLb0EEEZNS1_14transform_implILb0ES3_S6_NS0_18transform_iteratorINS0_17counting_iteratorImlEEZNS1_24adjacent_difference_implIS3_Lb1ELb0EPS5_SC_N6thrust23THRUST_200600_302600_NS4plusIS5_EEEE10hipError_tPvRmT2_T3_mT4_P12ihipStream_tbEUlmE_S5_EESC_NS0_8identityIvEEEESH_SK_SL_mSM_SO_bEUlT_E_NS1_11comp_targetILNS1_3genE2ELNS1_11target_archE906ELNS1_3gpuE6ELNS1_3repE0EEENS1_30default_config_static_selectorELNS0_4arch9wavefront6targetE1EEEvT1_
	.globl	_ZN7rocprim17ROCPRIM_400000_NS6detail17trampoline_kernelINS0_14default_configENS1_25transform_config_selectorI14custom_numericLb0EEEZNS1_14transform_implILb0ES3_S6_NS0_18transform_iteratorINS0_17counting_iteratorImlEEZNS1_24adjacent_difference_implIS3_Lb1ELb0EPS5_SC_N6thrust23THRUST_200600_302600_NS4plusIS5_EEEE10hipError_tPvRmT2_T3_mT4_P12ihipStream_tbEUlmE_S5_EESC_NS0_8identityIvEEEESH_SK_SL_mSM_SO_bEUlT_E_NS1_11comp_targetILNS1_3genE2ELNS1_11target_archE906ELNS1_3gpuE6ELNS1_3repE0EEENS1_30default_config_static_selectorELNS0_4arch9wavefront6targetE1EEEvT1_
	.p2align	8
	.type	_ZN7rocprim17ROCPRIM_400000_NS6detail17trampoline_kernelINS0_14default_configENS1_25transform_config_selectorI14custom_numericLb0EEEZNS1_14transform_implILb0ES3_S6_NS0_18transform_iteratorINS0_17counting_iteratorImlEEZNS1_24adjacent_difference_implIS3_Lb1ELb0EPS5_SC_N6thrust23THRUST_200600_302600_NS4plusIS5_EEEE10hipError_tPvRmT2_T3_mT4_P12ihipStream_tbEUlmE_S5_EESC_NS0_8identityIvEEEESH_SK_SL_mSM_SO_bEUlT_E_NS1_11comp_targetILNS1_3genE2ELNS1_11target_archE906ELNS1_3gpuE6ELNS1_3repE0EEENS1_30default_config_static_selectorELNS0_4arch9wavefront6targetE1EEEvT1_,@function
_ZN7rocprim17ROCPRIM_400000_NS6detail17trampoline_kernelINS0_14default_configENS1_25transform_config_selectorI14custom_numericLb0EEEZNS1_14transform_implILb0ES3_S6_NS0_18transform_iteratorINS0_17counting_iteratorImlEEZNS1_24adjacent_difference_implIS3_Lb1ELb0EPS5_SC_N6thrust23THRUST_200600_302600_NS4plusIS5_EEEE10hipError_tPvRmT2_T3_mT4_P12ihipStream_tbEUlmE_S5_EESC_NS0_8identityIvEEEESH_SK_SL_mSM_SO_bEUlT_E_NS1_11comp_targetILNS1_3genE2ELNS1_11target_archE906ELNS1_3gpuE6ELNS1_3repE0EEENS1_30default_config_static_selectorELNS0_4arch9wavefront6targetE1EEEvT1_: ; @_ZN7rocprim17ROCPRIM_400000_NS6detail17trampoline_kernelINS0_14default_configENS1_25transform_config_selectorI14custom_numericLb0EEEZNS1_14transform_implILb0ES3_S6_NS0_18transform_iteratorINS0_17counting_iteratorImlEEZNS1_24adjacent_difference_implIS3_Lb1ELb0EPS5_SC_N6thrust23THRUST_200600_302600_NS4plusIS5_EEEE10hipError_tPvRmT2_T3_mT4_P12ihipStream_tbEUlmE_S5_EESC_NS0_8identityIvEEEESH_SK_SL_mSM_SO_bEUlT_E_NS1_11comp_targetILNS1_3genE2ELNS1_11target_archE906ELNS1_3gpuE6ELNS1_3repE0EEENS1_30default_config_static_selectorELNS0_4arch9wavefront6targetE1EEEvT1_
; %bb.0:
	.section	.rodata,"a",@progbits
	.p2align	6, 0x0
	.amdhsa_kernel _ZN7rocprim17ROCPRIM_400000_NS6detail17trampoline_kernelINS0_14default_configENS1_25transform_config_selectorI14custom_numericLb0EEEZNS1_14transform_implILb0ES3_S6_NS0_18transform_iteratorINS0_17counting_iteratorImlEEZNS1_24adjacent_difference_implIS3_Lb1ELb0EPS5_SC_N6thrust23THRUST_200600_302600_NS4plusIS5_EEEE10hipError_tPvRmT2_T3_mT4_P12ihipStream_tbEUlmE_S5_EESC_NS0_8identityIvEEEESH_SK_SL_mSM_SO_bEUlT_E_NS1_11comp_targetILNS1_3genE2ELNS1_11target_archE906ELNS1_3gpuE6ELNS1_3repE0EEENS1_30default_config_static_selectorELNS0_4arch9wavefront6targetE1EEEvT1_
		.amdhsa_group_segment_fixed_size 0
		.amdhsa_private_segment_fixed_size 0
		.amdhsa_kernarg_size 56
		.amdhsa_user_sgpr_count 6
		.amdhsa_user_sgpr_private_segment_buffer 1
		.amdhsa_user_sgpr_dispatch_ptr 0
		.amdhsa_user_sgpr_queue_ptr 0
		.amdhsa_user_sgpr_kernarg_segment_ptr 1
		.amdhsa_user_sgpr_dispatch_id 0
		.amdhsa_user_sgpr_flat_scratch_init 0
		.amdhsa_user_sgpr_kernarg_preload_length 0
		.amdhsa_user_sgpr_kernarg_preload_offset 0
		.amdhsa_user_sgpr_private_segment_size 0
		.amdhsa_uses_dynamic_stack 0
		.amdhsa_system_sgpr_private_segment_wavefront_offset 0
		.amdhsa_system_sgpr_workgroup_id_x 1
		.amdhsa_system_sgpr_workgroup_id_y 0
		.amdhsa_system_sgpr_workgroup_id_z 0
		.amdhsa_system_sgpr_workgroup_info 0
		.amdhsa_system_vgpr_workitem_id 0
		.amdhsa_next_free_vgpr 1
		.amdhsa_next_free_sgpr 0
		.amdhsa_accum_offset 4
		.amdhsa_reserve_vcc 0
		.amdhsa_reserve_flat_scratch 0
		.amdhsa_float_round_mode_32 0
		.amdhsa_float_round_mode_16_64 0
		.amdhsa_float_denorm_mode_32 3
		.amdhsa_float_denorm_mode_16_64 3
		.amdhsa_dx10_clamp 1
		.amdhsa_ieee_mode 1
		.amdhsa_fp16_overflow 0
		.amdhsa_tg_split 0
		.amdhsa_exception_fp_ieee_invalid_op 0
		.amdhsa_exception_fp_denorm_src 0
		.amdhsa_exception_fp_ieee_div_zero 0
		.amdhsa_exception_fp_ieee_overflow 0
		.amdhsa_exception_fp_ieee_underflow 0
		.amdhsa_exception_fp_ieee_inexact 0
		.amdhsa_exception_int_div_zero 0
	.end_amdhsa_kernel
	.section	.text._ZN7rocprim17ROCPRIM_400000_NS6detail17trampoline_kernelINS0_14default_configENS1_25transform_config_selectorI14custom_numericLb0EEEZNS1_14transform_implILb0ES3_S6_NS0_18transform_iteratorINS0_17counting_iteratorImlEEZNS1_24adjacent_difference_implIS3_Lb1ELb0EPS5_SC_N6thrust23THRUST_200600_302600_NS4plusIS5_EEEE10hipError_tPvRmT2_T3_mT4_P12ihipStream_tbEUlmE_S5_EESC_NS0_8identityIvEEEESH_SK_SL_mSM_SO_bEUlT_E_NS1_11comp_targetILNS1_3genE2ELNS1_11target_archE906ELNS1_3gpuE6ELNS1_3repE0EEENS1_30default_config_static_selectorELNS0_4arch9wavefront6targetE1EEEvT1_,"axG",@progbits,_ZN7rocprim17ROCPRIM_400000_NS6detail17trampoline_kernelINS0_14default_configENS1_25transform_config_selectorI14custom_numericLb0EEEZNS1_14transform_implILb0ES3_S6_NS0_18transform_iteratorINS0_17counting_iteratorImlEEZNS1_24adjacent_difference_implIS3_Lb1ELb0EPS5_SC_N6thrust23THRUST_200600_302600_NS4plusIS5_EEEE10hipError_tPvRmT2_T3_mT4_P12ihipStream_tbEUlmE_S5_EESC_NS0_8identityIvEEEESH_SK_SL_mSM_SO_bEUlT_E_NS1_11comp_targetILNS1_3genE2ELNS1_11target_archE906ELNS1_3gpuE6ELNS1_3repE0EEENS1_30default_config_static_selectorELNS0_4arch9wavefront6targetE1EEEvT1_,comdat
.Lfunc_end247:
	.size	_ZN7rocprim17ROCPRIM_400000_NS6detail17trampoline_kernelINS0_14default_configENS1_25transform_config_selectorI14custom_numericLb0EEEZNS1_14transform_implILb0ES3_S6_NS0_18transform_iteratorINS0_17counting_iteratorImlEEZNS1_24adjacent_difference_implIS3_Lb1ELb0EPS5_SC_N6thrust23THRUST_200600_302600_NS4plusIS5_EEEE10hipError_tPvRmT2_T3_mT4_P12ihipStream_tbEUlmE_S5_EESC_NS0_8identityIvEEEESH_SK_SL_mSM_SO_bEUlT_E_NS1_11comp_targetILNS1_3genE2ELNS1_11target_archE906ELNS1_3gpuE6ELNS1_3repE0EEENS1_30default_config_static_selectorELNS0_4arch9wavefront6targetE1EEEvT1_, .Lfunc_end247-_ZN7rocprim17ROCPRIM_400000_NS6detail17trampoline_kernelINS0_14default_configENS1_25transform_config_selectorI14custom_numericLb0EEEZNS1_14transform_implILb0ES3_S6_NS0_18transform_iteratorINS0_17counting_iteratorImlEEZNS1_24adjacent_difference_implIS3_Lb1ELb0EPS5_SC_N6thrust23THRUST_200600_302600_NS4plusIS5_EEEE10hipError_tPvRmT2_T3_mT4_P12ihipStream_tbEUlmE_S5_EESC_NS0_8identityIvEEEESH_SK_SL_mSM_SO_bEUlT_E_NS1_11comp_targetILNS1_3genE2ELNS1_11target_archE906ELNS1_3gpuE6ELNS1_3repE0EEENS1_30default_config_static_selectorELNS0_4arch9wavefront6targetE1EEEvT1_
                                        ; -- End function
	.section	.AMDGPU.csdata,"",@progbits
; Kernel info:
; codeLenInByte = 0
; NumSgprs: 4
; NumVgprs: 0
; NumAgprs: 0
; TotalNumVgprs: 0
; ScratchSize: 0
; MemoryBound: 0
; FloatMode: 240
; IeeeMode: 1
; LDSByteSize: 0 bytes/workgroup (compile time only)
; SGPRBlocks: 0
; VGPRBlocks: 0
; NumSGPRsForWavesPerEU: 4
; NumVGPRsForWavesPerEU: 1
; AccumOffset: 4
; Occupancy: 8
; WaveLimiterHint : 0
; COMPUTE_PGM_RSRC2:SCRATCH_EN: 0
; COMPUTE_PGM_RSRC2:USER_SGPR: 6
; COMPUTE_PGM_RSRC2:TRAP_HANDLER: 0
; COMPUTE_PGM_RSRC2:TGID_X_EN: 1
; COMPUTE_PGM_RSRC2:TGID_Y_EN: 0
; COMPUTE_PGM_RSRC2:TGID_Z_EN: 0
; COMPUTE_PGM_RSRC2:TIDIG_COMP_CNT: 0
; COMPUTE_PGM_RSRC3_GFX90A:ACCUM_OFFSET: 0
; COMPUTE_PGM_RSRC3_GFX90A:TG_SPLIT: 0
	.section	.text._ZN7rocprim17ROCPRIM_400000_NS6detail17trampoline_kernelINS0_14default_configENS1_25transform_config_selectorI14custom_numericLb0EEEZNS1_14transform_implILb0ES3_S6_NS0_18transform_iteratorINS0_17counting_iteratorImlEEZNS1_24adjacent_difference_implIS3_Lb1ELb0EPS5_SC_N6thrust23THRUST_200600_302600_NS4plusIS5_EEEE10hipError_tPvRmT2_T3_mT4_P12ihipStream_tbEUlmE_S5_EESC_NS0_8identityIvEEEESH_SK_SL_mSM_SO_bEUlT_E_NS1_11comp_targetILNS1_3genE10ELNS1_11target_archE1201ELNS1_3gpuE5ELNS1_3repE0EEENS1_30default_config_static_selectorELNS0_4arch9wavefront6targetE1EEEvT1_,"axG",@progbits,_ZN7rocprim17ROCPRIM_400000_NS6detail17trampoline_kernelINS0_14default_configENS1_25transform_config_selectorI14custom_numericLb0EEEZNS1_14transform_implILb0ES3_S6_NS0_18transform_iteratorINS0_17counting_iteratorImlEEZNS1_24adjacent_difference_implIS3_Lb1ELb0EPS5_SC_N6thrust23THRUST_200600_302600_NS4plusIS5_EEEE10hipError_tPvRmT2_T3_mT4_P12ihipStream_tbEUlmE_S5_EESC_NS0_8identityIvEEEESH_SK_SL_mSM_SO_bEUlT_E_NS1_11comp_targetILNS1_3genE10ELNS1_11target_archE1201ELNS1_3gpuE5ELNS1_3repE0EEENS1_30default_config_static_selectorELNS0_4arch9wavefront6targetE1EEEvT1_,comdat
	.protected	_ZN7rocprim17ROCPRIM_400000_NS6detail17trampoline_kernelINS0_14default_configENS1_25transform_config_selectorI14custom_numericLb0EEEZNS1_14transform_implILb0ES3_S6_NS0_18transform_iteratorINS0_17counting_iteratorImlEEZNS1_24adjacent_difference_implIS3_Lb1ELb0EPS5_SC_N6thrust23THRUST_200600_302600_NS4plusIS5_EEEE10hipError_tPvRmT2_T3_mT4_P12ihipStream_tbEUlmE_S5_EESC_NS0_8identityIvEEEESH_SK_SL_mSM_SO_bEUlT_E_NS1_11comp_targetILNS1_3genE10ELNS1_11target_archE1201ELNS1_3gpuE5ELNS1_3repE0EEENS1_30default_config_static_selectorELNS0_4arch9wavefront6targetE1EEEvT1_ ; -- Begin function _ZN7rocprim17ROCPRIM_400000_NS6detail17trampoline_kernelINS0_14default_configENS1_25transform_config_selectorI14custom_numericLb0EEEZNS1_14transform_implILb0ES3_S6_NS0_18transform_iteratorINS0_17counting_iteratorImlEEZNS1_24adjacent_difference_implIS3_Lb1ELb0EPS5_SC_N6thrust23THRUST_200600_302600_NS4plusIS5_EEEE10hipError_tPvRmT2_T3_mT4_P12ihipStream_tbEUlmE_S5_EESC_NS0_8identityIvEEEESH_SK_SL_mSM_SO_bEUlT_E_NS1_11comp_targetILNS1_3genE10ELNS1_11target_archE1201ELNS1_3gpuE5ELNS1_3repE0EEENS1_30default_config_static_selectorELNS0_4arch9wavefront6targetE1EEEvT1_
	.globl	_ZN7rocprim17ROCPRIM_400000_NS6detail17trampoline_kernelINS0_14default_configENS1_25transform_config_selectorI14custom_numericLb0EEEZNS1_14transform_implILb0ES3_S6_NS0_18transform_iteratorINS0_17counting_iteratorImlEEZNS1_24adjacent_difference_implIS3_Lb1ELb0EPS5_SC_N6thrust23THRUST_200600_302600_NS4plusIS5_EEEE10hipError_tPvRmT2_T3_mT4_P12ihipStream_tbEUlmE_S5_EESC_NS0_8identityIvEEEESH_SK_SL_mSM_SO_bEUlT_E_NS1_11comp_targetILNS1_3genE10ELNS1_11target_archE1201ELNS1_3gpuE5ELNS1_3repE0EEENS1_30default_config_static_selectorELNS0_4arch9wavefront6targetE1EEEvT1_
	.p2align	8
	.type	_ZN7rocprim17ROCPRIM_400000_NS6detail17trampoline_kernelINS0_14default_configENS1_25transform_config_selectorI14custom_numericLb0EEEZNS1_14transform_implILb0ES3_S6_NS0_18transform_iteratorINS0_17counting_iteratorImlEEZNS1_24adjacent_difference_implIS3_Lb1ELb0EPS5_SC_N6thrust23THRUST_200600_302600_NS4plusIS5_EEEE10hipError_tPvRmT2_T3_mT4_P12ihipStream_tbEUlmE_S5_EESC_NS0_8identityIvEEEESH_SK_SL_mSM_SO_bEUlT_E_NS1_11comp_targetILNS1_3genE10ELNS1_11target_archE1201ELNS1_3gpuE5ELNS1_3repE0EEENS1_30default_config_static_selectorELNS0_4arch9wavefront6targetE1EEEvT1_,@function
_ZN7rocprim17ROCPRIM_400000_NS6detail17trampoline_kernelINS0_14default_configENS1_25transform_config_selectorI14custom_numericLb0EEEZNS1_14transform_implILb0ES3_S6_NS0_18transform_iteratorINS0_17counting_iteratorImlEEZNS1_24adjacent_difference_implIS3_Lb1ELb0EPS5_SC_N6thrust23THRUST_200600_302600_NS4plusIS5_EEEE10hipError_tPvRmT2_T3_mT4_P12ihipStream_tbEUlmE_S5_EESC_NS0_8identityIvEEEESH_SK_SL_mSM_SO_bEUlT_E_NS1_11comp_targetILNS1_3genE10ELNS1_11target_archE1201ELNS1_3gpuE5ELNS1_3repE0EEENS1_30default_config_static_selectorELNS0_4arch9wavefront6targetE1EEEvT1_: ; @_ZN7rocprim17ROCPRIM_400000_NS6detail17trampoline_kernelINS0_14default_configENS1_25transform_config_selectorI14custom_numericLb0EEEZNS1_14transform_implILb0ES3_S6_NS0_18transform_iteratorINS0_17counting_iteratorImlEEZNS1_24adjacent_difference_implIS3_Lb1ELb0EPS5_SC_N6thrust23THRUST_200600_302600_NS4plusIS5_EEEE10hipError_tPvRmT2_T3_mT4_P12ihipStream_tbEUlmE_S5_EESC_NS0_8identityIvEEEESH_SK_SL_mSM_SO_bEUlT_E_NS1_11comp_targetILNS1_3genE10ELNS1_11target_archE1201ELNS1_3gpuE5ELNS1_3repE0EEENS1_30default_config_static_selectorELNS0_4arch9wavefront6targetE1EEEvT1_
; %bb.0:
	.section	.rodata,"a",@progbits
	.p2align	6, 0x0
	.amdhsa_kernel _ZN7rocprim17ROCPRIM_400000_NS6detail17trampoline_kernelINS0_14default_configENS1_25transform_config_selectorI14custom_numericLb0EEEZNS1_14transform_implILb0ES3_S6_NS0_18transform_iteratorINS0_17counting_iteratorImlEEZNS1_24adjacent_difference_implIS3_Lb1ELb0EPS5_SC_N6thrust23THRUST_200600_302600_NS4plusIS5_EEEE10hipError_tPvRmT2_T3_mT4_P12ihipStream_tbEUlmE_S5_EESC_NS0_8identityIvEEEESH_SK_SL_mSM_SO_bEUlT_E_NS1_11comp_targetILNS1_3genE10ELNS1_11target_archE1201ELNS1_3gpuE5ELNS1_3repE0EEENS1_30default_config_static_selectorELNS0_4arch9wavefront6targetE1EEEvT1_
		.amdhsa_group_segment_fixed_size 0
		.amdhsa_private_segment_fixed_size 0
		.amdhsa_kernarg_size 56
		.amdhsa_user_sgpr_count 6
		.amdhsa_user_sgpr_private_segment_buffer 1
		.amdhsa_user_sgpr_dispatch_ptr 0
		.amdhsa_user_sgpr_queue_ptr 0
		.amdhsa_user_sgpr_kernarg_segment_ptr 1
		.amdhsa_user_sgpr_dispatch_id 0
		.amdhsa_user_sgpr_flat_scratch_init 0
		.amdhsa_user_sgpr_kernarg_preload_length 0
		.amdhsa_user_sgpr_kernarg_preload_offset 0
		.amdhsa_user_sgpr_private_segment_size 0
		.amdhsa_uses_dynamic_stack 0
		.amdhsa_system_sgpr_private_segment_wavefront_offset 0
		.amdhsa_system_sgpr_workgroup_id_x 1
		.amdhsa_system_sgpr_workgroup_id_y 0
		.amdhsa_system_sgpr_workgroup_id_z 0
		.amdhsa_system_sgpr_workgroup_info 0
		.amdhsa_system_vgpr_workitem_id 0
		.amdhsa_next_free_vgpr 1
		.amdhsa_next_free_sgpr 0
		.amdhsa_accum_offset 4
		.amdhsa_reserve_vcc 0
		.amdhsa_reserve_flat_scratch 0
		.amdhsa_float_round_mode_32 0
		.amdhsa_float_round_mode_16_64 0
		.amdhsa_float_denorm_mode_32 3
		.amdhsa_float_denorm_mode_16_64 3
		.amdhsa_dx10_clamp 1
		.amdhsa_ieee_mode 1
		.amdhsa_fp16_overflow 0
		.amdhsa_tg_split 0
		.amdhsa_exception_fp_ieee_invalid_op 0
		.amdhsa_exception_fp_denorm_src 0
		.amdhsa_exception_fp_ieee_div_zero 0
		.amdhsa_exception_fp_ieee_overflow 0
		.amdhsa_exception_fp_ieee_underflow 0
		.amdhsa_exception_fp_ieee_inexact 0
		.amdhsa_exception_int_div_zero 0
	.end_amdhsa_kernel
	.section	.text._ZN7rocprim17ROCPRIM_400000_NS6detail17trampoline_kernelINS0_14default_configENS1_25transform_config_selectorI14custom_numericLb0EEEZNS1_14transform_implILb0ES3_S6_NS0_18transform_iteratorINS0_17counting_iteratorImlEEZNS1_24adjacent_difference_implIS3_Lb1ELb0EPS5_SC_N6thrust23THRUST_200600_302600_NS4plusIS5_EEEE10hipError_tPvRmT2_T3_mT4_P12ihipStream_tbEUlmE_S5_EESC_NS0_8identityIvEEEESH_SK_SL_mSM_SO_bEUlT_E_NS1_11comp_targetILNS1_3genE10ELNS1_11target_archE1201ELNS1_3gpuE5ELNS1_3repE0EEENS1_30default_config_static_selectorELNS0_4arch9wavefront6targetE1EEEvT1_,"axG",@progbits,_ZN7rocprim17ROCPRIM_400000_NS6detail17trampoline_kernelINS0_14default_configENS1_25transform_config_selectorI14custom_numericLb0EEEZNS1_14transform_implILb0ES3_S6_NS0_18transform_iteratorINS0_17counting_iteratorImlEEZNS1_24adjacent_difference_implIS3_Lb1ELb0EPS5_SC_N6thrust23THRUST_200600_302600_NS4plusIS5_EEEE10hipError_tPvRmT2_T3_mT4_P12ihipStream_tbEUlmE_S5_EESC_NS0_8identityIvEEEESH_SK_SL_mSM_SO_bEUlT_E_NS1_11comp_targetILNS1_3genE10ELNS1_11target_archE1201ELNS1_3gpuE5ELNS1_3repE0EEENS1_30default_config_static_selectorELNS0_4arch9wavefront6targetE1EEEvT1_,comdat
.Lfunc_end248:
	.size	_ZN7rocprim17ROCPRIM_400000_NS6detail17trampoline_kernelINS0_14default_configENS1_25transform_config_selectorI14custom_numericLb0EEEZNS1_14transform_implILb0ES3_S6_NS0_18transform_iteratorINS0_17counting_iteratorImlEEZNS1_24adjacent_difference_implIS3_Lb1ELb0EPS5_SC_N6thrust23THRUST_200600_302600_NS4plusIS5_EEEE10hipError_tPvRmT2_T3_mT4_P12ihipStream_tbEUlmE_S5_EESC_NS0_8identityIvEEEESH_SK_SL_mSM_SO_bEUlT_E_NS1_11comp_targetILNS1_3genE10ELNS1_11target_archE1201ELNS1_3gpuE5ELNS1_3repE0EEENS1_30default_config_static_selectorELNS0_4arch9wavefront6targetE1EEEvT1_, .Lfunc_end248-_ZN7rocprim17ROCPRIM_400000_NS6detail17trampoline_kernelINS0_14default_configENS1_25transform_config_selectorI14custom_numericLb0EEEZNS1_14transform_implILb0ES3_S6_NS0_18transform_iteratorINS0_17counting_iteratorImlEEZNS1_24adjacent_difference_implIS3_Lb1ELb0EPS5_SC_N6thrust23THRUST_200600_302600_NS4plusIS5_EEEE10hipError_tPvRmT2_T3_mT4_P12ihipStream_tbEUlmE_S5_EESC_NS0_8identityIvEEEESH_SK_SL_mSM_SO_bEUlT_E_NS1_11comp_targetILNS1_3genE10ELNS1_11target_archE1201ELNS1_3gpuE5ELNS1_3repE0EEENS1_30default_config_static_selectorELNS0_4arch9wavefront6targetE1EEEvT1_
                                        ; -- End function
	.section	.AMDGPU.csdata,"",@progbits
; Kernel info:
; codeLenInByte = 0
; NumSgprs: 4
; NumVgprs: 0
; NumAgprs: 0
; TotalNumVgprs: 0
; ScratchSize: 0
; MemoryBound: 0
; FloatMode: 240
; IeeeMode: 1
; LDSByteSize: 0 bytes/workgroup (compile time only)
; SGPRBlocks: 0
; VGPRBlocks: 0
; NumSGPRsForWavesPerEU: 4
; NumVGPRsForWavesPerEU: 1
; AccumOffset: 4
; Occupancy: 8
; WaveLimiterHint : 0
; COMPUTE_PGM_RSRC2:SCRATCH_EN: 0
; COMPUTE_PGM_RSRC2:USER_SGPR: 6
; COMPUTE_PGM_RSRC2:TRAP_HANDLER: 0
; COMPUTE_PGM_RSRC2:TGID_X_EN: 1
; COMPUTE_PGM_RSRC2:TGID_Y_EN: 0
; COMPUTE_PGM_RSRC2:TGID_Z_EN: 0
; COMPUTE_PGM_RSRC2:TIDIG_COMP_CNT: 0
; COMPUTE_PGM_RSRC3_GFX90A:ACCUM_OFFSET: 0
; COMPUTE_PGM_RSRC3_GFX90A:TG_SPLIT: 0
	.section	.text._ZN7rocprim17ROCPRIM_400000_NS6detail17trampoline_kernelINS0_14default_configENS1_25transform_config_selectorI14custom_numericLb0EEEZNS1_14transform_implILb0ES3_S6_NS0_18transform_iteratorINS0_17counting_iteratorImlEEZNS1_24adjacent_difference_implIS3_Lb1ELb0EPS5_SC_N6thrust23THRUST_200600_302600_NS4plusIS5_EEEE10hipError_tPvRmT2_T3_mT4_P12ihipStream_tbEUlmE_S5_EESC_NS0_8identityIvEEEESH_SK_SL_mSM_SO_bEUlT_E_NS1_11comp_targetILNS1_3genE10ELNS1_11target_archE1200ELNS1_3gpuE4ELNS1_3repE0EEENS1_30default_config_static_selectorELNS0_4arch9wavefront6targetE1EEEvT1_,"axG",@progbits,_ZN7rocprim17ROCPRIM_400000_NS6detail17trampoline_kernelINS0_14default_configENS1_25transform_config_selectorI14custom_numericLb0EEEZNS1_14transform_implILb0ES3_S6_NS0_18transform_iteratorINS0_17counting_iteratorImlEEZNS1_24adjacent_difference_implIS3_Lb1ELb0EPS5_SC_N6thrust23THRUST_200600_302600_NS4plusIS5_EEEE10hipError_tPvRmT2_T3_mT4_P12ihipStream_tbEUlmE_S5_EESC_NS0_8identityIvEEEESH_SK_SL_mSM_SO_bEUlT_E_NS1_11comp_targetILNS1_3genE10ELNS1_11target_archE1200ELNS1_3gpuE4ELNS1_3repE0EEENS1_30default_config_static_selectorELNS0_4arch9wavefront6targetE1EEEvT1_,comdat
	.protected	_ZN7rocprim17ROCPRIM_400000_NS6detail17trampoline_kernelINS0_14default_configENS1_25transform_config_selectorI14custom_numericLb0EEEZNS1_14transform_implILb0ES3_S6_NS0_18transform_iteratorINS0_17counting_iteratorImlEEZNS1_24adjacent_difference_implIS3_Lb1ELb0EPS5_SC_N6thrust23THRUST_200600_302600_NS4plusIS5_EEEE10hipError_tPvRmT2_T3_mT4_P12ihipStream_tbEUlmE_S5_EESC_NS0_8identityIvEEEESH_SK_SL_mSM_SO_bEUlT_E_NS1_11comp_targetILNS1_3genE10ELNS1_11target_archE1200ELNS1_3gpuE4ELNS1_3repE0EEENS1_30default_config_static_selectorELNS0_4arch9wavefront6targetE1EEEvT1_ ; -- Begin function _ZN7rocprim17ROCPRIM_400000_NS6detail17trampoline_kernelINS0_14default_configENS1_25transform_config_selectorI14custom_numericLb0EEEZNS1_14transform_implILb0ES3_S6_NS0_18transform_iteratorINS0_17counting_iteratorImlEEZNS1_24adjacent_difference_implIS3_Lb1ELb0EPS5_SC_N6thrust23THRUST_200600_302600_NS4plusIS5_EEEE10hipError_tPvRmT2_T3_mT4_P12ihipStream_tbEUlmE_S5_EESC_NS0_8identityIvEEEESH_SK_SL_mSM_SO_bEUlT_E_NS1_11comp_targetILNS1_3genE10ELNS1_11target_archE1200ELNS1_3gpuE4ELNS1_3repE0EEENS1_30default_config_static_selectorELNS0_4arch9wavefront6targetE1EEEvT1_
	.globl	_ZN7rocprim17ROCPRIM_400000_NS6detail17trampoline_kernelINS0_14default_configENS1_25transform_config_selectorI14custom_numericLb0EEEZNS1_14transform_implILb0ES3_S6_NS0_18transform_iteratorINS0_17counting_iteratorImlEEZNS1_24adjacent_difference_implIS3_Lb1ELb0EPS5_SC_N6thrust23THRUST_200600_302600_NS4plusIS5_EEEE10hipError_tPvRmT2_T3_mT4_P12ihipStream_tbEUlmE_S5_EESC_NS0_8identityIvEEEESH_SK_SL_mSM_SO_bEUlT_E_NS1_11comp_targetILNS1_3genE10ELNS1_11target_archE1200ELNS1_3gpuE4ELNS1_3repE0EEENS1_30default_config_static_selectorELNS0_4arch9wavefront6targetE1EEEvT1_
	.p2align	8
	.type	_ZN7rocprim17ROCPRIM_400000_NS6detail17trampoline_kernelINS0_14default_configENS1_25transform_config_selectorI14custom_numericLb0EEEZNS1_14transform_implILb0ES3_S6_NS0_18transform_iteratorINS0_17counting_iteratorImlEEZNS1_24adjacent_difference_implIS3_Lb1ELb0EPS5_SC_N6thrust23THRUST_200600_302600_NS4plusIS5_EEEE10hipError_tPvRmT2_T3_mT4_P12ihipStream_tbEUlmE_S5_EESC_NS0_8identityIvEEEESH_SK_SL_mSM_SO_bEUlT_E_NS1_11comp_targetILNS1_3genE10ELNS1_11target_archE1200ELNS1_3gpuE4ELNS1_3repE0EEENS1_30default_config_static_selectorELNS0_4arch9wavefront6targetE1EEEvT1_,@function
_ZN7rocprim17ROCPRIM_400000_NS6detail17trampoline_kernelINS0_14default_configENS1_25transform_config_selectorI14custom_numericLb0EEEZNS1_14transform_implILb0ES3_S6_NS0_18transform_iteratorINS0_17counting_iteratorImlEEZNS1_24adjacent_difference_implIS3_Lb1ELb0EPS5_SC_N6thrust23THRUST_200600_302600_NS4plusIS5_EEEE10hipError_tPvRmT2_T3_mT4_P12ihipStream_tbEUlmE_S5_EESC_NS0_8identityIvEEEESH_SK_SL_mSM_SO_bEUlT_E_NS1_11comp_targetILNS1_3genE10ELNS1_11target_archE1200ELNS1_3gpuE4ELNS1_3repE0EEENS1_30default_config_static_selectorELNS0_4arch9wavefront6targetE1EEEvT1_: ; @_ZN7rocprim17ROCPRIM_400000_NS6detail17trampoline_kernelINS0_14default_configENS1_25transform_config_selectorI14custom_numericLb0EEEZNS1_14transform_implILb0ES3_S6_NS0_18transform_iteratorINS0_17counting_iteratorImlEEZNS1_24adjacent_difference_implIS3_Lb1ELb0EPS5_SC_N6thrust23THRUST_200600_302600_NS4plusIS5_EEEE10hipError_tPvRmT2_T3_mT4_P12ihipStream_tbEUlmE_S5_EESC_NS0_8identityIvEEEESH_SK_SL_mSM_SO_bEUlT_E_NS1_11comp_targetILNS1_3genE10ELNS1_11target_archE1200ELNS1_3gpuE4ELNS1_3repE0EEENS1_30default_config_static_selectorELNS0_4arch9wavefront6targetE1EEEvT1_
; %bb.0:
	.section	.rodata,"a",@progbits
	.p2align	6, 0x0
	.amdhsa_kernel _ZN7rocprim17ROCPRIM_400000_NS6detail17trampoline_kernelINS0_14default_configENS1_25transform_config_selectorI14custom_numericLb0EEEZNS1_14transform_implILb0ES3_S6_NS0_18transform_iteratorINS0_17counting_iteratorImlEEZNS1_24adjacent_difference_implIS3_Lb1ELb0EPS5_SC_N6thrust23THRUST_200600_302600_NS4plusIS5_EEEE10hipError_tPvRmT2_T3_mT4_P12ihipStream_tbEUlmE_S5_EESC_NS0_8identityIvEEEESH_SK_SL_mSM_SO_bEUlT_E_NS1_11comp_targetILNS1_3genE10ELNS1_11target_archE1200ELNS1_3gpuE4ELNS1_3repE0EEENS1_30default_config_static_selectorELNS0_4arch9wavefront6targetE1EEEvT1_
		.amdhsa_group_segment_fixed_size 0
		.amdhsa_private_segment_fixed_size 0
		.amdhsa_kernarg_size 56
		.amdhsa_user_sgpr_count 6
		.amdhsa_user_sgpr_private_segment_buffer 1
		.amdhsa_user_sgpr_dispatch_ptr 0
		.amdhsa_user_sgpr_queue_ptr 0
		.amdhsa_user_sgpr_kernarg_segment_ptr 1
		.amdhsa_user_sgpr_dispatch_id 0
		.amdhsa_user_sgpr_flat_scratch_init 0
		.amdhsa_user_sgpr_kernarg_preload_length 0
		.amdhsa_user_sgpr_kernarg_preload_offset 0
		.amdhsa_user_sgpr_private_segment_size 0
		.amdhsa_uses_dynamic_stack 0
		.amdhsa_system_sgpr_private_segment_wavefront_offset 0
		.amdhsa_system_sgpr_workgroup_id_x 1
		.amdhsa_system_sgpr_workgroup_id_y 0
		.amdhsa_system_sgpr_workgroup_id_z 0
		.amdhsa_system_sgpr_workgroup_info 0
		.amdhsa_system_vgpr_workitem_id 0
		.amdhsa_next_free_vgpr 1
		.amdhsa_next_free_sgpr 0
		.amdhsa_accum_offset 4
		.amdhsa_reserve_vcc 0
		.amdhsa_reserve_flat_scratch 0
		.amdhsa_float_round_mode_32 0
		.amdhsa_float_round_mode_16_64 0
		.amdhsa_float_denorm_mode_32 3
		.amdhsa_float_denorm_mode_16_64 3
		.amdhsa_dx10_clamp 1
		.amdhsa_ieee_mode 1
		.amdhsa_fp16_overflow 0
		.amdhsa_tg_split 0
		.amdhsa_exception_fp_ieee_invalid_op 0
		.amdhsa_exception_fp_denorm_src 0
		.amdhsa_exception_fp_ieee_div_zero 0
		.amdhsa_exception_fp_ieee_overflow 0
		.amdhsa_exception_fp_ieee_underflow 0
		.amdhsa_exception_fp_ieee_inexact 0
		.amdhsa_exception_int_div_zero 0
	.end_amdhsa_kernel
	.section	.text._ZN7rocprim17ROCPRIM_400000_NS6detail17trampoline_kernelINS0_14default_configENS1_25transform_config_selectorI14custom_numericLb0EEEZNS1_14transform_implILb0ES3_S6_NS0_18transform_iteratorINS0_17counting_iteratorImlEEZNS1_24adjacent_difference_implIS3_Lb1ELb0EPS5_SC_N6thrust23THRUST_200600_302600_NS4plusIS5_EEEE10hipError_tPvRmT2_T3_mT4_P12ihipStream_tbEUlmE_S5_EESC_NS0_8identityIvEEEESH_SK_SL_mSM_SO_bEUlT_E_NS1_11comp_targetILNS1_3genE10ELNS1_11target_archE1200ELNS1_3gpuE4ELNS1_3repE0EEENS1_30default_config_static_selectorELNS0_4arch9wavefront6targetE1EEEvT1_,"axG",@progbits,_ZN7rocprim17ROCPRIM_400000_NS6detail17trampoline_kernelINS0_14default_configENS1_25transform_config_selectorI14custom_numericLb0EEEZNS1_14transform_implILb0ES3_S6_NS0_18transform_iteratorINS0_17counting_iteratorImlEEZNS1_24adjacent_difference_implIS3_Lb1ELb0EPS5_SC_N6thrust23THRUST_200600_302600_NS4plusIS5_EEEE10hipError_tPvRmT2_T3_mT4_P12ihipStream_tbEUlmE_S5_EESC_NS0_8identityIvEEEESH_SK_SL_mSM_SO_bEUlT_E_NS1_11comp_targetILNS1_3genE10ELNS1_11target_archE1200ELNS1_3gpuE4ELNS1_3repE0EEENS1_30default_config_static_selectorELNS0_4arch9wavefront6targetE1EEEvT1_,comdat
.Lfunc_end249:
	.size	_ZN7rocprim17ROCPRIM_400000_NS6detail17trampoline_kernelINS0_14default_configENS1_25transform_config_selectorI14custom_numericLb0EEEZNS1_14transform_implILb0ES3_S6_NS0_18transform_iteratorINS0_17counting_iteratorImlEEZNS1_24adjacent_difference_implIS3_Lb1ELb0EPS5_SC_N6thrust23THRUST_200600_302600_NS4plusIS5_EEEE10hipError_tPvRmT2_T3_mT4_P12ihipStream_tbEUlmE_S5_EESC_NS0_8identityIvEEEESH_SK_SL_mSM_SO_bEUlT_E_NS1_11comp_targetILNS1_3genE10ELNS1_11target_archE1200ELNS1_3gpuE4ELNS1_3repE0EEENS1_30default_config_static_selectorELNS0_4arch9wavefront6targetE1EEEvT1_, .Lfunc_end249-_ZN7rocprim17ROCPRIM_400000_NS6detail17trampoline_kernelINS0_14default_configENS1_25transform_config_selectorI14custom_numericLb0EEEZNS1_14transform_implILb0ES3_S6_NS0_18transform_iteratorINS0_17counting_iteratorImlEEZNS1_24adjacent_difference_implIS3_Lb1ELb0EPS5_SC_N6thrust23THRUST_200600_302600_NS4plusIS5_EEEE10hipError_tPvRmT2_T3_mT4_P12ihipStream_tbEUlmE_S5_EESC_NS0_8identityIvEEEESH_SK_SL_mSM_SO_bEUlT_E_NS1_11comp_targetILNS1_3genE10ELNS1_11target_archE1200ELNS1_3gpuE4ELNS1_3repE0EEENS1_30default_config_static_selectorELNS0_4arch9wavefront6targetE1EEEvT1_
                                        ; -- End function
	.section	.AMDGPU.csdata,"",@progbits
; Kernel info:
; codeLenInByte = 0
; NumSgprs: 4
; NumVgprs: 0
; NumAgprs: 0
; TotalNumVgprs: 0
; ScratchSize: 0
; MemoryBound: 0
; FloatMode: 240
; IeeeMode: 1
; LDSByteSize: 0 bytes/workgroup (compile time only)
; SGPRBlocks: 0
; VGPRBlocks: 0
; NumSGPRsForWavesPerEU: 4
; NumVGPRsForWavesPerEU: 1
; AccumOffset: 4
; Occupancy: 8
; WaveLimiterHint : 0
; COMPUTE_PGM_RSRC2:SCRATCH_EN: 0
; COMPUTE_PGM_RSRC2:USER_SGPR: 6
; COMPUTE_PGM_RSRC2:TRAP_HANDLER: 0
; COMPUTE_PGM_RSRC2:TGID_X_EN: 1
; COMPUTE_PGM_RSRC2:TGID_Y_EN: 0
; COMPUTE_PGM_RSRC2:TGID_Z_EN: 0
; COMPUTE_PGM_RSRC2:TIDIG_COMP_CNT: 0
; COMPUTE_PGM_RSRC3_GFX90A:ACCUM_OFFSET: 0
; COMPUTE_PGM_RSRC3_GFX90A:TG_SPLIT: 0
	.section	.text._ZN7rocprim17ROCPRIM_400000_NS6detail17trampoline_kernelINS0_14default_configENS1_25transform_config_selectorI14custom_numericLb0EEEZNS1_14transform_implILb0ES3_S6_NS0_18transform_iteratorINS0_17counting_iteratorImlEEZNS1_24adjacent_difference_implIS3_Lb1ELb0EPS5_SC_N6thrust23THRUST_200600_302600_NS4plusIS5_EEEE10hipError_tPvRmT2_T3_mT4_P12ihipStream_tbEUlmE_S5_EESC_NS0_8identityIvEEEESH_SK_SL_mSM_SO_bEUlT_E_NS1_11comp_targetILNS1_3genE9ELNS1_11target_archE1100ELNS1_3gpuE3ELNS1_3repE0EEENS1_30default_config_static_selectorELNS0_4arch9wavefront6targetE1EEEvT1_,"axG",@progbits,_ZN7rocprim17ROCPRIM_400000_NS6detail17trampoline_kernelINS0_14default_configENS1_25transform_config_selectorI14custom_numericLb0EEEZNS1_14transform_implILb0ES3_S6_NS0_18transform_iteratorINS0_17counting_iteratorImlEEZNS1_24adjacent_difference_implIS3_Lb1ELb0EPS5_SC_N6thrust23THRUST_200600_302600_NS4plusIS5_EEEE10hipError_tPvRmT2_T3_mT4_P12ihipStream_tbEUlmE_S5_EESC_NS0_8identityIvEEEESH_SK_SL_mSM_SO_bEUlT_E_NS1_11comp_targetILNS1_3genE9ELNS1_11target_archE1100ELNS1_3gpuE3ELNS1_3repE0EEENS1_30default_config_static_selectorELNS0_4arch9wavefront6targetE1EEEvT1_,comdat
	.protected	_ZN7rocprim17ROCPRIM_400000_NS6detail17trampoline_kernelINS0_14default_configENS1_25transform_config_selectorI14custom_numericLb0EEEZNS1_14transform_implILb0ES3_S6_NS0_18transform_iteratorINS0_17counting_iteratorImlEEZNS1_24adjacent_difference_implIS3_Lb1ELb0EPS5_SC_N6thrust23THRUST_200600_302600_NS4plusIS5_EEEE10hipError_tPvRmT2_T3_mT4_P12ihipStream_tbEUlmE_S5_EESC_NS0_8identityIvEEEESH_SK_SL_mSM_SO_bEUlT_E_NS1_11comp_targetILNS1_3genE9ELNS1_11target_archE1100ELNS1_3gpuE3ELNS1_3repE0EEENS1_30default_config_static_selectorELNS0_4arch9wavefront6targetE1EEEvT1_ ; -- Begin function _ZN7rocprim17ROCPRIM_400000_NS6detail17trampoline_kernelINS0_14default_configENS1_25transform_config_selectorI14custom_numericLb0EEEZNS1_14transform_implILb0ES3_S6_NS0_18transform_iteratorINS0_17counting_iteratorImlEEZNS1_24adjacent_difference_implIS3_Lb1ELb0EPS5_SC_N6thrust23THRUST_200600_302600_NS4plusIS5_EEEE10hipError_tPvRmT2_T3_mT4_P12ihipStream_tbEUlmE_S5_EESC_NS0_8identityIvEEEESH_SK_SL_mSM_SO_bEUlT_E_NS1_11comp_targetILNS1_3genE9ELNS1_11target_archE1100ELNS1_3gpuE3ELNS1_3repE0EEENS1_30default_config_static_selectorELNS0_4arch9wavefront6targetE1EEEvT1_
	.globl	_ZN7rocprim17ROCPRIM_400000_NS6detail17trampoline_kernelINS0_14default_configENS1_25transform_config_selectorI14custom_numericLb0EEEZNS1_14transform_implILb0ES3_S6_NS0_18transform_iteratorINS0_17counting_iteratorImlEEZNS1_24adjacent_difference_implIS3_Lb1ELb0EPS5_SC_N6thrust23THRUST_200600_302600_NS4plusIS5_EEEE10hipError_tPvRmT2_T3_mT4_P12ihipStream_tbEUlmE_S5_EESC_NS0_8identityIvEEEESH_SK_SL_mSM_SO_bEUlT_E_NS1_11comp_targetILNS1_3genE9ELNS1_11target_archE1100ELNS1_3gpuE3ELNS1_3repE0EEENS1_30default_config_static_selectorELNS0_4arch9wavefront6targetE1EEEvT1_
	.p2align	8
	.type	_ZN7rocprim17ROCPRIM_400000_NS6detail17trampoline_kernelINS0_14default_configENS1_25transform_config_selectorI14custom_numericLb0EEEZNS1_14transform_implILb0ES3_S6_NS0_18transform_iteratorINS0_17counting_iteratorImlEEZNS1_24adjacent_difference_implIS3_Lb1ELb0EPS5_SC_N6thrust23THRUST_200600_302600_NS4plusIS5_EEEE10hipError_tPvRmT2_T3_mT4_P12ihipStream_tbEUlmE_S5_EESC_NS0_8identityIvEEEESH_SK_SL_mSM_SO_bEUlT_E_NS1_11comp_targetILNS1_3genE9ELNS1_11target_archE1100ELNS1_3gpuE3ELNS1_3repE0EEENS1_30default_config_static_selectorELNS0_4arch9wavefront6targetE1EEEvT1_,@function
_ZN7rocprim17ROCPRIM_400000_NS6detail17trampoline_kernelINS0_14default_configENS1_25transform_config_selectorI14custom_numericLb0EEEZNS1_14transform_implILb0ES3_S6_NS0_18transform_iteratorINS0_17counting_iteratorImlEEZNS1_24adjacent_difference_implIS3_Lb1ELb0EPS5_SC_N6thrust23THRUST_200600_302600_NS4plusIS5_EEEE10hipError_tPvRmT2_T3_mT4_P12ihipStream_tbEUlmE_S5_EESC_NS0_8identityIvEEEESH_SK_SL_mSM_SO_bEUlT_E_NS1_11comp_targetILNS1_3genE9ELNS1_11target_archE1100ELNS1_3gpuE3ELNS1_3repE0EEENS1_30default_config_static_selectorELNS0_4arch9wavefront6targetE1EEEvT1_: ; @_ZN7rocprim17ROCPRIM_400000_NS6detail17trampoline_kernelINS0_14default_configENS1_25transform_config_selectorI14custom_numericLb0EEEZNS1_14transform_implILb0ES3_S6_NS0_18transform_iteratorINS0_17counting_iteratorImlEEZNS1_24adjacent_difference_implIS3_Lb1ELb0EPS5_SC_N6thrust23THRUST_200600_302600_NS4plusIS5_EEEE10hipError_tPvRmT2_T3_mT4_P12ihipStream_tbEUlmE_S5_EESC_NS0_8identityIvEEEESH_SK_SL_mSM_SO_bEUlT_E_NS1_11comp_targetILNS1_3genE9ELNS1_11target_archE1100ELNS1_3gpuE3ELNS1_3repE0EEENS1_30default_config_static_selectorELNS0_4arch9wavefront6targetE1EEEvT1_
; %bb.0:
	.section	.rodata,"a",@progbits
	.p2align	6, 0x0
	.amdhsa_kernel _ZN7rocprim17ROCPRIM_400000_NS6detail17trampoline_kernelINS0_14default_configENS1_25transform_config_selectorI14custom_numericLb0EEEZNS1_14transform_implILb0ES3_S6_NS0_18transform_iteratorINS0_17counting_iteratorImlEEZNS1_24adjacent_difference_implIS3_Lb1ELb0EPS5_SC_N6thrust23THRUST_200600_302600_NS4plusIS5_EEEE10hipError_tPvRmT2_T3_mT4_P12ihipStream_tbEUlmE_S5_EESC_NS0_8identityIvEEEESH_SK_SL_mSM_SO_bEUlT_E_NS1_11comp_targetILNS1_3genE9ELNS1_11target_archE1100ELNS1_3gpuE3ELNS1_3repE0EEENS1_30default_config_static_selectorELNS0_4arch9wavefront6targetE1EEEvT1_
		.amdhsa_group_segment_fixed_size 0
		.amdhsa_private_segment_fixed_size 0
		.amdhsa_kernarg_size 56
		.amdhsa_user_sgpr_count 6
		.amdhsa_user_sgpr_private_segment_buffer 1
		.amdhsa_user_sgpr_dispatch_ptr 0
		.amdhsa_user_sgpr_queue_ptr 0
		.amdhsa_user_sgpr_kernarg_segment_ptr 1
		.amdhsa_user_sgpr_dispatch_id 0
		.amdhsa_user_sgpr_flat_scratch_init 0
		.amdhsa_user_sgpr_kernarg_preload_length 0
		.amdhsa_user_sgpr_kernarg_preload_offset 0
		.amdhsa_user_sgpr_private_segment_size 0
		.amdhsa_uses_dynamic_stack 0
		.amdhsa_system_sgpr_private_segment_wavefront_offset 0
		.amdhsa_system_sgpr_workgroup_id_x 1
		.amdhsa_system_sgpr_workgroup_id_y 0
		.amdhsa_system_sgpr_workgroup_id_z 0
		.amdhsa_system_sgpr_workgroup_info 0
		.amdhsa_system_vgpr_workitem_id 0
		.amdhsa_next_free_vgpr 1
		.amdhsa_next_free_sgpr 0
		.amdhsa_accum_offset 4
		.amdhsa_reserve_vcc 0
		.amdhsa_reserve_flat_scratch 0
		.amdhsa_float_round_mode_32 0
		.amdhsa_float_round_mode_16_64 0
		.amdhsa_float_denorm_mode_32 3
		.amdhsa_float_denorm_mode_16_64 3
		.amdhsa_dx10_clamp 1
		.amdhsa_ieee_mode 1
		.amdhsa_fp16_overflow 0
		.amdhsa_tg_split 0
		.amdhsa_exception_fp_ieee_invalid_op 0
		.amdhsa_exception_fp_denorm_src 0
		.amdhsa_exception_fp_ieee_div_zero 0
		.amdhsa_exception_fp_ieee_overflow 0
		.amdhsa_exception_fp_ieee_underflow 0
		.amdhsa_exception_fp_ieee_inexact 0
		.amdhsa_exception_int_div_zero 0
	.end_amdhsa_kernel
	.section	.text._ZN7rocprim17ROCPRIM_400000_NS6detail17trampoline_kernelINS0_14default_configENS1_25transform_config_selectorI14custom_numericLb0EEEZNS1_14transform_implILb0ES3_S6_NS0_18transform_iteratorINS0_17counting_iteratorImlEEZNS1_24adjacent_difference_implIS3_Lb1ELb0EPS5_SC_N6thrust23THRUST_200600_302600_NS4plusIS5_EEEE10hipError_tPvRmT2_T3_mT4_P12ihipStream_tbEUlmE_S5_EESC_NS0_8identityIvEEEESH_SK_SL_mSM_SO_bEUlT_E_NS1_11comp_targetILNS1_3genE9ELNS1_11target_archE1100ELNS1_3gpuE3ELNS1_3repE0EEENS1_30default_config_static_selectorELNS0_4arch9wavefront6targetE1EEEvT1_,"axG",@progbits,_ZN7rocprim17ROCPRIM_400000_NS6detail17trampoline_kernelINS0_14default_configENS1_25transform_config_selectorI14custom_numericLb0EEEZNS1_14transform_implILb0ES3_S6_NS0_18transform_iteratorINS0_17counting_iteratorImlEEZNS1_24adjacent_difference_implIS3_Lb1ELb0EPS5_SC_N6thrust23THRUST_200600_302600_NS4plusIS5_EEEE10hipError_tPvRmT2_T3_mT4_P12ihipStream_tbEUlmE_S5_EESC_NS0_8identityIvEEEESH_SK_SL_mSM_SO_bEUlT_E_NS1_11comp_targetILNS1_3genE9ELNS1_11target_archE1100ELNS1_3gpuE3ELNS1_3repE0EEENS1_30default_config_static_selectorELNS0_4arch9wavefront6targetE1EEEvT1_,comdat
.Lfunc_end250:
	.size	_ZN7rocprim17ROCPRIM_400000_NS6detail17trampoline_kernelINS0_14default_configENS1_25transform_config_selectorI14custom_numericLb0EEEZNS1_14transform_implILb0ES3_S6_NS0_18transform_iteratorINS0_17counting_iteratorImlEEZNS1_24adjacent_difference_implIS3_Lb1ELb0EPS5_SC_N6thrust23THRUST_200600_302600_NS4plusIS5_EEEE10hipError_tPvRmT2_T3_mT4_P12ihipStream_tbEUlmE_S5_EESC_NS0_8identityIvEEEESH_SK_SL_mSM_SO_bEUlT_E_NS1_11comp_targetILNS1_3genE9ELNS1_11target_archE1100ELNS1_3gpuE3ELNS1_3repE0EEENS1_30default_config_static_selectorELNS0_4arch9wavefront6targetE1EEEvT1_, .Lfunc_end250-_ZN7rocprim17ROCPRIM_400000_NS6detail17trampoline_kernelINS0_14default_configENS1_25transform_config_selectorI14custom_numericLb0EEEZNS1_14transform_implILb0ES3_S6_NS0_18transform_iteratorINS0_17counting_iteratorImlEEZNS1_24adjacent_difference_implIS3_Lb1ELb0EPS5_SC_N6thrust23THRUST_200600_302600_NS4plusIS5_EEEE10hipError_tPvRmT2_T3_mT4_P12ihipStream_tbEUlmE_S5_EESC_NS0_8identityIvEEEESH_SK_SL_mSM_SO_bEUlT_E_NS1_11comp_targetILNS1_3genE9ELNS1_11target_archE1100ELNS1_3gpuE3ELNS1_3repE0EEENS1_30default_config_static_selectorELNS0_4arch9wavefront6targetE1EEEvT1_
                                        ; -- End function
	.section	.AMDGPU.csdata,"",@progbits
; Kernel info:
; codeLenInByte = 0
; NumSgprs: 4
; NumVgprs: 0
; NumAgprs: 0
; TotalNumVgprs: 0
; ScratchSize: 0
; MemoryBound: 0
; FloatMode: 240
; IeeeMode: 1
; LDSByteSize: 0 bytes/workgroup (compile time only)
; SGPRBlocks: 0
; VGPRBlocks: 0
; NumSGPRsForWavesPerEU: 4
; NumVGPRsForWavesPerEU: 1
; AccumOffset: 4
; Occupancy: 8
; WaveLimiterHint : 0
; COMPUTE_PGM_RSRC2:SCRATCH_EN: 0
; COMPUTE_PGM_RSRC2:USER_SGPR: 6
; COMPUTE_PGM_RSRC2:TRAP_HANDLER: 0
; COMPUTE_PGM_RSRC2:TGID_X_EN: 1
; COMPUTE_PGM_RSRC2:TGID_Y_EN: 0
; COMPUTE_PGM_RSRC2:TGID_Z_EN: 0
; COMPUTE_PGM_RSRC2:TIDIG_COMP_CNT: 0
; COMPUTE_PGM_RSRC3_GFX90A:ACCUM_OFFSET: 0
; COMPUTE_PGM_RSRC3_GFX90A:TG_SPLIT: 0
	.section	.text._ZN7rocprim17ROCPRIM_400000_NS6detail17trampoline_kernelINS0_14default_configENS1_25transform_config_selectorI14custom_numericLb0EEEZNS1_14transform_implILb0ES3_S6_NS0_18transform_iteratorINS0_17counting_iteratorImlEEZNS1_24adjacent_difference_implIS3_Lb1ELb0EPS5_SC_N6thrust23THRUST_200600_302600_NS4plusIS5_EEEE10hipError_tPvRmT2_T3_mT4_P12ihipStream_tbEUlmE_S5_EESC_NS0_8identityIvEEEESH_SK_SL_mSM_SO_bEUlT_E_NS1_11comp_targetILNS1_3genE8ELNS1_11target_archE1030ELNS1_3gpuE2ELNS1_3repE0EEENS1_30default_config_static_selectorELNS0_4arch9wavefront6targetE1EEEvT1_,"axG",@progbits,_ZN7rocprim17ROCPRIM_400000_NS6detail17trampoline_kernelINS0_14default_configENS1_25transform_config_selectorI14custom_numericLb0EEEZNS1_14transform_implILb0ES3_S6_NS0_18transform_iteratorINS0_17counting_iteratorImlEEZNS1_24adjacent_difference_implIS3_Lb1ELb0EPS5_SC_N6thrust23THRUST_200600_302600_NS4plusIS5_EEEE10hipError_tPvRmT2_T3_mT4_P12ihipStream_tbEUlmE_S5_EESC_NS0_8identityIvEEEESH_SK_SL_mSM_SO_bEUlT_E_NS1_11comp_targetILNS1_3genE8ELNS1_11target_archE1030ELNS1_3gpuE2ELNS1_3repE0EEENS1_30default_config_static_selectorELNS0_4arch9wavefront6targetE1EEEvT1_,comdat
	.protected	_ZN7rocprim17ROCPRIM_400000_NS6detail17trampoline_kernelINS0_14default_configENS1_25transform_config_selectorI14custom_numericLb0EEEZNS1_14transform_implILb0ES3_S6_NS0_18transform_iteratorINS0_17counting_iteratorImlEEZNS1_24adjacent_difference_implIS3_Lb1ELb0EPS5_SC_N6thrust23THRUST_200600_302600_NS4plusIS5_EEEE10hipError_tPvRmT2_T3_mT4_P12ihipStream_tbEUlmE_S5_EESC_NS0_8identityIvEEEESH_SK_SL_mSM_SO_bEUlT_E_NS1_11comp_targetILNS1_3genE8ELNS1_11target_archE1030ELNS1_3gpuE2ELNS1_3repE0EEENS1_30default_config_static_selectorELNS0_4arch9wavefront6targetE1EEEvT1_ ; -- Begin function _ZN7rocprim17ROCPRIM_400000_NS6detail17trampoline_kernelINS0_14default_configENS1_25transform_config_selectorI14custom_numericLb0EEEZNS1_14transform_implILb0ES3_S6_NS0_18transform_iteratorINS0_17counting_iteratorImlEEZNS1_24adjacent_difference_implIS3_Lb1ELb0EPS5_SC_N6thrust23THRUST_200600_302600_NS4plusIS5_EEEE10hipError_tPvRmT2_T3_mT4_P12ihipStream_tbEUlmE_S5_EESC_NS0_8identityIvEEEESH_SK_SL_mSM_SO_bEUlT_E_NS1_11comp_targetILNS1_3genE8ELNS1_11target_archE1030ELNS1_3gpuE2ELNS1_3repE0EEENS1_30default_config_static_selectorELNS0_4arch9wavefront6targetE1EEEvT1_
	.globl	_ZN7rocprim17ROCPRIM_400000_NS6detail17trampoline_kernelINS0_14default_configENS1_25transform_config_selectorI14custom_numericLb0EEEZNS1_14transform_implILb0ES3_S6_NS0_18transform_iteratorINS0_17counting_iteratorImlEEZNS1_24adjacent_difference_implIS3_Lb1ELb0EPS5_SC_N6thrust23THRUST_200600_302600_NS4plusIS5_EEEE10hipError_tPvRmT2_T3_mT4_P12ihipStream_tbEUlmE_S5_EESC_NS0_8identityIvEEEESH_SK_SL_mSM_SO_bEUlT_E_NS1_11comp_targetILNS1_3genE8ELNS1_11target_archE1030ELNS1_3gpuE2ELNS1_3repE0EEENS1_30default_config_static_selectorELNS0_4arch9wavefront6targetE1EEEvT1_
	.p2align	8
	.type	_ZN7rocprim17ROCPRIM_400000_NS6detail17trampoline_kernelINS0_14default_configENS1_25transform_config_selectorI14custom_numericLb0EEEZNS1_14transform_implILb0ES3_S6_NS0_18transform_iteratorINS0_17counting_iteratorImlEEZNS1_24adjacent_difference_implIS3_Lb1ELb0EPS5_SC_N6thrust23THRUST_200600_302600_NS4plusIS5_EEEE10hipError_tPvRmT2_T3_mT4_P12ihipStream_tbEUlmE_S5_EESC_NS0_8identityIvEEEESH_SK_SL_mSM_SO_bEUlT_E_NS1_11comp_targetILNS1_3genE8ELNS1_11target_archE1030ELNS1_3gpuE2ELNS1_3repE0EEENS1_30default_config_static_selectorELNS0_4arch9wavefront6targetE1EEEvT1_,@function
_ZN7rocprim17ROCPRIM_400000_NS6detail17trampoline_kernelINS0_14default_configENS1_25transform_config_selectorI14custom_numericLb0EEEZNS1_14transform_implILb0ES3_S6_NS0_18transform_iteratorINS0_17counting_iteratorImlEEZNS1_24adjacent_difference_implIS3_Lb1ELb0EPS5_SC_N6thrust23THRUST_200600_302600_NS4plusIS5_EEEE10hipError_tPvRmT2_T3_mT4_P12ihipStream_tbEUlmE_S5_EESC_NS0_8identityIvEEEESH_SK_SL_mSM_SO_bEUlT_E_NS1_11comp_targetILNS1_3genE8ELNS1_11target_archE1030ELNS1_3gpuE2ELNS1_3repE0EEENS1_30default_config_static_selectorELNS0_4arch9wavefront6targetE1EEEvT1_: ; @_ZN7rocprim17ROCPRIM_400000_NS6detail17trampoline_kernelINS0_14default_configENS1_25transform_config_selectorI14custom_numericLb0EEEZNS1_14transform_implILb0ES3_S6_NS0_18transform_iteratorINS0_17counting_iteratorImlEEZNS1_24adjacent_difference_implIS3_Lb1ELb0EPS5_SC_N6thrust23THRUST_200600_302600_NS4plusIS5_EEEE10hipError_tPvRmT2_T3_mT4_P12ihipStream_tbEUlmE_S5_EESC_NS0_8identityIvEEEESH_SK_SL_mSM_SO_bEUlT_E_NS1_11comp_targetILNS1_3genE8ELNS1_11target_archE1030ELNS1_3gpuE2ELNS1_3repE0EEENS1_30default_config_static_selectorELNS0_4arch9wavefront6targetE1EEEvT1_
; %bb.0:
	.section	.rodata,"a",@progbits
	.p2align	6, 0x0
	.amdhsa_kernel _ZN7rocprim17ROCPRIM_400000_NS6detail17trampoline_kernelINS0_14default_configENS1_25transform_config_selectorI14custom_numericLb0EEEZNS1_14transform_implILb0ES3_S6_NS0_18transform_iteratorINS0_17counting_iteratorImlEEZNS1_24adjacent_difference_implIS3_Lb1ELb0EPS5_SC_N6thrust23THRUST_200600_302600_NS4plusIS5_EEEE10hipError_tPvRmT2_T3_mT4_P12ihipStream_tbEUlmE_S5_EESC_NS0_8identityIvEEEESH_SK_SL_mSM_SO_bEUlT_E_NS1_11comp_targetILNS1_3genE8ELNS1_11target_archE1030ELNS1_3gpuE2ELNS1_3repE0EEENS1_30default_config_static_selectorELNS0_4arch9wavefront6targetE1EEEvT1_
		.amdhsa_group_segment_fixed_size 0
		.amdhsa_private_segment_fixed_size 0
		.amdhsa_kernarg_size 56
		.amdhsa_user_sgpr_count 6
		.amdhsa_user_sgpr_private_segment_buffer 1
		.amdhsa_user_sgpr_dispatch_ptr 0
		.amdhsa_user_sgpr_queue_ptr 0
		.amdhsa_user_sgpr_kernarg_segment_ptr 1
		.amdhsa_user_sgpr_dispatch_id 0
		.amdhsa_user_sgpr_flat_scratch_init 0
		.amdhsa_user_sgpr_kernarg_preload_length 0
		.amdhsa_user_sgpr_kernarg_preload_offset 0
		.amdhsa_user_sgpr_private_segment_size 0
		.amdhsa_uses_dynamic_stack 0
		.amdhsa_system_sgpr_private_segment_wavefront_offset 0
		.amdhsa_system_sgpr_workgroup_id_x 1
		.amdhsa_system_sgpr_workgroup_id_y 0
		.amdhsa_system_sgpr_workgroup_id_z 0
		.amdhsa_system_sgpr_workgroup_info 0
		.amdhsa_system_vgpr_workitem_id 0
		.amdhsa_next_free_vgpr 1
		.amdhsa_next_free_sgpr 0
		.amdhsa_accum_offset 4
		.amdhsa_reserve_vcc 0
		.amdhsa_reserve_flat_scratch 0
		.amdhsa_float_round_mode_32 0
		.amdhsa_float_round_mode_16_64 0
		.amdhsa_float_denorm_mode_32 3
		.amdhsa_float_denorm_mode_16_64 3
		.amdhsa_dx10_clamp 1
		.amdhsa_ieee_mode 1
		.amdhsa_fp16_overflow 0
		.amdhsa_tg_split 0
		.amdhsa_exception_fp_ieee_invalid_op 0
		.amdhsa_exception_fp_denorm_src 0
		.amdhsa_exception_fp_ieee_div_zero 0
		.amdhsa_exception_fp_ieee_overflow 0
		.amdhsa_exception_fp_ieee_underflow 0
		.amdhsa_exception_fp_ieee_inexact 0
		.amdhsa_exception_int_div_zero 0
	.end_amdhsa_kernel
	.section	.text._ZN7rocprim17ROCPRIM_400000_NS6detail17trampoline_kernelINS0_14default_configENS1_25transform_config_selectorI14custom_numericLb0EEEZNS1_14transform_implILb0ES3_S6_NS0_18transform_iteratorINS0_17counting_iteratorImlEEZNS1_24adjacent_difference_implIS3_Lb1ELb0EPS5_SC_N6thrust23THRUST_200600_302600_NS4plusIS5_EEEE10hipError_tPvRmT2_T3_mT4_P12ihipStream_tbEUlmE_S5_EESC_NS0_8identityIvEEEESH_SK_SL_mSM_SO_bEUlT_E_NS1_11comp_targetILNS1_3genE8ELNS1_11target_archE1030ELNS1_3gpuE2ELNS1_3repE0EEENS1_30default_config_static_selectorELNS0_4arch9wavefront6targetE1EEEvT1_,"axG",@progbits,_ZN7rocprim17ROCPRIM_400000_NS6detail17trampoline_kernelINS0_14default_configENS1_25transform_config_selectorI14custom_numericLb0EEEZNS1_14transform_implILb0ES3_S6_NS0_18transform_iteratorINS0_17counting_iteratorImlEEZNS1_24adjacent_difference_implIS3_Lb1ELb0EPS5_SC_N6thrust23THRUST_200600_302600_NS4plusIS5_EEEE10hipError_tPvRmT2_T3_mT4_P12ihipStream_tbEUlmE_S5_EESC_NS0_8identityIvEEEESH_SK_SL_mSM_SO_bEUlT_E_NS1_11comp_targetILNS1_3genE8ELNS1_11target_archE1030ELNS1_3gpuE2ELNS1_3repE0EEENS1_30default_config_static_selectorELNS0_4arch9wavefront6targetE1EEEvT1_,comdat
.Lfunc_end251:
	.size	_ZN7rocprim17ROCPRIM_400000_NS6detail17trampoline_kernelINS0_14default_configENS1_25transform_config_selectorI14custom_numericLb0EEEZNS1_14transform_implILb0ES3_S6_NS0_18transform_iteratorINS0_17counting_iteratorImlEEZNS1_24adjacent_difference_implIS3_Lb1ELb0EPS5_SC_N6thrust23THRUST_200600_302600_NS4plusIS5_EEEE10hipError_tPvRmT2_T3_mT4_P12ihipStream_tbEUlmE_S5_EESC_NS0_8identityIvEEEESH_SK_SL_mSM_SO_bEUlT_E_NS1_11comp_targetILNS1_3genE8ELNS1_11target_archE1030ELNS1_3gpuE2ELNS1_3repE0EEENS1_30default_config_static_selectorELNS0_4arch9wavefront6targetE1EEEvT1_, .Lfunc_end251-_ZN7rocprim17ROCPRIM_400000_NS6detail17trampoline_kernelINS0_14default_configENS1_25transform_config_selectorI14custom_numericLb0EEEZNS1_14transform_implILb0ES3_S6_NS0_18transform_iteratorINS0_17counting_iteratorImlEEZNS1_24adjacent_difference_implIS3_Lb1ELb0EPS5_SC_N6thrust23THRUST_200600_302600_NS4plusIS5_EEEE10hipError_tPvRmT2_T3_mT4_P12ihipStream_tbEUlmE_S5_EESC_NS0_8identityIvEEEESH_SK_SL_mSM_SO_bEUlT_E_NS1_11comp_targetILNS1_3genE8ELNS1_11target_archE1030ELNS1_3gpuE2ELNS1_3repE0EEENS1_30default_config_static_selectorELNS0_4arch9wavefront6targetE1EEEvT1_
                                        ; -- End function
	.section	.AMDGPU.csdata,"",@progbits
; Kernel info:
; codeLenInByte = 0
; NumSgprs: 4
; NumVgprs: 0
; NumAgprs: 0
; TotalNumVgprs: 0
; ScratchSize: 0
; MemoryBound: 0
; FloatMode: 240
; IeeeMode: 1
; LDSByteSize: 0 bytes/workgroup (compile time only)
; SGPRBlocks: 0
; VGPRBlocks: 0
; NumSGPRsForWavesPerEU: 4
; NumVGPRsForWavesPerEU: 1
; AccumOffset: 4
; Occupancy: 8
; WaveLimiterHint : 0
; COMPUTE_PGM_RSRC2:SCRATCH_EN: 0
; COMPUTE_PGM_RSRC2:USER_SGPR: 6
; COMPUTE_PGM_RSRC2:TRAP_HANDLER: 0
; COMPUTE_PGM_RSRC2:TGID_X_EN: 1
; COMPUTE_PGM_RSRC2:TGID_Y_EN: 0
; COMPUTE_PGM_RSRC2:TGID_Z_EN: 0
; COMPUTE_PGM_RSRC2:TIDIG_COMP_CNT: 0
; COMPUTE_PGM_RSRC3_GFX90A:ACCUM_OFFSET: 0
; COMPUTE_PGM_RSRC3_GFX90A:TG_SPLIT: 0
	.section	.text._ZN7rocprim17ROCPRIM_400000_NS6detail17trampoline_kernelINS0_14default_configENS1_35adjacent_difference_config_selectorILb1E14custom_numericEEZNS1_24adjacent_difference_implIS3_Lb1ELb0EPS5_S8_N6thrust23THRUST_200600_302600_NS4plusIS5_EEEE10hipError_tPvRmT2_T3_mT4_P12ihipStream_tbEUlT_E_NS1_11comp_targetILNS1_3genE0ELNS1_11target_archE4294967295ELNS1_3gpuE0ELNS1_3repE0EEENS1_30default_config_static_selectorELNS0_4arch9wavefront6targetE1EEEvT1_,"axG",@progbits,_ZN7rocprim17ROCPRIM_400000_NS6detail17trampoline_kernelINS0_14default_configENS1_35adjacent_difference_config_selectorILb1E14custom_numericEEZNS1_24adjacent_difference_implIS3_Lb1ELb0EPS5_S8_N6thrust23THRUST_200600_302600_NS4plusIS5_EEEE10hipError_tPvRmT2_T3_mT4_P12ihipStream_tbEUlT_E_NS1_11comp_targetILNS1_3genE0ELNS1_11target_archE4294967295ELNS1_3gpuE0ELNS1_3repE0EEENS1_30default_config_static_selectorELNS0_4arch9wavefront6targetE1EEEvT1_,comdat
	.protected	_ZN7rocprim17ROCPRIM_400000_NS6detail17trampoline_kernelINS0_14default_configENS1_35adjacent_difference_config_selectorILb1E14custom_numericEEZNS1_24adjacent_difference_implIS3_Lb1ELb0EPS5_S8_N6thrust23THRUST_200600_302600_NS4plusIS5_EEEE10hipError_tPvRmT2_T3_mT4_P12ihipStream_tbEUlT_E_NS1_11comp_targetILNS1_3genE0ELNS1_11target_archE4294967295ELNS1_3gpuE0ELNS1_3repE0EEENS1_30default_config_static_selectorELNS0_4arch9wavefront6targetE1EEEvT1_ ; -- Begin function _ZN7rocprim17ROCPRIM_400000_NS6detail17trampoline_kernelINS0_14default_configENS1_35adjacent_difference_config_selectorILb1E14custom_numericEEZNS1_24adjacent_difference_implIS3_Lb1ELb0EPS5_S8_N6thrust23THRUST_200600_302600_NS4plusIS5_EEEE10hipError_tPvRmT2_T3_mT4_P12ihipStream_tbEUlT_E_NS1_11comp_targetILNS1_3genE0ELNS1_11target_archE4294967295ELNS1_3gpuE0ELNS1_3repE0EEENS1_30default_config_static_selectorELNS0_4arch9wavefront6targetE1EEEvT1_
	.globl	_ZN7rocprim17ROCPRIM_400000_NS6detail17trampoline_kernelINS0_14default_configENS1_35adjacent_difference_config_selectorILb1E14custom_numericEEZNS1_24adjacent_difference_implIS3_Lb1ELb0EPS5_S8_N6thrust23THRUST_200600_302600_NS4plusIS5_EEEE10hipError_tPvRmT2_T3_mT4_P12ihipStream_tbEUlT_E_NS1_11comp_targetILNS1_3genE0ELNS1_11target_archE4294967295ELNS1_3gpuE0ELNS1_3repE0EEENS1_30default_config_static_selectorELNS0_4arch9wavefront6targetE1EEEvT1_
	.p2align	8
	.type	_ZN7rocprim17ROCPRIM_400000_NS6detail17trampoline_kernelINS0_14default_configENS1_35adjacent_difference_config_selectorILb1E14custom_numericEEZNS1_24adjacent_difference_implIS3_Lb1ELb0EPS5_S8_N6thrust23THRUST_200600_302600_NS4plusIS5_EEEE10hipError_tPvRmT2_T3_mT4_P12ihipStream_tbEUlT_E_NS1_11comp_targetILNS1_3genE0ELNS1_11target_archE4294967295ELNS1_3gpuE0ELNS1_3repE0EEENS1_30default_config_static_selectorELNS0_4arch9wavefront6targetE1EEEvT1_,@function
_ZN7rocprim17ROCPRIM_400000_NS6detail17trampoline_kernelINS0_14default_configENS1_35adjacent_difference_config_selectorILb1E14custom_numericEEZNS1_24adjacent_difference_implIS3_Lb1ELb0EPS5_S8_N6thrust23THRUST_200600_302600_NS4plusIS5_EEEE10hipError_tPvRmT2_T3_mT4_P12ihipStream_tbEUlT_E_NS1_11comp_targetILNS1_3genE0ELNS1_11target_archE4294967295ELNS1_3gpuE0ELNS1_3repE0EEENS1_30default_config_static_selectorELNS0_4arch9wavefront6targetE1EEEvT1_: ; @_ZN7rocprim17ROCPRIM_400000_NS6detail17trampoline_kernelINS0_14default_configENS1_35adjacent_difference_config_selectorILb1E14custom_numericEEZNS1_24adjacent_difference_implIS3_Lb1ELb0EPS5_S8_N6thrust23THRUST_200600_302600_NS4plusIS5_EEEE10hipError_tPvRmT2_T3_mT4_P12ihipStream_tbEUlT_E_NS1_11comp_targetILNS1_3genE0ELNS1_11target_archE4294967295ELNS1_3gpuE0ELNS1_3repE0EEENS1_30default_config_static_selectorELNS0_4arch9wavefront6targetE1EEEvT1_
; %bb.0:
	.section	.rodata,"a",@progbits
	.p2align	6, 0x0
	.amdhsa_kernel _ZN7rocprim17ROCPRIM_400000_NS6detail17trampoline_kernelINS0_14default_configENS1_35adjacent_difference_config_selectorILb1E14custom_numericEEZNS1_24adjacent_difference_implIS3_Lb1ELb0EPS5_S8_N6thrust23THRUST_200600_302600_NS4plusIS5_EEEE10hipError_tPvRmT2_T3_mT4_P12ihipStream_tbEUlT_E_NS1_11comp_targetILNS1_3genE0ELNS1_11target_archE4294967295ELNS1_3gpuE0ELNS1_3repE0EEENS1_30default_config_static_selectorELNS0_4arch9wavefront6targetE1EEEvT1_
		.amdhsa_group_segment_fixed_size 0
		.amdhsa_private_segment_fixed_size 0
		.amdhsa_kernarg_size 56
		.amdhsa_user_sgpr_count 6
		.amdhsa_user_sgpr_private_segment_buffer 1
		.amdhsa_user_sgpr_dispatch_ptr 0
		.amdhsa_user_sgpr_queue_ptr 0
		.amdhsa_user_sgpr_kernarg_segment_ptr 1
		.amdhsa_user_sgpr_dispatch_id 0
		.amdhsa_user_sgpr_flat_scratch_init 0
		.amdhsa_user_sgpr_kernarg_preload_length 0
		.amdhsa_user_sgpr_kernarg_preload_offset 0
		.amdhsa_user_sgpr_private_segment_size 0
		.amdhsa_uses_dynamic_stack 0
		.amdhsa_system_sgpr_private_segment_wavefront_offset 0
		.amdhsa_system_sgpr_workgroup_id_x 1
		.amdhsa_system_sgpr_workgroup_id_y 0
		.amdhsa_system_sgpr_workgroup_id_z 0
		.amdhsa_system_sgpr_workgroup_info 0
		.amdhsa_system_vgpr_workitem_id 0
		.amdhsa_next_free_vgpr 1
		.amdhsa_next_free_sgpr 0
		.amdhsa_accum_offset 4
		.amdhsa_reserve_vcc 0
		.amdhsa_reserve_flat_scratch 0
		.amdhsa_float_round_mode_32 0
		.amdhsa_float_round_mode_16_64 0
		.amdhsa_float_denorm_mode_32 3
		.amdhsa_float_denorm_mode_16_64 3
		.amdhsa_dx10_clamp 1
		.amdhsa_ieee_mode 1
		.amdhsa_fp16_overflow 0
		.amdhsa_tg_split 0
		.amdhsa_exception_fp_ieee_invalid_op 0
		.amdhsa_exception_fp_denorm_src 0
		.amdhsa_exception_fp_ieee_div_zero 0
		.amdhsa_exception_fp_ieee_overflow 0
		.amdhsa_exception_fp_ieee_underflow 0
		.amdhsa_exception_fp_ieee_inexact 0
		.amdhsa_exception_int_div_zero 0
	.end_amdhsa_kernel
	.section	.text._ZN7rocprim17ROCPRIM_400000_NS6detail17trampoline_kernelINS0_14default_configENS1_35adjacent_difference_config_selectorILb1E14custom_numericEEZNS1_24adjacent_difference_implIS3_Lb1ELb0EPS5_S8_N6thrust23THRUST_200600_302600_NS4plusIS5_EEEE10hipError_tPvRmT2_T3_mT4_P12ihipStream_tbEUlT_E_NS1_11comp_targetILNS1_3genE0ELNS1_11target_archE4294967295ELNS1_3gpuE0ELNS1_3repE0EEENS1_30default_config_static_selectorELNS0_4arch9wavefront6targetE1EEEvT1_,"axG",@progbits,_ZN7rocprim17ROCPRIM_400000_NS6detail17trampoline_kernelINS0_14default_configENS1_35adjacent_difference_config_selectorILb1E14custom_numericEEZNS1_24adjacent_difference_implIS3_Lb1ELb0EPS5_S8_N6thrust23THRUST_200600_302600_NS4plusIS5_EEEE10hipError_tPvRmT2_T3_mT4_P12ihipStream_tbEUlT_E_NS1_11comp_targetILNS1_3genE0ELNS1_11target_archE4294967295ELNS1_3gpuE0ELNS1_3repE0EEENS1_30default_config_static_selectorELNS0_4arch9wavefront6targetE1EEEvT1_,comdat
.Lfunc_end252:
	.size	_ZN7rocprim17ROCPRIM_400000_NS6detail17trampoline_kernelINS0_14default_configENS1_35adjacent_difference_config_selectorILb1E14custom_numericEEZNS1_24adjacent_difference_implIS3_Lb1ELb0EPS5_S8_N6thrust23THRUST_200600_302600_NS4plusIS5_EEEE10hipError_tPvRmT2_T3_mT4_P12ihipStream_tbEUlT_E_NS1_11comp_targetILNS1_3genE0ELNS1_11target_archE4294967295ELNS1_3gpuE0ELNS1_3repE0EEENS1_30default_config_static_selectorELNS0_4arch9wavefront6targetE1EEEvT1_, .Lfunc_end252-_ZN7rocprim17ROCPRIM_400000_NS6detail17trampoline_kernelINS0_14default_configENS1_35adjacent_difference_config_selectorILb1E14custom_numericEEZNS1_24adjacent_difference_implIS3_Lb1ELb0EPS5_S8_N6thrust23THRUST_200600_302600_NS4plusIS5_EEEE10hipError_tPvRmT2_T3_mT4_P12ihipStream_tbEUlT_E_NS1_11comp_targetILNS1_3genE0ELNS1_11target_archE4294967295ELNS1_3gpuE0ELNS1_3repE0EEENS1_30default_config_static_selectorELNS0_4arch9wavefront6targetE1EEEvT1_
                                        ; -- End function
	.section	.AMDGPU.csdata,"",@progbits
; Kernel info:
; codeLenInByte = 0
; NumSgprs: 4
; NumVgprs: 0
; NumAgprs: 0
; TotalNumVgprs: 0
; ScratchSize: 0
; MemoryBound: 0
; FloatMode: 240
; IeeeMode: 1
; LDSByteSize: 0 bytes/workgroup (compile time only)
; SGPRBlocks: 0
; VGPRBlocks: 0
; NumSGPRsForWavesPerEU: 4
; NumVGPRsForWavesPerEU: 1
; AccumOffset: 4
; Occupancy: 8
; WaveLimiterHint : 0
; COMPUTE_PGM_RSRC2:SCRATCH_EN: 0
; COMPUTE_PGM_RSRC2:USER_SGPR: 6
; COMPUTE_PGM_RSRC2:TRAP_HANDLER: 0
; COMPUTE_PGM_RSRC2:TGID_X_EN: 1
; COMPUTE_PGM_RSRC2:TGID_Y_EN: 0
; COMPUTE_PGM_RSRC2:TGID_Z_EN: 0
; COMPUTE_PGM_RSRC2:TIDIG_COMP_CNT: 0
; COMPUTE_PGM_RSRC3_GFX90A:ACCUM_OFFSET: 0
; COMPUTE_PGM_RSRC3_GFX90A:TG_SPLIT: 0
	.section	.text._ZN7rocprim17ROCPRIM_400000_NS6detail17trampoline_kernelINS0_14default_configENS1_35adjacent_difference_config_selectorILb1E14custom_numericEEZNS1_24adjacent_difference_implIS3_Lb1ELb0EPS5_S8_N6thrust23THRUST_200600_302600_NS4plusIS5_EEEE10hipError_tPvRmT2_T3_mT4_P12ihipStream_tbEUlT_E_NS1_11comp_targetILNS1_3genE10ELNS1_11target_archE1201ELNS1_3gpuE5ELNS1_3repE0EEENS1_30default_config_static_selectorELNS0_4arch9wavefront6targetE1EEEvT1_,"axG",@progbits,_ZN7rocprim17ROCPRIM_400000_NS6detail17trampoline_kernelINS0_14default_configENS1_35adjacent_difference_config_selectorILb1E14custom_numericEEZNS1_24adjacent_difference_implIS3_Lb1ELb0EPS5_S8_N6thrust23THRUST_200600_302600_NS4plusIS5_EEEE10hipError_tPvRmT2_T3_mT4_P12ihipStream_tbEUlT_E_NS1_11comp_targetILNS1_3genE10ELNS1_11target_archE1201ELNS1_3gpuE5ELNS1_3repE0EEENS1_30default_config_static_selectorELNS0_4arch9wavefront6targetE1EEEvT1_,comdat
	.protected	_ZN7rocprim17ROCPRIM_400000_NS6detail17trampoline_kernelINS0_14default_configENS1_35adjacent_difference_config_selectorILb1E14custom_numericEEZNS1_24adjacent_difference_implIS3_Lb1ELb0EPS5_S8_N6thrust23THRUST_200600_302600_NS4plusIS5_EEEE10hipError_tPvRmT2_T3_mT4_P12ihipStream_tbEUlT_E_NS1_11comp_targetILNS1_3genE10ELNS1_11target_archE1201ELNS1_3gpuE5ELNS1_3repE0EEENS1_30default_config_static_selectorELNS0_4arch9wavefront6targetE1EEEvT1_ ; -- Begin function _ZN7rocprim17ROCPRIM_400000_NS6detail17trampoline_kernelINS0_14default_configENS1_35adjacent_difference_config_selectorILb1E14custom_numericEEZNS1_24adjacent_difference_implIS3_Lb1ELb0EPS5_S8_N6thrust23THRUST_200600_302600_NS4plusIS5_EEEE10hipError_tPvRmT2_T3_mT4_P12ihipStream_tbEUlT_E_NS1_11comp_targetILNS1_3genE10ELNS1_11target_archE1201ELNS1_3gpuE5ELNS1_3repE0EEENS1_30default_config_static_selectorELNS0_4arch9wavefront6targetE1EEEvT1_
	.globl	_ZN7rocprim17ROCPRIM_400000_NS6detail17trampoline_kernelINS0_14default_configENS1_35adjacent_difference_config_selectorILb1E14custom_numericEEZNS1_24adjacent_difference_implIS3_Lb1ELb0EPS5_S8_N6thrust23THRUST_200600_302600_NS4plusIS5_EEEE10hipError_tPvRmT2_T3_mT4_P12ihipStream_tbEUlT_E_NS1_11comp_targetILNS1_3genE10ELNS1_11target_archE1201ELNS1_3gpuE5ELNS1_3repE0EEENS1_30default_config_static_selectorELNS0_4arch9wavefront6targetE1EEEvT1_
	.p2align	8
	.type	_ZN7rocprim17ROCPRIM_400000_NS6detail17trampoline_kernelINS0_14default_configENS1_35adjacent_difference_config_selectorILb1E14custom_numericEEZNS1_24adjacent_difference_implIS3_Lb1ELb0EPS5_S8_N6thrust23THRUST_200600_302600_NS4plusIS5_EEEE10hipError_tPvRmT2_T3_mT4_P12ihipStream_tbEUlT_E_NS1_11comp_targetILNS1_3genE10ELNS1_11target_archE1201ELNS1_3gpuE5ELNS1_3repE0EEENS1_30default_config_static_selectorELNS0_4arch9wavefront6targetE1EEEvT1_,@function
_ZN7rocprim17ROCPRIM_400000_NS6detail17trampoline_kernelINS0_14default_configENS1_35adjacent_difference_config_selectorILb1E14custom_numericEEZNS1_24adjacent_difference_implIS3_Lb1ELb0EPS5_S8_N6thrust23THRUST_200600_302600_NS4plusIS5_EEEE10hipError_tPvRmT2_T3_mT4_P12ihipStream_tbEUlT_E_NS1_11comp_targetILNS1_3genE10ELNS1_11target_archE1201ELNS1_3gpuE5ELNS1_3repE0EEENS1_30default_config_static_selectorELNS0_4arch9wavefront6targetE1EEEvT1_: ; @_ZN7rocprim17ROCPRIM_400000_NS6detail17trampoline_kernelINS0_14default_configENS1_35adjacent_difference_config_selectorILb1E14custom_numericEEZNS1_24adjacent_difference_implIS3_Lb1ELb0EPS5_S8_N6thrust23THRUST_200600_302600_NS4plusIS5_EEEE10hipError_tPvRmT2_T3_mT4_P12ihipStream_tbEUlT_E_NS1_11comp_targetILNS1_3genE10ELNS1_11target_archE1201ELNS1_3gpuE5ELNS1_3repE0EEENS1_30default_config_static_selectorELNS0_4arch9wavefront6targetE1EEEvT1_
; %bb.0:
	.section	.rodata,"a",@progbits
	.p2align	6, 0x0
	.amdhsa_kernel _ZN7rocprim17ROCPRIM_400000_NS6detail17trampoline_kernelINS0_14default_configENS1_35adjacent_difference_config_selectorILb1E14custom_numericEEZNS1_24adjacent_difference_implIS3_Lb1ELb0EPS5_S8_N6thrust23THRUST_200600_302600_NS4plusIS5_EEEE10hipError_tPvRmT2_T3_mT4_P12ihipStream_tbEUlT_E_NS1_11comp_targetILNS1_3genE10ELNS1_11target_archE1201ELNS1_3gpuE5ELNS1_3repE0EEENS1_30default_config_static_selectorELNS0_4arch9wavefront6targetE1EEEvT1_
		.amdhsa_group_segment_fixed_size 0
		.amdhsa_private_segment_fixed_size 0
		.amdhsa_kernarg_size 56
		.amdhsa_user_sgpr_count 6
		.amdhsa_user_sgpr_private_segment_buffer 1
		.amdhsa_user_sgpr_dispatch_ptr 0
		.amdhsa_user_sgpr_queue_ptr 0
		.amdhsa_user_sgpr_kernarg_segment_ptr 1
		.amdhsa_user_sgpr_dispatch_id 0
		.amdhsa_user_sgpr_flat_scratch_init 0
		.amdhsa_user_sgpr_kernarg_preload_length 0
		.amdhsa_user_sgpr_kernarg_preload_offset 0
		.amdhsa_user_sgpr_private_segment_size 0
		.amdhsa_uses_dynamic_stack 0
		.amdhsa_system_sgpr_private_segment_wavefront_offset 0
		.amdhsa_system_sgpr_workgroup_id_x 1
		.amdhsa_system_sgpr_workgroup_id_y 0
		.amdhsa_system_sgpr_workgroup_id_z 0
		.amdhsa_system_sgpr_workgroup_info 0
		.amdhsa_system_vgpr_workitem_id 0
		.amdhsa_next_free_vgpr 1
		.amdhsa_next_free_sgpr 0
		.amdhsa_accum_offset 4
		.amdhsa_reserve_vcc 0
		.amdhsa_reserve_flat_scratch 0
		.amdhsa_float_round_mode_32 0
		.amdhsa_float_round_mode_16_64 0
		.amdhsa_float_denorm_mode_32 3
		.amdhsa_float_denorm_mode_16_64 3
		.amdhsa_dx10_clamp 1
		.amdhsa_ieee_mode 1
		.amdhsa_fp16_overflow 0
		.amdhsa_tg_split 0
		.amdhsa_exception_fp_ieee_invalid_op 0
		.amdhsa_exception_fp_denorm_src 0
		.amdhsa_exception_fp_ieee_div_zero 0
		.amdhsa_exception_fp_ieee_overflow 0
		.amdhsa_exception_fp_ieee_underflow 0
		.amdhsa_exception_fp_ieee_inexact 0
		.amdhsa_exception_int_div_zero 0
	.end_amdhsa_kernel
	.section	.text._ZN7rocprim17ROCPRIM_400000_NS6detail17trampoline_kernelINS0_14default_configENS1_35adjacent_difference_config_selectorILb1E14custom_numericEEZNS1_24adjacent_difference_implIS3_Lb1ELb0EPS5_S8_N6thrust23THRUST_200600_302600_NS4plusIS5_EEEE10hipError_tPvRmT2_T3_mT4_P12ihipStream_tbEUlT_E_NS1_11comp_targetILNS1_3genE10ELNS1_11target_archE1201ELNS1_3gpuE5ELNS1_3repE0EEENS1_30default_config_static_selectorELNS0_4arch9wavefront6targetE1EEEvT1_,"axG",@progbits,_ZN7rocprim17ROCPRIM_400000_NS6detail17trampoline_kernelINS0_14default_configENS1_35adjacent_difference_config_selectorILb1E14custom_numericEEZNS1_24adjacent_difference_implIS3_Lb1ELb0EPS5_S8_N6thrust23THRUST_200600_302600_NS4plusIS5_EEEE10hipError_tPvRmT2_T3_mT4_P12ihipStream_tbEUlT_E_NS1_11comp_targetILNS1_3genE10ELNS1_11target_archE1201ELNS1_3gpuE5ELNS1_3repE0EEENS1_30default_config_static_selectorELNS0_4arch9wavefront6targetE1EEEvT1_,comdat
.Lfunc_end253:
	.size	_ZN7rocprim17ROCPRIM_400000_NS6detail17trampoline_kernelINS0_14default_configENS1_35adjacent_difference_config_selectorILb1E14custom_numericEEZNS1_24adjacent_difference_implIS3_Lb1ELb0EPS5_S8_N6thrust23THRUST_200600_302600_NS4plusIS5_EEEE10hipError_tPvRmT2_T3_mT4_P12ihipStream_tbEUlT_E_NS1_11comp_targetILNS1_3genE10ELNS1_11target_archE1201ELNS1_3gpuE5ELNS1_3repE0EEENS1_30default_config_static_selectorELNS0_4arch9wavefront6targetE1EEEvT1_, .Lfunc_end253-_ZN7rocprim17ROCPRIM_400000_NS6detail17trampoline_kernelINS0_14default_configENS1_35adjacent_difference_config_selectorILb1E14custom_numericEEZNS1_24adjacent_difference_implIS3_Lb1ELb0EPS5_S8_N6thrust23THRUST_200600_302600_NS4plusIS5_EEEE10hipError_tPvRmT2_T3_mT4_P12ihipStream_tbEUlT_E_NS1_11comp_targetILNS1_3genE10ELNS1_11target_archE1201ELNS1_3gpuE5ELNS1_3repE0EEENS1_30default_config_static_selectorELNS0_4arch9wavefront6targetE1EEEvT1_
                                        ; -- End function
	.section	.AMDGPU.csdata,"",@progbits
; Kernel info:
; codeLenInByte = 0
; NumSgprs: 4
; NumVgprs: 0
; NumAgprs: 0
; TotalNumVgprs: 0
; ScratchSize: 0
; MemoryBound: 0
; FloatMode: 240
; IeeeMode: 1
; LDSByteSize: 0 bytes/workgroup (compile time only)
; SGPRBlocks: 0
; VGPRBlocks: 0
; NumSGPRsForWavesPerEU: 4
; NumVGPRsForWavesPerEU: 1
; AccumOffset: 4
; Occupancy: 8
; WaveLimiterHint : 0
; COMPUTE_PGM_RSRC2:SCRATCH_EN: 0
; COMPUTE_PGM_RSRC2:USER_SGPR: 6
; COMPUTE_PGM_RSRC2:TRAP_HANDLER: 0
; COMPUTE_PGM_RSRC2:TGID_X_EN: 1
; COMPUTE_PGM_RSRC2:TGID_Y_EN: 0
; COMPUTE_PGM_RSRC2:TGID_Z_EN: 0
; COMPUTE_PGM_RSRC2:TIDIG_COMP_CNT: 0
; COMPUTE_PGM_RSRC3_GFX90A:ACCUM_OFFSET: 0
; COMPUTE_PGM_RSRC3_GFX90A:TG_SPLIT: 0
	.section	.text._ZN7rocprim17ROCPRIM_400000_NS6detail17trampoline_kernelINS0_14default_configENS1_35adjacent_difference_config_selectorILb1E14custom_numericEEZNS1_24adjacent_difference_implIS3_Lb1ELb0EPS5_S8_N6thrust23THRUST_200600_302600_NS4plusIS5_EEEE10hipError_tPvRmT2_T3_mT4_P12ihipStream_tbEUlT_E_NS1_11comp_targetILNS1_3genE5ELNS1_11target_archE942ELNS1_3gpuE9ELNS1_3repE0EEENS1_30default_config_static_selectorELNS0_4arch9wavefront6targetE1EEEvT1_,"axG",@progbits,_ZN7rocprim17ROCPRIM_400000_NS6detail17trampoline_kernelINS0_14default_configENS1_35adjacent_difference_config_selectorILb1E14custom_numericEEZNS1_24adjacent_difference_implIS3_Lb1ELb0EPS5_S8_N6thrust23THRUST_200600_302600_NS4plusIS5_EEEE10hipError_tPvRmT2_T3_mT4_P12ihipStream_tbEUlT_E_NS1_11comp_targetILNS1_3genE5ELNS1_11target_archE942ELNS1_3gpuE9ELNS1_3repE0EEENS1_30default_config_static_selectorELNS0_4arch9wavefront6targetE1EEEvT1_,comdat
	.protected	_ZN7rocprim17ROCPRIM_400000_NS6detail17trampoline_kernelINS0_14default_configENS1_35adjacent_difference_config_selectorILb1E14custom_numericEEZNS1_24adjacent_difference_implIS3_Lb1ELb0EPS5_S8_N6thrust23THRUST_200600_302600_NS4plusIS5_EEEE10hipError_tPvRmT2_T3_mT4_P12ihipStream_tbEUlT_E_NS1_11comp_targetILNS1_3genE5ELNS1_11target_archE942ELNS1_3gpuE9ELNS1_3repE0EEENS1_30default_config_static_selectorELNS0_4arch9wavefront6targetE1EEEvT1_ ; -- Begin function _ZN7rocprim17ROCPRIM_400000_NS6detail17trampoline_kernelINS0_14default_configENS1_35adjacent_difference_config_selectorILb1E14custom_numericEEZNS1_24adjacent_difference_implIS3_Lb1ELb0EPS5_S8_N6thrust23THRUST_200600_302600_NS4plusIS5_EEEE10hipError_tPvRmT2_T3_mT4_P12ihipStream_tbEUlT_E_NS1_11comp_targetILNS1_3genE5ELNS1_11target_archE942ELNS1_3gpuE9ELNS1_3repE0EEENS1_30default_config_static_selectorELNS0_4arch9wavefront6targetE1EEEvT1_
	.globl	_ZN7rocprim17ROCPRIM_400000_NS6detail17trampoline_kernelINS0_14default_configENS1_35adjacent_difference_config_selectorILb1E14custom_numericEEZNS1_24adjacent_difference_implIS3_Lb1ELb0EPS5_S8_N6thrust23THRUST_200600_302600_NS4plusIS5_EEEE10hipError_tPvRmT2_T3_mT4_P12ihipStream_tbEUlT_E_NS1_11comp_targetILNS1_3genE5ELNS1_11target_archE942ELNS1_3gpuE9ELNS1_3repE0EEENS1_30default_config_static_selectorELNS0_4arch9wavefront6targetE1EEEvT1_
	.p2align	8
	.type	_ZN7rocprim17ROCPRIM_400000_NS6detail17trampoline_kernelINS0_14default_configENS1_35adjacent_difference_config_selectorILb1E14custom_numericEEZNS1_24adjacent_difference_implIS3_Lb1ELb0EPS5_S8_N6thrust23THRUST_200600_302600_NS4plusIS5_EEEE10hipError_tPvRmT2_T3_mT4_P12ihipStream_tbEUlT_E_NS1_11comp_targetILNS1_3genE5ELNS1_11target_archE942ELNS1_3gpuE9ELNS1_3repE0EEENS1_30default_config_static_selectorELNS0_4arch9wavefront6targetE1EEEvT1_,@function
_ZN7rocprim17ROCPRIM_400000_NS6detail17trampoline_kernelINS0_14default_configENS1_35adjacent_difference_config_selectorILb1E14custom_numericEEZNS1_24adjacent_difference_implIS3_Lb1ELb0EPS5_S8_N6thrust23THRUST_200600_302600_NS4plusIS5_EEEE10hipError_tPvRmT2_T3_mT4_P12ihipStream_tbEUlT_E_NS1_11comp_targetILNS1_3genE5ELNS1_11target_archE942ELNS1_3gpuE9ELNS1_3repE0EEENS1_30default_config_static_selectorELNS0_4arch9wavefront6targetE1EEEvT1_: ; @_ZN7rocprim17ROCPRIM_400000_NS6detail17trampoline_kernelINS0_14default_configENS1_35adjacent_difference_config_selectorILb1E14custom_numericEEZNS1_24adjacent_difference_implIS3_Lb1ELb0EPS5_S8_N6thrust23THRUST_200600_302600_NS4plusIS5_EEEE10hipError_tPvRmT2_T3_mT4_P12ihipStream_tbEUlT_E_NS1_11comp_targetILNS1_3genE5ELNS1_11target_archE942ELNS1_3gpuE9ELNS1_3repE0EEENS1_30default_config_static_selectorELNS0_4arch9wavefront6targetE1EEEvT1_
; %bb.0:
	.section	.rodata,"a",@progbits
	.p2align	6, 0x0
	.amdhsa_kernel _ZN7rocprim17ROCPRIM_400000_NS6detail17trampoline_kernelINS0_14default_configENS1_35adjacent_difference_config_selectorILb1E14custom_numericEEZNS1_24adjacent_difference_implIS3_Lb1ELb0EPS5_S8_N6thrust23THRUST_200600_302600_NS4plusIS5_EEEE10hipError_tPvRmT2_T3_mT4_P12ihipStream_tbEUlT_E_NS1_11comp_targetILNS1_3genE5ELNS1_11target_archE942ELNS1_3gpuE9ELNS1_3repE0EEENS1_30default_config_static_selectorELNS0_4arch9wavefront6targetE1EEEvT1_
		.amdhsa_group_segment_fixed_size 0
		.amdhsa_private_segment_fixed_size 0
		.amdhsa_kernarg_size 56
		.amdhsa_user_sgpr_count 6
		.amdhsa_user_sgpr_private_segment_buffer 1
		.amdhsa_user_sgpr_dispatch_ptr 0
		.amdhsa_user_sgpr_queue_ptr 0
		.amdhsa_user_sgpr_kernarg_segment_ptr 1
		.amdhsa_user_sgpr_dispatch_id 0
		.amdhsa_user_sgpr_flat_scratch_init 0
		.amdhsa_user_sgpr_kernarg_preload_length 0
		.amdhsa_user_sgpr_kernarg_preload_offset 0
		.amdhsa_user_sgpr_private_segment_size 0
		.amdhsa_uses_dynamic_stack 0
		.amdhsa_system_sgpr_private_segment_wavefront_offset 0
		.amdhsa_system_sgpr_workgroup_id_x 1
		.amdhsa_system_sgpr_workgroup_id_y 0
		.amdhsa_system_sgpr_workgroup_id_z 0
		.amdhsa_system_sgpr_workgroup_info 0
		.amdhsa_system_vgpr_workitem_id 0
		.amdhsa_next_free_vgpr 1
		.amdhsa_next_free_sgpr 0
		.amdhsa_accum_offset 4
		.amdhsa_reserve_vcc 0
		.amdhsa_reserve_flat_scratch 0
		.amdhsa_float_round_mode_32 0
		.amdhsa_float_round_mode_16_64 0
		.amdhsa_float_denorm_mode_32 3
		.amdhsa_float_denorm_mode_16_64 3
		.amdhsa_dx10_clamp 1
		.amdhsa_ieee_mode 1
		.amdhsa_fp16_overflow 0
		.amdhsa_tg_split 0
		.amdhsa_exception_fp_ieee_invalid_op 0
		.amdhsa_exception_fp_denorm_src 0
		.amdhsa_exception_fp_ieee_div_zero 0
		.amdhsa_exception_fp_ieee_overflow 0
		.amdhsa_exception_fp_ieee_underflow 0
		.amdhsa_exception_fp_ieee_inexact 0
		.amdhsa_exception_int_div_zero 0
	.end_amdhsa_kernel
	.section	.text._ZN7rocprim17ROCPRIM_400000_NS6detail17trampoline_kernelINS0_14default_configENS1_35adjacent_difference_config_selectorILb1E14custom_numericEEZNS1_24adjacent_difference_implIS3_Lb1ELb0EPS5_S8_N6thrust23THRUST_200600_302600_NS4plusIS5_EEEE10hipError_tPvRmT2_T3_mT4_P12ihipStream_tbEUlT_E_NS1_11comp_targetILNS1_3genE5ELNS1_11target_archE942ELNS1_3gpuE9ELNS1_3repE0EEENS1_30default_config_static_selectorELNS0_4arch9wavefront6targetE1EEEvT1_,"axG",@progbits,_ZN7rocprim17ROCPRIM_400000_NS6detail17trampoline_kernelINS0_14default_configENS1_35adjacent_difference_config_selectorILb1E14custom_numericEEZNS1_24adjacent_difference_implIS3_Lb1ELb0EPS5_S8_N6thrust23THRUST_200600_302600_NS4plusIS5_EEEE10hipError_tPvRmT2_T3_mT4_P12ihipStream_tbEUlT_E_NS1_11comp_targetILNS1_3genE5ELNS1_11target_archE942ELNS1_3gpuE9ELNS1_3repE0EEENS1_30default_config_static_selectorELNS0_4arch9wavefront6targetE1EEEvT1_,comdat
.Lfunc_end254:
	.size	_ZN7rocprim17ROCPRIM_400000_NS6detail17trampoline_kernelINS0_14default_configENS1_35adjacent_difference_config_selectorILb1E14custom_numericEEZNS1_24adjacent_difference_implIS3_Lb1ELb0EPS5_S8_N6thrust23THRUST_200600_302600_NS4plusIS5_EEEE10hipError_tPvRmT2_T3_mT4_P12ihipStream_tbEUlT_E_NS1_11comp_targetILNS1_3genE5ELNS1_11target_archE942ELNS1_3gpuE9ELNS1_3repE0EEENS1_30default_config_static_selectorELNS0_4arch9wavefront6targetE1EEEvT1_, .Lfunc_end254-_ZN7rocprim17ROCPRIM_400000_NS6detail17trampoline_kernelINS0_14default_configENS1_35adjacent_difference_config_selectorILb1E14custom_numericEEZNS1_24adjacent_difference_implIS3_Lb1ELb0EPS5_S8_N6thrust23THRUST_200600_302600_NS4plusIS5_EEEE10hipError_tPvRmT2_T3_mT4_P12ihipStream_tbEUlT_E_NS1_11comp_targetILNS1_3genE5ELNS1_11target_archE942ELNS1_3gpuE9ELNS1_3repE0EEENS1_30default_config_static_selectorELNS0_4arch9wavefront6targetE1EEEvT1_
                                        ; -- End function
	.section	.AMDGPU.csdata,"",@progbits
; Kernel info:
; codeLenInByte = 0
; NumSgprs: 4
; NumVgprs: 0
; NumAgprs: 0
; TotalNumVgprs: 0
; ScratchSize: 0
; MemoryBound: 0
; FloatMode: 240
; IeeeMode: 1
; LDSByteSize: 0 bytes/workgroup (compile time only)
; SGPRBlocks: 0
; VGPRBlocks: 0
; NumSGPRsForWavesPerEU: 4
; NumVGPRsForWavesPerEU: 1
; AccumOffset: 4
; Occupancy: 8
; WaveLimiterHint : 0
; COMPUTE_PGM_RSRC2:SCRATCH_EN: 0
; COMPUTE_PGM_RSRC2:USER_SGPR: 6
; COMPUTE_PGM_RSRC2:TRAP_HANDLER: 0
; COMPUTE_PGM_RSRC2:TGID_X_EN: 1
; COMPUTE_PGM_RSRC2:TGID_Y_EN: 0
; COMPUTE_PGM_RSRC2:TGID_Z_EN: 0
; COMPUTE_PGM_RSRC2:TIDIG_COMP_CNT: 0
; COMPUTE_PGM_RSRC3_GFX90A:ACCUM_OFFSET: 0
; COMPUTE_PGM_RSRC3_GFX90A:TG_SPLIT: 0
	.section	.text._ZN7rocprim17ROCPRIM_400000_NS6detail17trampoline_kernelINS0_14default_configENS1_35adjacent_difference_config_selectorILb1E14custom_numericEEZNS1_24adjacent_difference_implIS3_Lb1ELb0EPS5_S8_N6thrust23THRUST_200600_302600_NS4plusIS5_EEEE10hipError_tPvRmT2_T3_mT4_P12ihipStream_tbEUlT_E_NS1_11comp_targetILNS1_3genE4ELNS1_11target_archE910ELNS1_3gpuE8ELNS1_3repE0EEENS1_30default_config_static_selectorELNS0_4arch9wavefront6targetE1EEEvT1_,"axG",@progbits,_ZN7rocprim17ROCPRIM_400000_NS6detail17trampoline_kernelINS0_14default_configENS1_35adjacent_difference_config_selectorILb1E14custom_numericEEZNS1_24adjacent_difference_implIS3_Lb1ELb0EPS5_S8_N6thrust23THRUST_200600_302600_NS4plusIS5_EEEE10hipError_tPvRmT2_T3_mT4_P12ihipStream_tbEUlT_E_NS1_11comp_targetILNS1_3genE4ELNS1_11target_archE910ELNS1_3gpuE8ELNS1_3repE0EEENS1_30default_config_static_selectorELNS0_4arch9wavefront6targetE1EEEvT1_,comdat
	.protected	_ZN7rocprim17ROCPRIM_400000_NS6detail17trampoline_kernelINS0_14default_configENS1_35adjacent_difference_config_selectorILb1E14custom_numericEEZNS1_24adjacent_difference_implIS3_Lb1ELb0EPS5_S8_N6thrust23THRUST_200600_302600_NS4plusIS5_EEEE10hipError_tPvRmT2_T3_mT4_P12ihipStream_tbEUlT_E_NS1_11comp_targetILNS1_3genE4ELNS1_11target_archE910ELNS1_3gpuE8ELNS1_3repE0EEENS1_30default_config_static_selectorELNS0_4arch9wavefront6targetE1EEEvT1_ ; -- Begin function _ZN7rocprim17ROCPRIM_400000_NS6detail17trampoline_kernelINS0_14default_configENS1_35adjacent_difference_config_selectorILb1E14custom_numericEEZNS1_24adjacent_difference_implIS3_Lb1ELb0EPS5_S8_N6thrust23THRUST_200600_302600_NS4plusIS5_EEEE10hipError_tPvRmT2_T3_mT4_P12ihipStream_tbEUlT_E_NS1_11comp_targetILNS1_3genE4ELNS1_11target_archE910ELNS1_3gpuE8ELNS1_3repE0EEENS1_30default_config_static_selectorELNS0_4arch9wavefront6targetE1EEEvT1_
	.globl	_ZN7rocprim17ROCPRIM_400000_NS6detail17trampoline_kernelINS0_14default_configENS1_35adjacent_difference_config_selectorILb1E14custom_numericEEZNS1_24adjacent_difference_implIS3_Lb1ELb0EPS5_S8_N6thrust23THRUST_200600_302600_NS4plusIS5_EEEE10hipError_tPvRmT2_T3_mT4_P12ihipStream_tbEUlT_E_NS1_11comp_targetILNS1_3genE4ELNS1_11target_archE910ELNS1_3gpuE8ELNS1_3repE0EEENS1_30default_config_static_selectorELNS0_4arch9wavefront6targetE1EEEvT1_
	.p2align	8
	.type	_ZN7rocprim17ROCPRIM_400000_NS6detail17trampoline_kernelINS0_14default_configENS1_35adjacent_difference_config_selectorILb1E14custom_numericEEZNS1_24adjacent_difference_implIS3_Lb1ELb0EPS5_S8_N6thrust23THRUST_200600_302600_NS4plusIS5_EEEE10hipError_tPvRmT2_T3_mT4_P12ihipStream_tbEUlT_E_NS1_11comp_targetILNS1_3genE4ELNS1_11target_archE910ELNS1_3gpuE8ELNS1_3repE0EEENS1_30default_config_static_selectorELNS0_4arch9wavefront6targetE1EEEvT1_,@function
_ZN7rocprim17ROCPRIM_400000_NS6detail17trampoline_kernelINS0_14default_configENS1_35adjacent_difference_config_selectorILb1E14custom_numericEEZNS1_24adjacent_difference_implIS3_Lb1ELb0EPS5_S8_N6thrust23THRUST_200600_302600_NS4plusIS5_EEEE10hipError_tPvRmT2_T3_mT4_P12ihipStream_tbEUlT_E_NS1_11comp_targetILNS1_3genE4ELNS1_11target_archE910ELNS1_3gpuE8ELNS1_3repE0EEENS1_30default_config_static_selectorELNS0_4arch9wavefront6targetE1EEEvT1_: ; @_ZN7rocprim17ROCPRIM_400000_NS6detail17trampoline_kernelINS0_14default_configENS1_35adjacent_difference_config_selectorILb1E14custom_numericEEZNS1_24adjacent_difference_implIS3_Lb1ELb0EPS5_S8_N6thrust23THRUST_200600_302600_NS4plusIS5_EEEE10hipError_tPvRmT2_T3_mT4_P12ihipStream_tbEUlT_E_NS1_11comp_targetILNS1_3genE4ELNS1_11target_archE910ELNS1_3gpuE8ELNS1_3repE0EEENS1_30default_config_static_selectorELNS0_4arch9wavefront6targetE1EEEvT1_
; %bb.0:
	s_load_dwordx8 s[8:15], s[4:5], 0x0
	s_load_dwordx4 s[16:19], s[4:5], 0x28
	s_mov_b32 s1, 0x55500000
	v_mov_b32_e32 v1, 0x55555000
	s_mul_i32 s22, s6, 0x300
	s_waitcnt lgkmcnt(0)
	s_mul_i32 s0, s11, 20
	s_mul_hi_u32 s23, s10, 20
	s_add_i32 s23, s23, s0
	s_mul_i32 s24, s10, 20
	s_add_u32 s7, s8, s24
	s_addc_u32 s26, s9, s23
	s_add_u32 s1, 0x55555, s1
	s_addc_u32 s1, 0, 0x555
	s_add_u32 s1, s1, 0
	s_addc_u32 s2, 0, 0
	v_add_co_u32_e32 v1, vcc, s1, v1
	s_cmp_lg_u64 vcc, 0
	s_addc_u32 s1, s2, 0x555555
	v_readfirstlane_b32 s4, v1
	s_mul_i32 s3, s14, s1
	s_mul_hi_u32 s5, s14, s4
	s_mul_hi_u32 s2, s14, s1
	s_add_u32 s3, s5, s3
	s_addc_u32 s2, 0, s2
	s_mul_hi_u32 s8, s15, s4
	s_mul_i32 s4, s15, s4
	s_add_u32 s3, s3, s4
	s_mul_hi_u32 s5, s15, s1
	s_addc_u32 s2, s2, s8
	s_addc_u32 s3, s5, 0
	s_mul_i32 s1, s15, s1
	s_add_u32 s1, s2, s1
	s_addc_u32 s2, 0, s3
	s_add_u32 s3, s1, 1
	s_addc_u32 s4, s2, 0
	s_add_u32 s5, s1, 2
	s_mul_i32 s9, s2, 0x300
	s_mul_hi_u32 s10, s1, 0x300
	s_addc_u32 s8, s2, 0
	s_add_i32 s10, s10, s9
	s_mul_i32 s9, s1, 0x300
	v_mov_b32_e32 v1, s9
	v_sub_co_u32_e32 v1, vcc, s14, v1
	s_movk_i32 s0, 0x300
	s_cmp_lg_u64 vcc, 0
	s_subb_u32 s9, s15, s10
	v_subrev_co_u32_e32 v2, vcc, s0, v1
	s_cmp_lg_u64 vcc, 0
	s_subb_u32 s0, s9, 0
	v_readfirstlane_b32 s10, v2
	s_cmpk_gt_u32 s10, 0x2ff
	s_cselect_b32 s10, -1, 0
	s_cmp_eq_u32 s0, 0
	s_cselect_b32 s0, s10, -1
	s_cmp_lg_u32 s0, 0
	s_cselect_b32 s0, s5, s3
	s_cselect_b32 s3, s8, s4
	v_readfirstlane_b32 s4, v1
	s_cmpk_gt_u32 s4, 0x2ff
	s_cselect_b32 s4, -1, 0
	s_cmp_eq_u32 s9, 0
	s_cselect_b32 s4, s4, -1
	s_cmp_lg_u32 s4, 0
	s_cselect_b32 s3, s3, s2
	s_cselect_b32 s2, s0, s1
	s_mul_i32 s0, s3, 0x300
	s_mul_hi_u32 s1, s2, 0x300
	s_add_i32 s1, s1, s0
	s_mul_i32 s0, s2, 0x300
	s_sub_u32 s0, s14, s0
	s_subb_u32 s1, s15, s1
	s_cmp_lg_u64 s[0:1], 0
	s_cselect_b64 s[0:1], -1, 0
	v_cndmask_b32_e64 v1, 0, 1, s[0:1]
	v_readfirstlane_b32 s0, v1
	s_add_u32 s2, s2, s0
	s_addc_u32 s3, s3, 0
	s_add_u32 s4, s18, s6
	s_addc_u32 s5, s19, 0
	s_add_u32 s8, s2, -1
	s_addc_u32 s9, s3, -1
	v_pk_mov_b32 v[2:3], s[8:9], s[8:9] op_sel:[0,1]
	v_cmp_ge_u64_e64 s[0:1], s[4:5], v[2:3]
	s_mov_b64 s[10:11], -1
	s_and_b64 vcc, exec, s[0:1]
	s_mul_i32 s25, s8, 0xfffffd00
	s_mul_hi_u32 s15, s22, 20
	s_mul_i32 s22, s22, 20
	s_cbranch_vccz .LBB255_8
; %bb.1:
	s_add_i32 s27, s25, s14
	s_add_u32 s10, s7, s22
	s_addc_u32 s11, s26, s15
	v_cmp_gt_u32_e32 vcc, s27, v0
	v_mov_b32_e32 v1, 0
	v_mov_b32_e32 v2, 0
	s_and_saveexec_b64 s[20:21], vcc
	s_cbranch_execz .LBB255_3
; %bb.2:
	v_mad_u64_u32 v[2:3], s[28:29], v0, 20, s[10:11]
	global_load_dword v2, v[2:3], off
.LBB255_3:
	s_or_b64 exec, exec, s[20:21]
	v_or_b32_e32 v3, 0x100, v0
	v_cmp_gt_u32_e32 vcc, s27, v3
	s_and_saveexec_b64 s[20:21], vcc
	s_cbranch_execz .LBB255_5
; %bb.4:
	v_mad_u64_u32 v[4:5], s[28:29], v3, 20, s[10:11]
	global_load_dword v1, v[4:5], off
.LBB255_5:
	s_or_b64 exec, exec, s[20:21]
	v_or_b32_e32 v4, 0x200, v0
	v_cmp_gt_u32_e32 vcc, s27, v4
	v_mov_b32_e32 v3, 0
	s_and_saveexec_b64 s[20:21], vcc
	s_cbranch_execz .LBB255_7
; %bb.6:
	v_mad_u64_u32 v[4:5], s[10:11], v4, 20, s[10:11]
	global_load_dword v3, v[4:5], off
.LBB255_7:
	s_or_b64 exec, exec, s[20:21]
	v_mov_b32_e32 v5, 0x1400
	v_mul_u32_u24_e32 v4, 20, v0
	v_mad_u32_u24 v5, v0, 20, v5
	s_waitcnt vmcnt(0)
	ds_write2_b32 v4, v2, v2 offset1:1
	ds_write2_b32 v4, v2, v2 offset0:2 offset1:3
	ds_write2_b32 v5, v1, v1 offset1:1
	v_mov_b32_e32 v5, 0x1408
	v_mad_u32_u24 v5, v0, 20, v5
	ds_write2_b32 v5, v1, v1 offset1:1
	v_add_u32_e32 v5, 16, v4
	ds_write2st64_b32 v5, v2, v1 offset1:20
	v_mov_b32_e32 v1, 0x2800
	v_mad_u32_u24 v1, v0, 20, v1
	ds_write2_b32 v1, v3, v3 offset1:1
	v_mov_b32_e32 v1, 0x2808
	v_mad_u32_u24 v1, v0, 20, v1
	s_mov_b64 s[10:11], 0
	ds_write2_b32 v1, v3, v3 offset1:1
	ds_write_b32 v4, v3 offset:10256
	s_waitcnt lgkmcnt(0)
	s_barrier
.LBB255_8:
	s_and_b64 vcc, exec, s[10:11]
	v_mul_u32_u24_e32 v1, 20, v0
	s_cbranch_vccz .LBB255_10
; %bb.9:
	s_add_u32 s10, s7, s22
	s_addc_u32 s11, s26, s15
	v_mad_u64_u32 v[2:3], s[10:11], v0, 20, s[10:11]
	v_add_co_u32_e32 v4, vcc, 0x1000, v2
	v_addc_co_u32_e32 v5, vcc, 0, v3, vcc
	global_load_dword v6, v[2:3], off
	global_load_dword v7, v[4:5], off offset:1024
	v_add_co_u32_e32 v2, vcc, 0x2000, v2
	v_addc_co_u32_e32 v3, vcc, 0, v3, vcc
	global_load_dword v2, v[2:3], off offset:2048
	v_mov_b32_e32 v3, 0x1400
	v_mov_b32_e32 v4, 0x1408
	v_mov_b32_e32 v8, 0x2800
	v_mov_b32_e32 v9, 0x2808
	v_add_u32_e32 v5, 16, v1
	v_mad_u32_u24 v3, v0, 20, v3
	v_mad_u32_u24 v4, v0, 20, v4
	;; [unrolled: 1-line block ×4, first 2 shown]
	s_waitcnt vmcnt(2)
	ds_write2_b32 v1, v6, v6 offset1:1
	ds_write2_b32 v1, v6, v6 offset0:2 offset1:3
	s_waitcnt vmcnt(1)
	ds_write2_b32 v3, v7, v7 offset1:1
	ds_write2_b32 v4, v7, v7 offset1:1
	ds_write2st64_b32 v5, v6, v7 offset1:20
	s_waitcnt vmcnt(0)
	ds_write2_b32 v8, v2, v2 offset1:1
	ds_write2_b32 v9, v2, v2 offset1:1
	ds_write_b32 v1, v2 offset:10256
	s_waitcnt lgkmcnt(0)
	s_barrier
.LBB255_10:
	v_mul_u32_u24_e32 v2, 3, v0
	v_mul_lo_u32 v4, v2, 20
	ds_read2_b32 v[2:3], v4 offset1:5
	ds_read_b32 v4, v4 offset:40
	s_cmp_eq_u64 s[4:5], 0
	s_waitcnt lgkmcnt(0)
	s_barrier
	s_cbranch_scc1 .LBB255_15
; %bb.11:
	s_mul_i32 s7, s19, 20
	s_mul_hi_u32 s10, s18, 20
	s_add_i32 s10, s10, s7
	s_mul_i32 s7, s18, 20
	s_add_u32 s7, s16, s7
	s_addc_u32 s10, s17, s10
	s_mul_hi_u32 s11, s6, 20
	s_mul_i32 s6, s6, 20
	s_add_u32 s6, s7, s6
	s_addc_u32 s7, s10, s11
	s_add_u32 s6, s6, 0xffffffec
	s_addc_u32 s7, s7, -1
	s_load_dword s10, s[6:7], 0x0
	s_cmp_eq_u64 s[4:5], s[8:9]
	s_cbranch_scc1 .LBB255_16
; %bb.12:
	v_cmp_ne_u32_e32 vcc, 0, v0
	s_waitcnt lgkmcnt(0)
	v_mov_b32_e32 v5, s10
	ds_write2_b32 v1, v4, v4 offset1:1
	ds_write2_b32 v1, v4, v4 offset0:2 offset1:3
	ds_write_b32 v1, v4 offset:16
	s_waitcnt lgkmcnt(0)
	s_barrier
	s_and_saveexec_b64 s[6:7], vcc
	s_cbranch_execz .LBB255_14
; %bb.13:
	v_subrev_u32_e32 v5, 20, v1
	ds_read_b32 v5, v5
.LBB255_14:
	s_or_b64 exec, exec, s[6:7]
	s_waitcnt lgkmcnt(0)
	v_add_u32_e32 v5, v5, v2
	v_mov_b32_e32 v6, v3
	v_mov_b32_e32 v7, v2
	s_branch .LBB255_20
.LBB255_15:
                                        ; implicit-def: $vgpr6
                                        ; implicit-def: $vgpr7
                                        ; implicit-def: $vgpr5
	s_branch .LBB255_21
.LBB255_16:
                                        ; implicit-def: $vgpr5
	v_mov_b32_e32 v6, v3
	v_mov_b32_e32 v7, v2
	s_cbranch_execz .LBB255_20
; %bb.17:
	v_mul_u32_u24_e32 v5, 3, v0
	v_cmp_ne_u32_e32 vcc, 0, v0
	s_waitcnt lgkmcnt(0)
	v_mov_b32_e32 v8, s10
	ds_write2_b32 v1, v4, v4 offset1:1
	ds_write2_b32 v1, v4, v4 offset0:2 offset1:3
	ds_write_b32 v1, v4 offset:16
	s_waitcnt lgkmcnt(0)
	s_barrier
	s_and_saveexec_b64 s[6:7], vcc
	s_cbranch_execz .LBB255_19
; %bb.18:
	v_subrev_u32_e32 v6, 20, v1
	ds_read_b32 v8, v6
.LBB255_19:
	s_or_b64 exec, exec, s[6:7]
	s_mulk_i32 s4, 0xfd00
	s_add_i32 s4, s4, s14
	v_add_u32_e32 v6, 1, v5
	v_add_u32_e32 v9, 2, v5
	v_cmp_gt_u32_e32 vcc, s4, v6
	v_cndmask_b32_e32 v7, 0, v2, vcc
	v_cmp_gt_u32_e32 vcc, s4, v9
	v_cndmask_b32_e32 v6, 0, v3, vcc
	v_cmp_gt_u32_e32 vcc, s4, v5
	s_waitcnt lgkmcnt(0)
	v_cndmask_b32_e32 v5, 0, v8, vcc
	v_add_u32_e32 v5, v5, v2
.LBB255_20:
	s_cbranch_execnz .LBB255_30
.LBB255_21:
	s_cmp_eq_u64 s[2:3], 1
	v_cmp_ne_u32_e32 vcc, 0, v0
	s_cbranch_scc1 .LBB255_25
; %bb.22:
	v_mov_b32_e32 v5, v2
	ds_write2_b32 v1, v4, v4 offset1:1
	ds_write2_b32 v1, v4, v4 offset0:2 offset1:3
	ds_write_b32 v1, v4 offset:16
	s_waitcnt lgkmcnt(0)
	s_barrier
	s_and_saveexec_b64 s[2:3], vcc
	s_cbranch_execz .LBB255_24
; %bb.23:
	v_subrev_u32_e32 v5, 20, v1
	ds_read_b32 v5, v5
	s_waitcnt lgkmcnt(0)
	v_add_u32_e32 v5, v5, v2
.LBB255_24:
	s_or_b64 exec, exec, s[2:3]
	v_mov_b32_e32 v6, v3
	s_cbranch_execz .LBB255_26
	s_branch .LBB255_29
.LBB255_25:
                                        ; implicit-def: $vgpr5
	v_mov_b32_e32 v6, v3
.LBB255_26:
	v_mul_u32_u24_e32 v5, 3, v0
	v_mad_u32_u24 v6, v0, 3, 1
	v_mad_u32_u24 v7, v0, 3, 2
	v_cmp_ne_u32_e64 s[4:5], 0, v0
	v_cmp_gt_u32_e64 s[6:7], s14, v5
	v_cmp_gt_u32_e32 vcc, s14, v7
	v_cmp_gt_u32_e64 s[2:3], s14, v6
	s_and_b64 s[6:7], s[4:5], s[6:7]
	v_mov_b32_e32 v5, v2
	ds_write2_b32 v1, v4, v4 offset1:1
	ds_write2_b32 v1, v4, v4 offset0:2 offset1:3
	ds_write_b32 v1, v4 offset:16
	s_waitcnt lgkmcnt(0)
	s_barrier
	s_and_saveexec_b64 s[4:5], s[6:7]
	s_cbranch_execz .LBB255_28
; %bb.27:
	v_subrev_u32_e32 v1, 20, v1
	ds_read_b32 v1, v1
	s_waitcnt lgkmcnt(0)
	v_add_u32_e32 v5, v1, v2
.LBB255_28:
	s_or_b64 exec, exec, s[4:5]
	v_cndmask_b32_e64 v2, 0, v2, s[2:3]
	v_cndmask_b32_e32 v6, 0, v3, vcc
.LBB255_29:
	v_mov_b32_e32 v7, v2
.LBB255_30:
	s_add_u32 s5, s12, s24
	s_addc_u32 s4, s13, s23
	v_add_u32_e32 v1, v6, v4
	v_add_u32_e32 v4, v7, v3
	s_and_b64 vcc, exec, s[0:1]
	v_mul_u32_u24_e32 v8, 60, v0
	s_waitcnt lgkmcnt(0)
	s_barrier
	s_cbranch_vccz .LBB255_36
; %bb.31:
	v_mul_i32_i24_e32 v9, 0xffffffd8, v0
	v_mad_u32_u24 v2, v0, 60, v9
	ds_write2_b32 v8, v5, v5 offset1:1
	ds_write2_b32 v8, v5, v5 offset0:2 offset1:3
	ds_write_b32 v8, v5 offset:16
	ds_write2_b32 v8, v4, v4 offset0:5 offset1:6
	ds_write2_b32 v8, v4, v4 offset0:7 offset1:8
	;; [unrolled: 1-line block ×5, first 2 shown]
	s_waitcnt lgkmcnt(0)
	s_barrier
	ds_read2st64_b32 v[2:3], v2 offset0:20 offset1:40
	s_add_i32 s25, s25, s14
	s_add_u32 s0, s5, s22
	s_addc_u32 s1, s4, s15
	v_mad_u64_u32 v[6:7], s[0:1], v0, 20, s[0:1]
	v_cmp_gt_u32_e32 vcc, s25, v0
	s_and_saveexec_b64 s[0:1], vcc
	s_cbranch_execz .LBB255_33
; %bb.32:
	v_add_u32_e32 v9, v8, v9
	ds_read_b32 v10, v9
	s_waitcnt lgkmcnt(0)
	v_mov_b32_e32 v11, v10
	v_mov_b32_e32 v12, v10
	;; [unrolled: 1-line block ×3, first 2 shown]
	global_store_dwordx4 v[6:7], v[10:13], off
	global_store_dword v[6:7], v10, off offset:16
.LBB255_33:
	s_or_b64 exec, exec, s[0:1]
	v_or_b32_e32 v9, 0x100, v0
	v_cmp_gt_u32_e32 vcc, s25, v9
	s_and_saveexec_b64 s[0:1], vcc
	s_cbranch_execz .LBB255_35
; %bb.34:
	v_add_co_u32_e32 v14, vcc, 0x1000, v6
	s_waitcnt lgkmcnt(0)
	v_mov_b32_e32 v10, v2
	v_mov_b32_e32 v11, v2
	;; [unrolled: 1-line block ×4, first 2 shown]
	v_addc_co_u32_e32 v15, vcc, 0, v7, vcc
	global_store_dwordx4 v[14:15], v[10:13], off offset:1024
	global_store_dword v[14:15], v2, off offset:1040
.LBB255_35:
	s_or_b64 exec, exec, s[0:1]
	s_waitcnt lgkmcnt(0)
	v_or_b32_e32 v2, 0x200, v0
	v_cmp_gt_u32_e64 s[0:1], s25, v2
	s_branch .LBB255_38
.LBB255_36:
	s_mov_b64 s[0:1], 0
                                        ; implicit-def: $vgpr3
                                        ; implicit-def: $vgpr6_vgpr7
	s_cbranch_execz .LBB255_38
; %bb.37:
	ds_write2_b32 v8, v5, v5 offset1:1
	ds_write2_b32 v8, v5, v5 offset0:2 offset1:3
	ds_write_b32 v8, v5 offset:16
	ds_write2_b32 v8, v4, v4 offset0:5 offset1:6
	ds_write2_b32 v8, v4, v4 offset0:7 offset1:8
	;; [unrolled: 1-line block ×5, first 2 shown]
	v_mul_i32_i24_e32 v1, 0xffffffd8, v0
	v_mad_u32_u24 v1, v0, 60, v1
	s_waitcnt lgkmcnt(0)
	s_barrier
	ds_read2st64_b32 v[8:9], v1 offset1:20
	s_add_u32 s2, s5, s22
	ds_read_b32 v3, v1 offset:10240
	s_addc_u32 s3, s4, s15
	v_mad_u64_u32 v[6:7], s[2:3], v0, 20, s[2:3]
	s_waitcnt lgkmcnt(1)
	v_mov_b32_e32 v10, v8
	v_mov_b32_e32 v11, v8
	;; [unrolled: 1-line block ×4, first 2 shown]
	v_add_co_u32_e32 v0, vcc, 0x1000, v6
	global_store_dwordx4 v[6:7], v[10:13], off
	global_store_dword v[6:7], v8, off offset:16
	v_mov_b32_e32 v8, v9
	v_mov_b32_e32 v10, v9
	;; [unrolled: 1-line block ×3, first 2 shown]
	v_addc_co_u32_e32 v1, vcc, 0, v7, vcc
	s_or_b64 s[0:1], s[0:1], exec
	global_store_dwordx4 v[0:1], v[8:11], off offset:1024
	global_store_dword v[0:1], v9, off offset:1040
.LBB255_38:
	s_and_saveexec_b64 s[2:3], s[0:1]
	s_cbranch_execnz .LBB255_40
; %bb.39:
	s_endpgm
.LBB255_40:
	v_add_co_u32_e32 v0, vcc, 0x2000, v6
	s_waitcnt lgkmcnt(0)
	v_mov_b32_e32 v2, v3
	v_mov_b32_e32 v4, v3
	;; [unrolled: 1-line block ×3, first 2 shown]
	v_addc_co_u32_e32 v1, vcc, 0, v7, vcc
	global_store_dwordx4 v[0:1], v[2:5], off offset:2048
	global_store_dword v[0:1], v3, off offset:2064
	s_endpgm
	.section	.rodata,"a",@progbits
	.p2align	6, 0x0
	.amdhsa_kernel _ZN7rocprim17ROCPRIM_400000_NS6detail17trampoline_kernelINS0_14default_configENS1_35adjacent_difference_config_selectorILb1E14custom_numericEEZNS1_24adjacent_difference_implIS3_Lb1ELb0EPS5_S8_N6thrust23THRUST_200600_302600_NS4plusIS5_EEEE10hipError_tPvRmT2_T3_mT4_P12ihipStream_tbEUlT_E_NS1_11comp_targetILNS1_3genE4ELNS1_11target_archE910ELNS1_3gpuE8ELNS1_3repE0EEENS1_30default_config_static_selectorELNS0_4arch9wavefront6targetE1EEEvT1_
		.amdhsa_group_segment_fixed_size 15360
		.amdhsa_private_segment_fixed_size 0
		.amdhsa_kernarg_size 56
		.amdhsa_user_sgpr_count 6
		.amdhsa_user_sgpr_private_segment_buffer 1
		.amdhsa_user_sgpr_dispatch_ptr 0
		.amdhsa_user_sgpr_queue_ptr 0
		.amdhsa_user_sgpr_kernarg_segment_ptr 1
		.amdhsa_user_sgpr_dispatch_id 0
		.amdhsa_user_sgpr_flat_scratch_init 0
		.amdhsa_user_sgpr_kernarg_preload_length 0
		.amdhsa_user_sgpr_kernarg_preload_offset 0
		.amdhsa_user_sgpr_private_segment_size 0
		.amdhsa_uses_dynamic_stack 0
		.amdhsa_system_sgpr_private_segment_wavefront_offset 0
		.amdhsa_system_sgpr_workgroup_id_x 1
		.amdhsa_system_sgpr_workgroup_id_y 0
		.amdhsa_system_sgpr_workgroup_id_z 0
		.amdhsa_system_sgpr_workgroup_info 0
		.amdhsa_system_vgpr_workitem_id 0
		.amdhsa_next_free_vgpr 16
		.amdhsa_next_free_sgpr 30
		.amdhsa_accum_offset 16
		.amdhsa_reserve_vcc 1
		.amdhsa_reserve_flat_scratch 0
		.amdhsa_float_round_mode_32 0
		.amdhsa_float_round_mode_16_64 0
		.amdhsa_float_denorm_mode_32 3
		.amdhsa_float_denorm_mode_16_64 3
		.amdhsa_dx10_clamp 1
		.amdhsa_ieee_mode 1
		.amdhsa_fp16_overflow 0
		.amdhsa_tg_split 0
		.amdhsa_exception_fp_ieee_invalid_op 0
		.amdhsa_exception_fp_denorm_src 0
		.amdhsa_exception_fp_ieee_div_zero 0
		.amdhsa_exception_fp_ieee_overflow 0
		.amdhsa_exception_fp_ieee_underflow 0
		.amdhsa_exception_fp_ieee_inexact 0
		.amdhsa_exception_int_div_zero 0
	.end_amdhsa_kernel
	.section	.text._ZN7rocprim17ROCPRIM_400000_NS6detail17trampoline_kernelINS0_14default_configENS1_35adjacent_difference_config_selectorILb1E14custom_numericEEZNS1_24adjacent_difference_implIS3_Lb1ELb0EPS5_S8_N6thrust23THRUST_200600_302600_NS4plusIS5_EEEE10hipError_tPvRmT2_T3_mT4_P12ihipStream_tbEUlT_E_NS1_11comp_targetILNS1_3genE4ELNS1_11target_archE910ELNS1_3gpuE8ELNS1_3repE0EEENS1_30default_config_static_selectorELNS0_4arch9wavefront6targetE1EEEvT1_,"axG",@progbits,_ZN7rocprim17ROCPRIM_400000_NS6detail17trampoline_kernelINS0_14default_configENS1_35adjacent_difference_config_selectorILb1E14custom_numericEEZNS1_24adjacent_difference_implIS3_Lb1ELb0EPS5_S8_N6thrust23THRUST_200600_302600_NS4plusIS5_EEEE10hipError_tPvRmT2_T3_mT4_P12ihipStream_tbEUlT_E_NS1_11comp_targetILNS1_3genE4ELNS1_11target_archE910ELNS1_3gpuE8ELNS1_3repE0EEENS1_30default_config_static_selectorELNS0_4arch9wavefront6targetE1EEEvT1_,comdat
.Lfunc_end255:
	.size	_ZN7rocprim17ROCPRIM_400000_NS6detail17trampoline_kernelINS0_14default_configENS1_35adjacent_difference_config_selectorILb1E14custom_numericEEZNS1_24adjacent_difference_implIS3_Lb1ELb0EPS5_S8_N6thrust23THRUST_200600_302600_NS4plusIS5_EEEE10hipError_tPvRmT2_T3_mT4_P12ihipStream_tbEUlT_E_NS1_11comp_targetILNS1_3genE4ELNS1_11target_archE910ELNS1_3gpuE8ELNS1_3repE0EEENS1_30default_config_static_selectorELNS0_4arch9wavefront6targetE1EEEvT1_, .Lfunc_end255-_ZN7rocprim17ROCPRIM_400000_NS6detail17trampoline_kernelINS0_14default_configENS1_35adjacent_difference_config_selectorILb1E14custom_numericEEZNS1_24adjacent_difference_implIS3_Lb1ELb0EPS5_S8_N6thrust23THRUST_200600_302600_NS4plusIS5_EEEE10hipError_tPvRmT2_T3_mT4_P12ihipStream_tbEUlT_E_NS1_11comp_targetILNS1_3genE4ELNS1_11target_archE910ELNS1_3gpuE8ELNS1_3repE0EEENS1_30default_config_static_selectorELNS0_4arch9wavefront6targetE1EEEvT1_
                                        ; -- End function
	.section	.AMDGPU.csdata,"",@progbits
; Kernel info:
; codeLenInByte = 2096
; NumSgprs: 34
; NumVgprs: 16
; NumAgprs: 0
; TotalNumVgprs: 16
; ScratchSize: 0
; MemoryBound: 0
; FloatMode: 240
; IeeeMode: 1
; LDSByteSize: 15360 bytes/workgroup (compile time only)
; SGPRBlocks: 4
; VGPRBlocks: 1
; NumSGPRsForWavesPerEU: 34
; NumVGPRsForWavesPerEU: 16
; AccumOffset: 16
; Occupancy: 4
; WaveLimiterHint : 1
; COMPUTE_PGM_RSRC2:SCRATCH_EN: 0
; COMPUTE_PGM_RSRC2:USER_SGPR: 6
; COMPUTE_PGM_RSRC2:TRAP_HANDLER: 0
; COMPUTE_PGM_RSRC2:TGID_X_EN: 1
; COMPUTE_PGM_RSRC2:TGID_Y_EN: 0
; COMPUTE_PGM_RSRC2:TGID_Z_EN: 0
; COMPUTE_PGM_RSRC2:TIDIG_COMP_CNT: 0
; COMPUTE_PGM_RSRC3_GFX90A:ACCUM_OFFSET: 3
; COMPUTE_PGM_RSRC3_GFX90A:TG_SPLIT: 0
	.section	.text._ZN7rocprim17ROCPRIM_400000_NS6detail17trampoline_kernelINS0_14default_configENS1_35adjacent_difference_config_selectorILb1E14custom_numericEEZNS1_24adjacent_difference_implIS3_Lb1ELb0EPS5_S8_N6thrust23THRUST_200600_302600_NS4plusIS5_EEEE10hipError_tPvRmT2_T3_mT4_P12ihipStream_tbEUlT_E_NS1_11comp_targetILNS1_3genE3ELNS1_11target_archE908ELNS1_3gpuE7ELNS1_3repE0EEENS1_30default_config_static_selectorELNS0_4arch9wavefront6targetE1EEEvT1_,"axG",@progbits,_ZN7rocprim17ROCPRIM_400000_NS6detail17trampoline_kernelINS0_14default_configENS1_35adjacent_difference_config_selectorILb1E14custom_numericEEZNS1_24adjacent_difference_implIS3_Lb1ELb0EPS5_S8_N6thrust23THRUST_200600_302600_NS4plusIS5_EEEE10hipError_tPvRmT2_T3_mT4_P12ihipStream_tbEUlT_E_NS1_11comp_targetILNS1_3genE3ELNS1_11target_archE908ELNS1_3gpuE7ELNS1_3repE0EEENS1_30default_config_static_selectorELNS0_4arch9wavefront6targetE1EEEvT1_,comdat
	.protected	_ZN7rocprim17ROCPRIM_400000_NS6detail17trampoline_kernelINS0_14default_configENS1_35adjacent_difference_config_selectorILb1E14custom_numericEEZNS1_24adjacent_difference_implIS3_Lb1ELb0EPS5_S8_N6thrust23THRUST_200600_302600_NS4plusIS5_EEEE10hipError_tPvRmT2_T3_mT4_P12ihipStream_tbEUlT_E_NS1_11comp_targetILNS1_3genE3ELNS1_11target_archE908ELNS1_3gpuE7ELNS1_3repE0EEENS1_30default_config_static_selectorELNS0_4arch9wavefront6targetE1EEEvT1_ ; -- Begin function _ZN7rocprim17ROCPRIM_400000_NS6detail17trampoline_kernelINS0_14default_configENS1_35adjacent_difference_config_selectorILb1E14custom_numericEEZNS1_24adjacent_difference_implIS3_Lb1ELb0EPS5_S8_N6thrust23THRUST_200600_302600_NS4plusIS5_EEEE10hipError_tPvRmT2_T3_mT4_P12ihipStream_tbEUlT_E_NS1_11comp_targetILNS1_3genE3ELNS1_11target_archE908ELNS1_3gpuE7ELNS1_3repE0EEENS1_30default_config_static_selectorELNS0_4arch9wavefront6targetE1EEEvT1_
	.globl	_ZN7rocprim17ROCPRIM_400000_NS6detail17trampoline_kernelINS0_14default_configENS1_35adjacent_difference_config_selectorILb1E14custom_numericEEZNS1_24adjacent_difference_implIS3_Lb1ELb0EPS5_S8_N6thrust23THRUST_200600_302600_NS4plusIS5_EEEE10hipError_tPvRmT2_T3_mT4_P12ihipStream_tbEUlT_E_NS1_11comp_targetILNS1_3genE3ELNS1_11target_archE908ELNS1_3gpuE7ELNS1_3repE0EEENS1_30default_config_static_selectorELNS0_4arch9wavefront6targetE1EEEvT1_
	.p2align	8
	.type	_ZN7rocprim17ROCPRIM_400000_NS6detail17trampoline_kernelINS0_14default_configENS1_35adjacent_difference_config_selectorILb1E14custom_numericEEZNS1_24adjacent_difference_implIS3_Lb1ELb0EPS5_S8_N6thrust23THRUST_200600_302600_NS4plusIS5_EEEE10hipError_tPvRmT2_T3_mT4_P12ihipStream_tbEUlT_E_NS1_11comp_targetILNS1_3genE3ELNS1_11target_archE908ELNS1_3gpuE7ELNS1_3repE0EEENS1_30default_config_static_selectorELNS0_4arch9wavefront6targetE1EEEvT1_,@function
_ZN7rocprim17ROCPRIM_400000_NS6detail17trampoline_kernelINS0_14default_configENS1_35adjacent_difference_config_selectorILb1E14custom_numericEEZNS1_24adjacent_difference_implIS3_Lb1ELb0EPS5_S8_N6thrust23THRUST_200600_302600_NS4plusIS5_EEEE10hipError_tPvRmT2_T3_mT4_P12ihipStream_tbEUlT_E_NS1_11comp_targetILNS1_3genE3ELNS1_11target_archE908ELNS1_3gpuE7ELNS1_3repE0EEENS1_30default_config_static_selectorELNS0_4arch9wavefront6targetE1EEEvT1_: ; @_ZN7rocprim17ROCPRIM_400000_NS6detail17trampoline_kernelINS0_14default_configENS1_35adjacent_difference_config_selectorILb1E14custom_numericEEZNS1_24adjacent_difference_implIS3_Lb1ELb0EPS5_S8_N6thrust23THRUST_200600_302600_NS4plusIS5_EEEE10hipError_tPvRmT2_T3_mT4_P12ihipStream_tbEUlT_E_NS1_11comp_targetILNS1_3genE3ELNS1_11target_archE908ELNS1_3gpuE7ELNS1_3repE0EEENS1_30default_config_static_selectorELNS0_4arch9wavefront6targetE1EEEvT1_
; %bb.0:
	.section	.rodata,"a",@progbits
	.p2align	6, 0x0
	.amdhsa_kernel _ZN7rocprim17ROCPRIM_400000_NS6detail17trampoline_kernelINS0_14default_configENS1_35adjacent_difference_config_selectorILb1E14custom_numericEEZNS1_24adjacent_difference_implIS3_Lb1ELb0EPS5_S8_N6thrust23THRUST_200600_302600_NS4plusIS5_EEEE10hipError_tPvRmT2_T3_mT4_P12ihipStream_tbEUlT_E_NS1_11comp_targetILNS1_3genE3ELNS1_11target_archE908ELNS1_3gpuE7ELNS1_3repE0EEENS1_30default_config_static_selectorELNS0_4arch9wavefront6targetE1EEEvT1_
		.amdhsa_group_segment_fixed_size 0
		.amdhsa_private_segment_fixed_size 0
		.amdhsa_kernarg_size 56
		.amdhsa_user_sgpr_count 6
		.amdhsa_user_sgpr_private_segment_buffer 1
		.amdhsa_user_sgpr_dispatch_ptr 0
		.amdhsa_user_sgpr_queue_ptr 0
		.amdhsa_user_sgpr_kernarg_segment_ptr 1
		.amdhsa_user_sgpr_dispatch_id 0
		.amdhsa_user_sgpr_flat_scratch_init 0
		.amdhsa_user_sgpr_kernarg_preload_length 0
		.amdhsa_user_sgpr_kernarg_preload_offset 0
		.amdhsa_user_sgpr_private_segment_size 0
		.amdhsa_uses_dynamic_stack 0
		.amdhsa_system_sgpr_private_segment_wavefront_offset 0
		.amdhsa_system_sgpr_workgroup_id_x 1
		.amdhsa_system_sgpr_workgroup_id_y 0
		.amdhsa_system_sgpr_workgroup_id_z 0
		.amdhsa_system_sgpr_workgroup_info 0
		.amdhsa_system_vgpr_workitem_id 0
		.amdhsa_next_free_vgpr 1
		.amdhsa_next_free_sgpr 0
		.amdhsa_accum_offset 4
		.amdhsa_reserve_vcc 0
		.amdhsa_reserve_flat_scratch 0
		.amdhsa_float_round_mode_32 0
		.amdhsa_float_round_mode_16_64 0
		.amdhsa_float_denorm_mode_32 3
		.amdhsa_float_denorm_mode_16_64 3
		.amdhsa_dx10_clamp 1
		.amdhsa_ieee_mode 1
		.amdhsa_fp16_overflow 0
		.amdhsa_tg_split 0
		.amdhsa_exception_fp_ieee_invalid_op 0
		.amdhsa_exception_fp_denorm_src 0
		.amdhsa_exception_fp_ieee_div_zero 0
		.amdhsa_exception_fp_ieee_overflow 0
		.amdhsa_exception_fp_ieee_underflow 0
		.amdhsa_exception_fp_ieee_inexact 0
		.amdhsa_exception_int_div_zero 0
	.end_amdhsa_kernel
	.section	.text._ZN7rocprim17ROCPRIM_400000_NS6detail17trampoline_kernelINS0_14default_configENS1_35adjacent_difference_config_selectorILb1E14custom_numericEEZNS1_24adjacent_difference_implIS3_Lb1ELb0EPS5_S8_N6thrust23THRUST_200600_302600_NS4plusIS5_EEEE10hipError_tPvRmT2_T3_mT4_P12ihipStream_tbEUlT_E_NS1_11comp_targetILNS1_3genE3ELNS1_11target_archE908ELNS1_3gpuE7ELNS1_3repE0EEENS1_30default_config_static_selectorELNS0_4arch9wavefront6targetE1EEEvT1_,"axG",@progbits,_ZN7rocprim17ROCPRIM_400000_NS6detail17trampoline_kernelINS0_14default_configENS1_35adjacent_difference_config_selectorILb1E14custom_numericEEZNS1_24adjacent_difference_implIS3_Lb1ELb0EPS5_S8_N6thrust23THRUST_200600_302600_NS4plusIS5_EEEE10hipError_tPvRmT2_T3_mT4_P12ihipStream_tbEUlT_E_NS1_11comp_targetILNS1_3genE3ELNS1_11target_archE908ELNS1_3gpuE7ELNS1_3repE0EEENS1_30default_config_static_selectorELNS0_4arch9wavefront6targetE1EEEvT1_,comdat
.Lfunc_end256:
	.size	_ZN7rocprim17ROCPRIM_400000_NS6detail17trampoline_kernelINS0_14default_configENS1_35adjacent_difference_config_selectorILb1E14custom_numericEEZNS1_24adjacent_difference_implIS3_Lb1ELb0EPS5_S8_N6thrust23THRUST_200600_302600_NS4plusIS5_EEEE10hipError_tPvRmT2_T3_mT4_P12ihipStream_tbEUlT_E_NS1_11comp_targetILNS1_3genE3ELNS1_11target_archE908ELNS1_3gpuE7ELNS1_3repE0EEENS1_30default_config_static_selectorELNS0_4arch9wavefront6targetE1EEEvT1_, .Lfunc_end256-_ZN7rocprim17ROCPRIM_400000_NS6detail17trampoline_kernelINS0_14default_configENS1_35adjacent_difference_config_selectorILb1E14custom_numericEEZNS1_24adjacent_difference_implIS3_Lb1ELb0EPS5_S8_N6thrust23THRUST_200600_302600_NS4plusIS5_EEEE10hipError_tPvRmT2_T3_mT4_P12ihipStream_tbEUlT_E_NS1_11comp_targetILNS1_3genE3ELNS1_11target_archE908ELNS1_3gpuE7ELNS1_3repE0EEENS1_30default_config_static_selectorELNS0_4arch9wavefront6targetE1EEEvT1_
                                        ; -- End function
	.section	.AMDGPU.csdata,"",@progbits
; Kernel info:
; codeLenInByte = 0
; NumSgprs: 4
; NumVgprs: 0
; NumAgprs: 0
; TotalNumVgprs: 0
; ScratchSize: 0
; MemoryBound: 0
; FloatMode: 240
; IeeeMode: 1
; LDSByteSize: 0 bytes/workgroup (compile time only)
; SGPRBlocks: 0
; VGPRBlocks: 0
; NumSGPRsForWavesPerEU: 4
; NumVGPRsForWavesPerEU: 1
; AccumOffset: 4
; Occupancy: 8
; WaveLimiterHint : 0
; COMPUTE_PGM_RSRC2:SCRATCH_EN: 0
; COMPUTE_PGM_RSRC2:USER_SGPR: 6
; COMPUTE_PGM_RSRC2:TRAP_HANDLER: 0
; COMPUTE_PGM_RSRC2:TGID_X_EN: 1
; COMPUTE_PGM_RSRC2:TGID_Y_EN: 0
; COMPUTE_PGM_RSRC2:TGID_Z_EN: 0
; COMPUTE_PGM_RSRC2:TIDIG_COMP_CNT: 0
; COMPUTE_PGM_RSRC3_GFX90A:ACCUM_OFFSET: 0
; COMPUTE_PGM_RSRC3_GFX90A:TG_SPLIT: 0
	.section	.text._ZN7rocprim17ROCPRIM_400000_NS6detail17trampoline_kernelINS0_14default_configENS1_35adjacent_difference_config_selectorILb1E14custom_numericEEZNS1_24adjacent_difference_implIS3_Lb1ELb0EPS5_S8_N6thrust23THRUST_200600_302600_NS4plusIS5_EEEE10hipError_tPvRmT2_T3_mT4_P12ihipStream_tbEUlT_E_NS1_11comp_targetILNS1_3genE2ELNS1_11target_archE906ELNS1_3gpuE6ELNS1_3repE0EEENS1_30default_config_static_selectorELNS0_4arch9wavefront6targetE1EEEvT1_,"axG",@progbits,_ZN7rocprim17ROCPRIM_400000_NS6detail17trampoline_kernelINS0_14default_configENS1_35adjacent_difference_config_selectorILb1E14custom_numericEEZNS1_24adjacent_difference_implIS3_Lb1ELb0EPS5_S8_N6thrust23THRUST_200600_302600_NS4plusIS5_EEEE10hipError_tPvRmT2_T3_mT4_P12ihipStream_tbEUlT_E_NS1_11comp_targetILNS1_3genE2ELNS1_11target_archE906ELNS1_3gpuE6ELNS1_3repE0EEENS1_30default_config_static_selectorELNS0_4arch9wavefront6targetE1EEEvT1_,comdat
	.protected	_ZN7rocprim17ROCPRIM_400000_NS6detail17trampoline_kernelINS0_14default_configENS1_35adjacent_difference_config_selectorILb1E14custom_numericEEZNS1_24adjacent_difference_implIS3_Lb1ELb0EPS5_S8_N6thrust23THRUST_200600_302600_NS4plusIS5_EEEE10hipError_tPvRmT2_T3_mT4_P12ihipStream_tbEUlT_E_NS1_11comp_targetILNS1_3genE2ELNS1_11target_archE906ELNS1_3gpuE6ELNS1_3repE0EEENS1_30default_config_static_selectorELNS0_4arch9wavefront6targetE1EEEvT1_ ; -- Begin function _ZN7rocprim17ROCPRIM_400000_NS6detail17trampoline_kernelINS0_14default_configENS1_35adjacent_difference_config_selectorILb1E14custom_numericEEZNS1_24adjacent_difference_implIS3_Lb1ELb0EPS5_S8_N6thrust23THRUST_200600_302600_NS4plusIS5_EEEE10hipError_tPvRmT2_T3_mT4_P12ihipStream_tbEUlT_E_NS1_11comp_targetILNS1_3genE2ELNS1_11target_archE906ELNS1_3gpuE6ELNS1_3repE0EEENS1_30default_config_static_selectorELNS0_4arch9wavefront6targetE1EEEvT1_
	.globl	_ZN7rocprim17ROCPRIM_400000_NS6detail17trampoline_kernelINS0_14default_configENS1_35adjacent_difference_config_selectorILb1E14custom_numericEEZNS1_24adjacent_difference_implIS3_Lb1ELb0EPS5_S8_N6thrust23THRUST_200600_302600_NS4plusIS5_EEEE10hipError_tPvRmT2_T3_mT4_P12ihipStream_tbEUlT_E_NS1_11comp_targetILNS1_3genE2ELNS1_11target_archE906ELNS1_3gpuE6ELNS1_3repE0EEENS1_30default_config_static_selectorELNS0_4arch9wavefront6targetE1EEEvT1_
	.p2align	8
	.type	_ZN7rocprim17ROCPRIM_400000_NS6detail17trampoline_kernelINS0_14default_configENS1_35adjacent_difference_config_selectorILb1E14custom_numericEEZNS1_24adjacent_difference_implIS3_Lb1ELb0EPS5_S8_N6thrust23THRUST_200600_302600_NS4plusIS5_EEEE10hipError_tPvRmT2_T3_mT4_P12ihipStream_tbEUlT_E_NS1_11comp_targetILNS1_3genE2ELNS1_11target_archE906ELNS1_3gpuE6ELNS1_3repE0EEENS1_30default_config_static_selectorELNS0_4arch9wavefront6targetE1EEEvT1_,@function
_ZN7rocprim17ROCPRIM_400000_NS6detail17trampoline_kernelINS0_14default_configENS1_35adjacent_difference_config_selectorILb1E14custom_numericEEZNS1_24adjacent_difference_implIS3_Lb1ELb0EPS5_S8_N6thrust23THRUST_200600_302600_NS4plusIS5_EEEE10hipError_tPvRmT2_T3_mT4_P12ihipStream_tbEUlT_E_NS1_11comp_targetILNS1_3genE2ELNS1_11target_archE906ELNS1_3gpuE6ELNS1_3repE0EEENS1_30default_config_static_selectorELNS0_4arch9wavefront6targetE1EEEvT1_: ; @_ZN7rocprim17ROCPRIM_400000_NS6detail17trampoline_kernelINS0_14default_configENS1_35adjacent_difference_config_selectorILb1E14custom_numericEEZNS1_24adjacent_difference_implIS3_Lb1ELb0EPS5_S8_N6thrust23THRUST_200600_302600_NS4plusIS5_EEEE10hipError_tPvRmT2_T3_mT4_P12ihipStream_tbEUlT_E_NS1_11comp_targetILNS1_3genE2ELNS1_11target_archE906ELNS1_3gpuE6ELNS1_3repE0EEENS1_30default_config_static_selectorELNS0_4arch9wavefront6targetE1EEEvT1_
; %bb.0:
	.section	.rodata,"a",@progbits
	.p2align	6, 0x0
	.amdhsa_kernel _ZN7rocprim17ROCPRIM_400000_NS6detail17trampoline_kernelINS0_14default_configENS1_35adjacent_difference_config_selectorILb1E14custom_numericEEZNS1_24adjacent_difference_implIS3_Lb1ELb0EPS5_S8_N6thrust23THRUST_200600_302600_NS4plusIS5_EEEE10hipError_tPvRmT2_T3_mT4_P12ihipStream_tbEUlT_E_NS1_11comp_targetILNS1_3genE2ELNS1_11target_archE906ELNS1_3gpuE6ELNS1_3repE0EEENS1_30default_config_static_selectorELNS0_4arch9wavefront6targetE1EEEvT1_
		.amdhsa_group_segment_fixed_size 0
		.amdhsa_private_segment_fixed_size 0
		.amdhsa_kernarg_size 56
		.amdhsa_user_sgpr_count 6
		.amdhsa_user_sgpr_private_segment_buffer 1
		.amdhsa_user_sgpr_dispatch_ptr 0
		.amdhsa_user_sgpr_queue_ptr 0
		.amdhsa_user_sgpr_kernarg_segment_ptr 1
		.amdhsa_user_sgpr_dispatch_id 0
		.amdhsa_user_sgpr_flat_scratch_init 0
		.amdhsa_user_sgpr_kernarg_preload_length 0
		.amdhsa_user_sgpr_kernarg_preload_offset 0
		.amdhsa_user_sgpr_private_segment_size 0
		.amdhsa_uses_dynamic_stack 0
		.amdhsa_system_sgpr_private_segment_wavefront_offset 0
		.amdhsa_system_sgpr_workgroup_id_x 1
		.amdhsa_system_sgpr_workgroup_id_y 0
		.amdhsa_system_sgpr_workgroup_id_z 0
		.amdhsa_system_sgpr_workgroup_info 0
		.amdhsa_system_vgpr_workitem_id 0
		.amdhsa_next_free_vgpr 1
		.amdhsa_next_free_sgpr 0
		.amdhsa_accum_offset 4
		.amdhsa_reserve_vcc 0
		.amdhsa_reserve_flat_scratch 0
		.amdhsa_float_round_mode_32 0
		.amdhsa_float_round_mode_16_64 0
		.amdhsa_float_denorm_mode_32 3
		.amdhsa_float_denorm_mode_16_64 3
		.amdhsa_dx10_clamp 1
		.amdhsa_ieee_mode 1
		.amdhsa_fp16_overflow 0
		.amdhsa_tg_split 0
		.amdhsa_exception_fp_ieee_invalid_op 0
		.amdhsa_exception_fp_denorm_src 0
		.amdhsa_exception_fp_ieee_div_zero 0
		.amdhsa_exception_fp_ieee_overflow 0
		.amdhsa_exception_fp_ieee_underflow 0
		.amdhsa_exception_fp_ieee_inexact 0
		.amdhsa_exception_int_div_zero 0
	.end_amdhsa_kernel
	.section	.text._ZN7rocprim17ROCPRIM_400000_NS6detail17trampoline_kernelINS0_14default_configENS1_35adjacent_difference_config_selectorILb1E14custom_numericEEZNS1_24adjacent_difference_implIS3_Lb1ELb0EPS5_S8_N6thrust23THRUST_200600_302600_NS4plusIS5_EEEE10hipError_tPvRmT2_T3_mT4_P12ihipStream_tbEUlT_E_NS1_11comp_targetILNS1_3genE2ELNS1_11target_archE906ELNS1_3gpuE6ELNS1_3repE0EEENS1_30default_config_static_selectorELNS0_4arch9wavefront6targetE1EEEvT1_,"axG",@progbits,_ZN7rocprim17ROCPRIM_400000_NS6detail17trampoline_kernelINS0_14default_configENS1_35adjacent_difference_config_selectorILb1E14custom_numericEEZNS1_24adjacent_difference_implIS3_Lb1ELb0EPS5_S8_N6thrust23THRUST_200600_302600_NS4plusIS5_EEEE10hipError_tPvRmT2_T3_mT4_P12ihipStream_tbEUlT_E_NS1_11comp_targetILNS1_3genE2ELNS1_11target_archE906ELNS1_3gpuE6ELNS1_3repE0EEENS1_30default_config_static_selectorELNS0_4arch9wavefront6targetE1EEEvT1_,comdat
.Lfunc_end257:
	.size	_ZN7rocprim17ROCPRIM_400000_NS6detail17trampoline_kernelINS0_14default_configENS1_35adjacent_difference_config_selectorILb1E14custom_numericEEZNS1_24adjacent_difference_implIS3_Lb1ELb0EPS5_S8_N6thrust23THRUST_200600_302600_NS4plusIS5_EEEE10hipError_tPvRmT2_T3_mT4_P12ihipStream_tbEUlT_E_NS1_11comp_targetILNS1_3genE2ELNS1_11target_archE906ELNS1_3gpuE6ELNS1_3repE0EEENS1_30default_config_static_selectorELNS0_4arch9wavefront6targetE1EEEvT1_, .Lfunc_end257-_ZN7rocprim17ROCPRIM_400000_NS6detail17trampoline_kernelINS0_14default_configENS1_35adjacent_difference_config_selectorILb1E14custom_numericEEZNS1_24adjacent_difference_implIS3_Lb1ELb0EPS5_S8_N6thrust23THRUST_200600_302600_NS4plusIS5_EEEE10hipError_tPvRmT2_T3_mT4_P12ihipStream_tbEUlT_E_NS1_11comp_targetILNS1_3genE2ELNS1_11target_archE906ELNS1_3gpuE6ELNS1_3repE0EEENS1_30default_config_static_selectorELNS0_4arch9wavefront6targetE1EEEvT1_
                                        ; -- End function
	.section	.AMDGPU.csdata,"",@progbits
; Kernel info:
; codeLenInByte = 0
; NumSgprs: 4
; NumVgprs: 0
; NumAgprs: 0
; TotalNumVgprs: 0
; ScratchSize: 0
; MemoryBound: 0
; FloatMode: 240
; IeeeMode: 1
; LDSByteSize: 0 bytes/workgroup (compile time only)
; SGPRBlocks: 0
; VGPRBlocks: 0
; NumSGPRsForWavesPerEU: 4
; NumVGPRsForWavesPerEU: 1
; AccumOffset: 4
; Occupancy: 8
; WaveLimiterHint : 0
; COMPUTE_PGM_RSRC2:SCRATCH_EN: 0
; COMPUTE_PGM_RSRC2:USER_SGPR: 6
; COMPUTE_PGM_RSRC2:TRAP_HANDLER: 0
; COMPUTE_PGM_RSRC2:TGID_X_EN: 1
; COMPUTE_PGM_RSRC2:TGID_Y_EN: 0
; COMPUTE_PGM_RSRC2:TGID_Z_EN: 0
; COMPUTE_PGM_RSRC2:TIDIG_COMP_CNT: 0
; COMPUTE_PGM_RSRC3_GFX90A:ACCUM_OFFSET: 0
; COMPUTE_PGM_RSRC3_GFX90A:TG_SPLIT: 0
	.section	.text._ZN7rocprim17ROCPRIM_400000_NS6detail17trampoline_kernelINS0_14default_configENS1_35adjacent_difference_config_selectorILb1E14custom_numericEEZNS1_24adjacent_difference_implIS3_Lb1ELb0EPS5_S8_N6thrust23THRUST_200600_302600_NS4plusIS5_EEEE10hipError_tPvRmT2_T3_mT4_P12ihipStream_tbEUlT_E_NS1_11comp_targetILNS1_3genE9ELNS1_11target_archE1100ELNS1_3gpuE3ELNS1_3repE0EEENS1_30default_config_static_selectorELNS0_4arch9wavefront6targetE1EEEvT1_,"axG",@progbits,_ZN7rocprim17ROCPRIM_400000_NS6detail17trampoline_kernelINS0_14default_configENS1_35adjacent_difference_config_selectorILb1E14custom_numericEEZNS1_24adjacent_difference_implIS3_Lb1ELb0EPS5_S8_N6thrust23THRUST_200600_302600_NS4plusIS5_EEEE10hipError_tPvRmT2_T3_mT4_P12ihipStream_tbEUlT_E_NS1_11comp_targetILNS1_3genE9ELNS1_11target_archE1100ELNS1_3gpuE3ELNS1_3repE0EEENS1_30default_config_static_selectorELNS0_4arch9wavefront6targetE1EEEvT1_,comdat
	.protected	_ZN7rocprim17ROCPRIM_400000_NS6detail17trampoline_kernelINS0_14default_configENS1_35adjacent_difference_config_selectorILb1E14custom_numericEEZNS1_24adjacent_difference_implIS3_Lb1ELb0EPS5_S8_N6thrust23THRUST_200600_302600_NS4plusIS5_EEEE10hipError_tPvRmT2_T3_mT4_P12ihipStream_tbEUlT_E_NS1_11comp_targetILNS1_3genE9ELNS1_11target_archE1100ELNS1_3gpuE3ELNS1_3repE0EEENS1_30default_config_static_selectorELNS0_4arch9wavefront6targetE1EEEvT1_ ; -- Begin function _ZN7rocprim17ROCPRIM_400000_NS6detail17trampoline_kernelINS0_14default_configENS1_35adjacent_difference_config_selectorILb1E14custom_numericEEZNS1_24adjacent_difference_implIS3_Lb1ELb0EPS5_S8_N6thrust23THRUST_200600_302600_NS4plusIS5_EEEE10hipError_tPvRmT2_T3_mT4_P12ihipStream_tbEUlT_E_NS1_11comp_targetILNS1_3genE9ELNS1_11target_archE1100ELNS1_3gpuE3ELNS1_3repE0EEENS1_30default_config_static_selectorELNS0_4arch9wavefront6targetE1EEEvT1_
	.globl	_ZN7rocprim17ROCPRIM_400000_NS6detail17trampoline_kernelINS0_14default_configENS1_35adjacent_difference_config_selectorILb1E14custom_numericEEZNS1_24adjacent_difference_implIS3_Lb1ELb0EPS5_S8_N6thrust23THRUST_200600_302600_NS4plusIS5_EEEE10hipError_tPvRmT2_T3_mT4_P12ihipStream_tbEUlT_E_NS1_11comp_targetILNS1_3genE9ELNS1_11target_archE1100ELNS1_3gpuE3ELNS1_3repE0EEENS1_30default_config_static_selectorELNS0_4arch9wavefront6targetE1EEEvT1_
	.p2align	8
	.type	_ZN7rocprim17ROCPRIM_400000_NS6detail17trampoline_kernelINS0_14default_configENS1_35adjacent_difference_config_selectorILb1E14custom_numericEEZNS1_24adjacent_difference_implIS3_Lb1ELb0EPS5_S8_N6thrust23THRUST_200600_302600_NS4plusIS5_EEEE10hipError_tPvRmT2_T3_mT4_P12ihipStream_tbEUlT_E_NS1_11comp_targetILNS1_3genE9ELNS1_11target_archE1100ELNS1_3gpuE3ELNS1_3repE0EEENS1_30default_config_static_selectorELNS0_4arch9wavefront6targetE1EEEvT1_,@function
_ZN7rocprim17ROCPRIM_400000_NS6detail17trampoline_kernelINS0_14default_configENS1_35adjacent_difference_config_selectorILb1E14custom_numericEEZNS1_24adjacent_difference_implIS3_Lb1ELb0EPS5_S8_N6thrust23THRUST_200600_302600_NS4plusIS5_EEEE10hipError_tPvRmT2_T3_mT4_P12ihipStream_tbEUlT_E_NS1_11comp_targetILNS1_3genE9ELNS1_11target_archE1100ELNS1_3gpuE3ELNS1_3repE0EEENS1_30default_config_static_selectorELNS0_4arch9wavefront6targetE1EEEvT1_: ; @_ZN7rocprim17ROCPRIM_400000_NS6detail17trampoline_kernelINS0_14default_configENS1_35adjacent_difference_config_selectorILb1E14custom_numericEEZNS1_24adjacent_difference_implIS3_Lb1ELb0EPS5_S8_N6thrust23THRUST_200600_302600_NS4plusIS5_EEEE10hipError_tPvRmT2_T3_mT4_P12ihipStream_tbEUlT_E_NS1_11comp_targetILNS1_3genE9ELNS1_11target_archE1100ELNS1_3gpuE3ELNS1_3repE0EEENS1_30default_config_static_selectorELNS0_4arch9wavefront6targetE1EEEvT1_
; %bb.0:
	.section	.rodata,"a",@progbits
	.p2align	6, 0x0
	.amdhsa_kernel _ZN7rocprim17ROCPRIM_400000_NS6detail17trampoline_kernelINS0_14default_configENS1_35adjacent_difference_config_selectorILb1E14custom_numericEEZNS1_24adjacent_difference_implIS3_Lb1ELb0EPS5_S8_N6thrust23THRUST_200600_302600_NS4plusIS5_EEEE10hipError_tPvRmT2_T3_mT4_P12ihipStream_tbEUlT_E_NS1_11comp_targetILNS1_3genE9ELNS1_11target_archE1100ELNS1_3gpuE3ELNS1_3repE0EEENS1_30default_config_static_selectorELNS0_4arch9wavefront6targetE1EEEvT1_
		.amdhsa_group_segment_fixed_size 0
		.amdhsa_private_segment_fixed_size 0
		.amdhsa_kernarg_size 56
		.amdhsa_user_sgpr_count 6
		.amdhsa_user_sgpr_private_segment_buffer 1
		.amdhsa_user_sgpr_dispatch_ptr 0
		.amdhsa_user_sgpr_queue_ptr 0
		.amdhsa_user_sgpr_kernarg_segment_ptr 1
		.amdhsa_user_sgpr_dispatch_id 0
		.amdhsa_user_sgpr_flat_scratch_init 0
		.amdhsa_user_sgpr_kernarg_preload_length 0
		.amdhsa_user_sgpr_kernarg_preload_offset 0
		.amdhsa_user_sgpr_private_segment_size 0
		.amdhsa_uses_dynamic_stack 0
		.amdhsa_system_sgpr_private_segment_wavefront_offset 0
		.amdhsa_system_sgpr_workgroup_id_x 1
		.amdhsa_system_sgpr_workgroup_id_y 0
		.amdhsa_system_sgpr_workgroup_id_z 0
		.amdhsa_system_sgpr_workgroup_info 0
		.amdhsa_system_vgpr_workitem_id 0
		.amdhsa_next_free_vgpr 1
		.amdhsa_next_free_sgpr 0
		.amdhsa_accum_offset 4
		.amdhsa_reserve_vcc 0
		.amdhsa_reserve_flat_scratch 0
		.amdhsa_float_round_mode_32 0
		.amdhsa_float_round_mode_16_64 0
		.amdhsa_float_denorm_mode_32 3
		.amdhsa_float_denorm_mode_16_64 3
		.amdhsa_dx10_clamp 1
		.amdhsa_ieee_mode 1
		.amdhsa_fp16_overflow 0
		.amdhsa_tg_split 0
		.amdhsa_exception_fp_ieee_invalid_op 0
		.amdhsa_exception_fp_denorm_src 0
		.amdhsa_exception_fp_ieee_div_zero 0
		.amdhsa_exception_fp_ieee_overflow 0
		.amdhsa_exception_fp_ieee_underflow 0
		.amdhsa_exception_fp_ieee_inexact 0
		.amdhsa_exception_int_div_zero 0
	.end_amdhsa_kernel
	.section	.text._ZN7rocprim17ROCPRIM_400000_NS6detail17trampoline_kernelINS0_14default_configENS1_35adjacent_difference_config_selectorILb1E14custom_numericEEZNS1_24adjacent_difference_implIS3_Lb1ELb0EPS5_S8_N6thrust23THRUST_200600_302600_NS4plusIS5_EEEE10hipError_tPvRmT2_T3_mT4_P12ihipStream_tbEUlT_E_NS1_11comp_targetILNS1_3genE9ELNS1_11target_archE1100ELNS1_3gpuE3ELNS1_3repE0EEENS1_30default_config_static_selectorELNS0_4arch9wavefront6targetE1EEEvT1_,"axG",@progbits,_ZN7rocprim17ROCPRIM_400000_NS6detail17trampoline_kernelINS0_14default_configENS1_35adjacent_difference_config_selectorILb1E14custom_numericEEZNS1_24adjacent_difference_implIS3_Lb1ELb0EPS5_S8_N6thrust23THRUST_200600_302600_NS4plusIS5_EEEE10hipError_tPvRmT2_T3_mT4_P12ihipStream_tbEUlT_E_NS1_11comp_targetILNS1_3genE9ELNS1_11target_archE1100ELNS1_3gpuE3ELNS1_3repE0EEENS1_30default_config_static_selectorELNS0_4arch9wavefront6targetE1EEEvT1_,comdat
.Lfunc_end258:
	.size	_ZN7rocprim17ROCPRIM_400000_NS6detail17trampoline_kernelINS0_14default_configENS1_35adjacent_difference_config_selectorILb1E14custom_numericEEZNS1_24adjacent_difference_implIS3_Lb1ELb0EPS5_S8_N6thrust23THRUST_200600_302600_NS4plusIS5_EEEE10hipError_tPvRmT2_T3_mT4_P12ihipStream_tbEUlT_E_NS1_11comp_targetILNS1_3genE9ELNS1_11target_archE1100ELNS1_3gpuE3ELNS1_3repE0EEENS1_30default_config_static_selectorELNS0_4arch9wavefront6targetE1EEEvT1_, .Lfunc_end258-_ZN7rocprim17ROCPRIM_400000_NS6detail17trampoline_kernelINS0_14default_configENS1_35adjacent_difference_config_selectorILb1E14custom_numericEEZNS1_24adjacent_difference_implIS3_Lb1ELb0EPS5_S8_N6thrust23THRUST_200600_302600_NS4plusIS5_EEEE10hipError_tPvRmT2_T3_mT4_P12ihipStream_tbEUlT_E_NS1_11comp_targetILNS1_3genE9ELNS1_11target_archE1100ELNS1_3gpuE3ELNS1_3repE0EEENS1_30default_config_static_selectorELNS0_4arch9wavefront6targetE1EEEvT1_
                                        ; -- End function
	.section	.AMDGPU.csdata,"",@progbits
; Kernel info:
; codeLenInByte = 0
; NumSgprs: 4
; NumVgprs: 0
; NumAgprs: 0
; TotalNumVgprs: 0
; ScratchSize: 0
; MemoryBound: 0
; FloatMode: 240
; IeeeMode: 1
; LDSByteSize: 0 bytes/workgroup (compile time only)
; SGPRBlocks: 0
; VGPRBlocks: 0
; NumSGPRsForWavesPerEU: 4
; NumVGPRsForWavesPerEU: 1
; AccumOffset: 4
; Occupancy: 8
; WaveLimiterHint : 0
; COMPUTE_PGM_RSRC2:SCRATCH_EN: 0
; COMPUTE_PGM_RSRC2:USER_SGPR: 6
; COMPUTE_PGM_RSRC2:TRAP_HANDLER: 0
; COMPUTE_PGM_RSRC2:TGID_X_EN: 1
; COMPUTE_PGM_RSRC2:TGID_Y_EN: 0
; COMPUTE_PGM_RSRC2:TGID_Z_EN: 0
; COMPUTE_PGM_RSRC2:TIDIG_COMP_CNT: 0
; COMPUTE_PGM_RSRC3_GFX90A:ACCUM_OFFSET: 0
; COMPUTE_PGM_RSRC3_GFX90A:TG_SPLIT: 0
	.section	.text._ZN7rocprim17ROCPRIM_400000_NS6detail17trampoline_kernelINS0_14default_configENS1_35adjacent_difference_config_selectorILb1E14custom_numericEEZNS1_24adjacent_difference_implIS3_Lb1ELb0EPS5_S8_N6thrust23THRUST_200600_302600_NS4plusIS5_EEEE10hipError_tPvRmT2_T3_mT4_P12ihipStream_tbEUlT_E_NS1_11comp_targetILNS1_3genE8ELNS1_11target_archE1030ELNS1_3gpuE2ELNS1_3repE0EEENS1_30default_config_static_selectorELNS0_4arch9wavefront6targetE1EEEvT1_,"axG",@progbits,_ZN7rocprim17ROCPRIM_400000_NS6detail17trampoline_kernelINS0_14default_configENS1_35adjacent_difference_config_selectorILb1E14custom_numericEEZNS1_24adjacent_difference_implIS3_Lb1ELb0EPS5_S8_N6thrust23THRUST_200600_302600_NS4plusIS5_EEEE10hipError_tPvRmT2_T3_mT4_P12ihipStream_tbEUlT_E_NS1_11comp_targetILNS1_3genE8ELNS1_11target_archE1030ELNS1_3gpuE2ELNS1_3repE0EEENS1_30default_config_static_selectorELNS0_4arch9wavefront6targetE1EEEvT1_,comdat
	.protected	_ZN7rocprim17ROCPRIM_400000_NS6detail17trampoline_kernelINS0_14default_configENS1_35adjacent_difference_config_selectorILb1E14custom_numericEEZNS1_24adjacent_difference_implIS3_Lb1ELb0EPS5_S8_N6thrust23THRUST_200600_302600_NS4plusIS5_EEEE10hipError_tPvRmT2_T3_mT4_P12ihipStream_tbEUlT_E_NS1_11comp_targetILNS1_3genE8ELNS1_11target_archE1030ELNS1_3gpuE2ELNS1_3repE0EEENS1_30default_config_static_selectorELNS0_4arch9wavefront6targetE1EEEvT1_ ; -- Begin function _ZN7rocprim17ROCPRIM_400000_NS6detail17trampoline_kernelINS0_14default_configENS1_35adjacent_difference_config_selectorILb1E14custom_numericEEZNS1_24adjacent_difference_implIS3_Lb1ELb0EPS5_S8_N6thrust23THRUST_200600_302600_NS4plusIS5_EEEE10hipError_tPvRmT2_T3_mT4_P12ihipStream_tbEUlT_E_NS1_11comp_targetILNS1_3genE8ELNS1_11target_archE1030ELNS1_3gpuE2ELNS1_3repE0EEENS1_30default_config_static_selectorELNS0_4arch9wavefront6targetE1EEEvT1_
	.globl	_ZN7rocprim17ROCPRIM_400000_NS6detail17trampoline_kernelINS0_14default_configENS1_35adjacent_difference_config_selectorILb1E14custom_numericEEZNS1_24adjacent_difference_implIS3_Lb1ELb0EPS5_S8_N6thrust23THRUST_200600_302600_NS4plusIS5_EEEE10hipError_tPvRmT2_T3_mT4_P12ihipStream_tbEUlT_E_NS1_11comp_targetILNS1_3genE8ELNS1_11target_archE1030ELNS1_3gpuE2ELNS1_3repE0EEENS1_30default_config_static_selectorELNS0_4arch9wavefront6targetE1EEEvT1_
	.p2align	8
	.type	_ZN7rocprim17ROCPRIM_400000_NS6detail17trampoline_kernelINS0_14default_configENS1_35adjacent_difference_config_selectorILb1E14custom_numericEEZNS1_24adjacent_difference_implIS3_Lb1ELb0EPS5_S8_N6thrust23THRUST_200600_302600_NS4plusIS5_EEEE10hipError_tPvRmT2_T3_mT4_P12ihipStream_tbEUlT_E_NS1_11comp_targetILNS1_3genE8ELNS1_11target_archE1030ELNS1_3gpuE2ELNS1_3repE0EEENS1_30default_config_static_selectorELNS0_4arch9wavefront6targetE1EEEvT1_,@function
_ZN7rocprim17ROCPRIM_400000_NS6detail17trampoline_kernelINS0_14default_configENS1_35adjacent_difference_config_selectorILb1E14custom_numericEEZNS1_24adjacent_difference_implIS3_Lb1ELb0EPS5_S8_N6thrust23THRUST_200600_302600_NS4plusIS5_EEEE10hipError_tPvRmT2_T3_mT4_P12ihipStream_tbEUlT_E_NS1_11comp_targetILNS1_3genE8ELNS1_11target_archE1030ELNS1_3gpuE2ELNS1_3repE0EEENS1_30default_config_static_selectorELNS0_4arch9wavefront6targetE1EEEvT1_: ; @_ZN7rocprim17ROCPRIM_400000_NS6detail17trampoline_kernelINS0_14default_configENS1_35adjacent_difference_config_selectorILb1E14custom_numericEEZNS1_24adjacent_difference_implIS3_Lb1ELb0EPS5_S8_N6thrust23THRUST_200600_302600_NS4plusIS5_EEEE10hipError_tPvRmT2_T3_mT4_P12ihipStream_tbEUlT_E_NS1_11comp_targetILNS1_3genE8ELNS1_11target_archE1030ELNS1_3gpuE2ELNS1_3repE0EEENS1_30default_config_static_selectorELNS0_4arch9wavefront6targetE1EEEvT1_
; %bb.0:
	.section	.rodata,"a",@progbits
	.p2align	6, 0x0
	.amdhsa_kernel _ZN7rocprim17ROCPRIM_400000_NS6detail17trampoline_kernelINS0_14default_configENS1_35adjacent_difference_config_selectorILb1E14custom_numericEEZNS1_24adjacent_difference_implIS3_Lb1ELb0EPS5_S8_N6thrust23THRUST_200600_302600_NS4plusIS5_EEEE10hipError_tPvRmT2_T3_mT4_P12ihipStream_tbEUlT_E_NS1_11comp_targetILNS1_3genE8ELNS1_11target_archE1030ELNS1_3gpuE2ELNS1_3repE0EEENS1_30default_config_static_selectorELNS0_4arch9wavefront6targetE1EEEvT1_
		.amdhsa_group_segment_fixed_size 0
		.amdhsa_private_segment_fixed_size 0
		.amdhsa_kernarg_size 56
		.amdhsa_user_sgpr_count 6
		.amdhsa_user_sgpr_private_segment_buffer 1
		.amdhsa_user_sgpr_dispatch_ptr 0
		.amdhsa_user_sgpr_queue_ptr 0
		.amdhsa_user_sgpr_kernarg_segment_ptr 1
		.amdhsa_user_sgpr_dispatch_id 0
		.amdhsa_user_sgpr_flat_scratch_init 0
		.amdhsa_user_sgpr_kernarg_preload_length 0
		.amdhsa_user_sgpr_kernarg_preload_offset 0
		.amdhsa_user_sgpr_private_segment_size 0
		.amdhsa_uses_dynamic_stack 0
		.amdhsa_system_sgpr_private_segment_wavefront_offset 0
		.amdhsa_system_sgpr_workgroup_id_x 1
		.amdhsa_system_sgpr_workgroup_id_y 0
		.amdhsa_system_sgpr_workgroup_id_z 0
		.amdhsa_system_sgpr_workgroup_info 0
		.amdhsa_system_vgpr_workitem_id 0
		.amdhsa_next_free_vgpr 1
		.amdhsa_next_free_sgpr 0
		.amdhsa_accum_offset 4
		.amdhsa_reserve_vcc 0
		.amdhsa_reserve_flat_scratch 0
		.amdhsa_float_round_mode_32 0
		.amdhsa_float_round_mode_16_64 0
		.amdhsa_float_denorm_mode_32 3
		.amdhsa_float_denorm_mode_16_64 3
		.amdhsa_dx10_clamp 1
		.amdhsa_ieee_mode 1
		.amdhsa_fp16_overflow 0
		.amdhsa_tg_split 0
		.amdhsa_exception_fp_ieee_invalid_op 0
		.amdhsa_exception_fp_denorm_src 0
		.amdhsa_exception_fp_ieee_div_zero 0
		.amdhsa_exception_fp_ieee_overflow 0
		.amdhsa_exception_fp_ieee_underflow 0
		.amdhsa_exception_fp_ieee_inexact 0
		.amdhsa_exception_int_div_zero 0
	.end_amdhsa_kernel
	.section	.text._ZN7rocprim17ROCPRIM_400000_NS6detail17trampoline_kernelINS0_14default_configENS1_35adjacent_difference_config_selectorILb1E14custom_numericEEZNS1_24adjacent_difference_implIS3_Lb1ELb0EPS5_S8_N6thrust23THRUST_200600_302600_NS4plusIS5_EEEE10hipError_tPvRmT2_T3_mT4_P12ihipStream_tbEUlT_E_NS1_11comp_targetILNS1_3genE8ELNS1_11target_archE1030ELNS1_3gpuE2ELNS1_3repE0EEENS1_30default_config_static_selectorELNS0_4arch9wavefront6targetE1EEEvT1_,"axG",@progbits,_ZN7rocprim17ROCPRIM_400000_NS6detail17trampoline_kernelINS0_14default_configENS1_35adjacent_difference_config_selectorILb1E14custom_numericEEZNS1_24adjacent_difference_implIS3_Lb1ELb0EPS5_S8_N6thrust23THRUST_200600_302600_NS4plusIS5_EEEE10hipError_tPvRmT2_T3_mT4_P12ihipStream_tbEUlT_E_NS1_11comp_targetILNS1_3genE8ELNS1_11target_archE1030ELNS1_3gpuE2ELNS1_3repE0EEENS1_30default_config_static_selectorELNS0_4arch9wavefront6targetE1EEEvT1_,comdat
.Lfunc_end259:
	.size	_ZN7rocprim17ROCPRIM_400000_NS6detail17trampoline_kernelINS0_14default_configENS1_35adjacent_difference_config_selectorILb1E14custom_numericEEZNS1_24adjacent_difference_implIS3_Lb1ELb0EPS5_S8_N6thrust23THRUST_200600_302600_NS4plusIS5_EEEE10hipError_tPvRmT2_T3_mT4_P12ihipStream_tbEUlT_E_NS1_11comp_targetILNS1_3genE8ELNS1_11target_archE1030ELNS1_3gpuE2ELNS1_3repE0EEENS1_30default_config_static_selectorELNS0_4arch9wavefront6targetE1EEEvT1_, .Lfunc_end259-_ZN7rocprim17ROCPRIM_400000_NS6detail17trampoline_kernelINS0_14default_configENS1_35adjacent_difference_config_selectorILb1E14custom_numericEEZNS1_24adjacent_difference_implIS3_Lb1ELb0EPS5_S8_N6thrust23THRUST_200600_302600_NS4plusIS5_EEEE10hipError_tPvRmT2_T3_mT4_P12ihipStream_tbEUlT_E_NS1_11comp_targetILNS1_3genE8ELNS1_11target_archE1030ELNS1_3gpuE2ELNS1_3repE0EEENS1_30default_config_static_selectorELNS0_4arch9wavefront6targetE1EEEvT1_
                                        ; -- End function
	.section	.AMDGPU.csdata,"",@progbits
; Kernel info:
; codeLenInByte = 0
; NumSgprs: 4
; NumVgprs: 0
; NumAgprs: 0
; TotalNumVgprs: 0
; ScratchSize: 0
; MemoryBound: 0
; FloatMode: 240
; IeeeMode: 1
; LDSByteSize: 0 bytes/workgroup (compile time only)
; SGPRBlocks: 0
; VGPRBlocks: 0
; NumSGPRsForWavesPerEU: 4
; NumVGPRsForWavesPerEU: 1
; AccumOffset: 4
; Occupancy: 8
; WaveLimiterHint : 0
; COMPUTE_PGM_RSRC2:SCRATCH_EN: 0
; COMPUTE_PGM_RSRC2:USER_SGPR: 6
; COMPUTE_PGM_RSRC2:TRAP_HANDLER: 0
; COMPUTE_PGM_RSRC2:TGID_X_EN: 1
; COMPUTE_PGM_RSRC2:TGID_Y_EN: 0
; COMPUTE_PGM_RSRC2:TGID_Z_EN: 0
; COMPUTE_PGM_RSRC2:TIDIG_COMP_CNT: 0
; COMPUTE_PGM_RSRC3_GFX90A:ACCUM_OFFSET: 0
; COMPUTE_PGM_RSRC3_GFX90A:TG_SPLIT: 0
	.section	.text._ZN6thrust23THRUST_200600_302600_NS11hip_rocprim14__parallel_for6kernelILj256ENS1_20__uninitialized_fill7functorINS0_7pointerIiNS1_3tagENS0_16tagged_referenceIiS7_EENS0_11use_defaultEEEiEEmLj1EEEvT0_T1_SE_,"axG",@progbits,_ZN6thrust23THRUST_200600_302600_NS11hip_rocprim14__parallel_for6kernelILj256ENS1_20__uninitialized_fill7functorINS0_7pointerIiNS1_3tagENS0_16tagged_referenceIiS7_EENS0_11use_defaultEEEiEEmLj1EEEvT0_T1_SE_,comdat
	.protected	_ZN6thrust23THRUST_200600_302600_NS11hip_rocprim14__parallel_for6kernelILj256ENS1_20__uninitialized_fill7functorINS0_7pointerIiNS1_3tagENS0_16tagged_referenceIiS7_EENS0_11use_defaultEEEiEEmLj1EEEvT0_T1_SE_ ; -- Begin function _ZN6thrust23THRUST_200600_302600_NS11hip_rocprim14__parallel_for6kernelILj256ENS1_20__uninitialized_fill7functorINS0_7pointerIiNS1_3tagENS0_16tagged_referenceIiS7_EENS0_11use_defaultEEEiEEmLj1EEEvT0_T1_SE_
	.globl	_ZN6thrust23THRUST_200600_302600_NS11hip_rocprim14__parallel_for6kernelILj256ENS1_20__uninitialized_fill7functorINS0_7pointerIiNS1_3tagENS0_16tagged_referenceIiS7_EENS0_11use_defaultEEEiEEmLj1EEEvT0_T1_SE_
	.p2align	8
	.type	_ZN6thrust23THRUST_200600_302600_NS11hip_rocprim14__parallel_for6kernelILj256ENS1_20__uninitialized_fill7functorINS0_7pointerIiNS1_3tagENS0_16tagged_referenceIiS7_EENS0_11use_defaultEEEiEEmLj1EEEvT0_T1_SE_,@function
_ZN6thrust23THRUST_200600_302600_NS11hip_rocprim14__parallel_for6kernelILj256ENS1_20__uninitialized_fill7functorINS0_7pointerIiNS1_3tagENS0_16tagged_referenceIiS7_EENS0_11use_defaultEEEiEEmLj1EEEvT0_T1_SE_: ; @_ZN6thrust23THRUST_200600_302600_NS11hip_rocprim14__parallel_for6kernelILj256ENS1_20__uninitialized_fill7functorINS0_7pointerIiNS1_3tagENS0_16tagged_referenceIiS7_EENS0_11use_defaultEEEiEEmLj1EEEvT0_T1_SE_
; %bb.0:
	s_load_dwordx4 s[8:11], s[4:5], 0x10
	s_lshl_b32 s0, s6, 8
	v_mov_b32_e32 v2, 0x100
	v_mov_b32_e32 v3, 0
	s_waitcnt lgkmcnt(0)
	s_add_u32 s0, s0, s10
	s_addc_u32 s1, 0, s11
	s_sub_u32 s2, s8, s0
	s_subb_u32 s3, s9, s1
	v_cmp_lt_u64_e32 vcc, s[2:3], v[2:3]
	s_cbranch_vccz .LBB260_2
; %bb.1:
	v_cmp_gt_u32_e32 vcc, s2, v0
	s_and_b64 s[2:3], vcc, exec
	s_cbranch_execz .LBB260_3
	s_branch .LBB260_4
.LBB260_2:
	s_mov_b64 s[2:3], 0
.LBB260_3:
	s_or_b64 s[2:3], s[2:3], exec
.LBB260_4:
	s_and_saveexec_b64 s[6:7], s[2:3]
	s_cbranch_execnz .LBB260_6
; %bb.5:
	s_endpgm
.LBB260_6:
	s_load_dwordx2 s[2:3], s[4:5], 0x0
	s_load_dword s6, s[4:5], 0x8
	s_lshl_b64 s[0:1], s[0:1], 2
	v_mov_b32_e32 v1, 0
	v_lshlrev_b64 v[0:1], 2, v[0:1]
	s_waitcnt lgkmcnt(0)
	s_add_u32 s0, s2, s0
	s_addc_u32 s1, s3, s1
	v_mov_b32_e32 v2, s1
	v_add_co_u32_e32 v0, vcc, s0, v0
	v_addc_co_u32_e32 v1, vcc, v2, v1, vcc
	v_mov_b32_e32 v2, s6
	flat_store_dword v[0:1], v2
	s_endpgm
	.section	.rodata,"a",@progbits
	.p2align	6, 0x0
	.amdhsa_kernel _ZN6thrust23THRUST_200600_302600_NS11hip_rocprim14__parallel_for6kernelILj256ENS1_20__uninitialized_fill7functorINS0_7pointerIiNS1_3tagENS0_16tagged_referenceIiS7_EENS0_11use_defaultEEEiEEmLj1EEEvT0_T1_SE_
		.amdhsa_group_segment_fixed_size 0
		.amdhsa_private_segment_fixed_size 0
		.amdhsa_kernarg_size 32
		.amdhsa_user_sgpr_count 6
		.amdhsa_user_sgpr_private_segment_buffer 1
		.amdhsa_user_sgpr_dispatch_ptr 0
		.amdhsa_user_sgpr_queue_ptr 0
		.amdhsa_user_sgpr_kernarg_segment_ptr 1
		.amdhsa_user_sgpr_dispatch_id 0
		.amdhsa_user_sgpr_flat_scratch_init 0
		.amdhsa_user_sgpr_kernarg_preload_length 0
		.amdhsa_user_sgpr_kernarg_preload_offset 0
		.amdhsa_user_sgpr_private_segment_size 0
		.amdhsa_uses_dynamic_stack 0
		.amdhsa_system_sgpr_private_segment_wavefront_offset 0
		.amdhsa_system_sgpr_workgroup_id_x 1
		.amdhsa_system_sgpr_workgroup_id_y 0
		.amdhsa_system_sgpr_workgroup_id_z 0
		.amdhsa_system_sgpr_workgroup_info 0
		.amdhsa_system_vgpr_workitem_id 0
		.amdhsa_next_free_vgpr 4
		.amdhsa_next_free_sgpr 12
		.amdhsa_accum_offset 4
		.amdhsa_reserve_vcc 1
		.amdhsa_reserve_flat_scratch 0
		.amdhsa_float_round_mode_32 0
		.amdhsa_float_round_mode_16_64 0
		.amdhsa_float_denorm_mode_32 3
		.amdhsa_float_denorm_mode_16_64 3
		.amdhsa_dx10_clamp 1
		.amdhsa_ieee_mode 1
		.amdhsa_fp16_overflow 0
		.amdhsa_tg_split 0
		.amdhsa_exception_fp_ieee_invalid_op 0
		.amdhsa_exception_fp_denorm_src 0
		.amdhsa_exception_fp_ieee_div_zero 0
		.amdhsa_exception_fp_ieee_overflow 0
		.amdhsa_exception_fp_ieee_underflow 0
		.amdhsa_exception_fp_ieee_inexact 0
		.amdhsa_exception_int_div_zero 0
	.end_amdhsa_kernel
	.section	.text._ZN6thrust23THRUST_200600_302600_NS11hip_rocprim14__parallel_for6kernelILj256ENS1_20__uninitialized_fill7functorINS0_7pointerIiNS1_3tagENS0_16tagged_referenceIiS7_EENS0_11use_defaultEEEiEEmLj1EEEvT0_T1_SE_,"axG",@progbits,_ZN6thrust23THRUST_200600_302600_NS11hip_rocprim14__parallel_for6kernelILj256ENS1_20__uninitialized_fill7functorINS0_7pointerIiNS1_3tagENS0_16tagged_referenceIiS7_EENS0_11use_defaultEEEiEEmLj1EEEvT0_T1_SE_,comdat
.Lfunc_end260:
	.size	_ZN6thrust23THRUST_200600_302600_NS11hip_rocprim14__parallel_for6kernelILj256ENS1_20__uninitialized_fill7functorINS0_7pointerIiNS1_3tagENS0_16tagged_referenceIiS7_EENS0_11use_defaultEEEiEEmLj1EEEvT0_T1_SE_, .Lfunc_end260-_ZN6thrust23THRUST_200600_302600_NS11hip_rocprim14__parallel_for6kernelILj256ENS1_20__uninitialized_fill7functorINS0_7pointerIiNS1_3tagENS0_16tagged_referenceIiS7_EENS0_11use_defaultEEEiEEmLj1EEEvT0_T1_SE_
                                        ; -- End function
	.section	.AMDGPU.csdata,"",@progbits
; Kernel info:
; codeLenInByte = 160
; NumSgprs: 16
; NumVgprs: 4
; NumAgprs: 0
; TotalNumVgprs: 4
; ScratchSize: 0
; MemoryBound: 0
; FloatMode: 240
; IeeeMode: 1
; LDSByteSize: 0 bytes/workgroup (compile time only)
; SGPRBlocks: 1
; VGPRBlocks: 0
; NumSGPRsForWavesPerEU: 16
; NumVGPRsForWavesPerEU: 4
; AccumOffset: 4
; Occupancy: 8
; WaveLimiterHint : 0
; COMPUTE_PGM_RSRC2:SCRATCH_EN: 0
; COMPUTE_PGM_RSRC2:USER_SGPR: 6
; COMPUTE_PGM_RSRC2:TRAP_HANDLER: 0
; COMPUTE_PGM_RSRC2:TGID_X_EN: 1
; COMPUTE_PGM_RSRC2:TGID_Y_EN: 0
; COMPUTE_PGM_RSRC2:TGID_Z_EN: 0
; COMPUTE_PGM_RSRC2:TIDIG_COMP_CNT: 0
; COMPUTE_PGM_RSRC3_GFX90A:ACCUM_OFFSET: 0
; COMPUTE_PGM_RSRC3_GFX90A:TG_SPLIT: 0
	.section	.text._ZN6thrust23THRUST_200600_302600_NS11hip_rocprim14__parallel_for6kernelILj256ENS1_20__uninitialized_fill7functorINS0_7pointerIiNS1_3tagERiNS0_11use_defaultEEEiEEmLj1EEEvT0_T1_SD_,"axG",@progbits,_ZN6thrust23THRUST_200600_302600_NS11hip_rocprim14__parallel_for6kernelILj256ENS1_20__uninitialized_fill7functorINS0_7pointerIiNS1_3tagERiNS0_11use_defaultEEEiEEmLj1EEEvT0_T1_SD_,comdat
	.protected	_ZN6thrust23THRUST_200600_302600_NS11hip_rocprim14__parallel_for6kernelILj256ENS1_20__uninitialized_fill7functorINS0_7pointerIiNS1_3tagERiNS0_11use_defaultEEEiEEmLj1EEEvT0_T1_SD_ ; -- Begin function _ZN6thrust23THRUST_200600_302600_NS11hip_rocprim14__parallel_for6kernelILj256ENS1_20__uninitialized_fill7functorINS0_7pointerIiNS1_3tagERiNS0_11use_defaultEEEiEEmLj1EEEvT0_T1_SD_
	.globl	_ZN6thrust23THRUST_200600_302600_NS11hip_rocprim14__parallel_for6kernelILj256ENS1_20__uninitialized_fill7functorINS0_7pointerIiNS1_3tagERiNS0_11use_defaultEEEiEEmLj1EEEvT0_T1_SD_
	.p2align	8
	.type	_ZN6thrust23THRUST_200600_302600_NS11hip_rocprim14__parallel_for6kernelILj256ENS1_20__uninitialized_fill7functorINS0_7pointerIiNS1_3tagERiNS0_11use_defaultEEEiEEmLj1EEEvT0_T1_SD_,@function
_ZN6thrust23THRUST_200600_302600_NS11hip_rocprim14__parallel_for6kernelILj256ENS1_20__uninitialized_fill7functorINS0_7pointerIiNS1_3tagERiNS0_11use_defaultEEEiEEmLj1EEEvT0_T1_SD_: ; @_ZN6thrust23THRUST_200600_302600_NS11hip_rocprim14__parallel_for6kernelILj256ENS1_20__uninitialized_fill7functorINS0_7pointerIiNS1_3tagERiNS0_11use_defaultEEEiEEmLj1EEEvT0_T1_SD_
; %bb.0:
	s_load_dwordx4 s[8:11], s[4:5], 0x10
	s_lshl_b32 s0, s6, 8
	v_mov_b32_e32 v2, 0x100
	v_mov_b32_e32 v3, 0
	s_waitcnt lgkmcnt(0)
	s_add_u32 s0, s0, s10
	s_addc_u32 s1, 0, s11
	s_sub_u32 s2, s8, s0
	s_subb_u32 s3, s9, s1
	v_cmp_lt_u64_e32 vcc, s[2:3], v[2:3]
	s_cbranch_vccz .LBB261_2
; %bb.1:
	v_cmp_gt_u32_e32 vcc, s2, v0
	s_and_b64 s[2:3], vcc, exec
	s_cbranch_execz .LBB261_3
	s_branch .LBB261_4
.LBB261_2:
	s_mov_b64 s[2:3], 0
.LBB261_3:
	s_or_b64 s[2:3], s[2:3], exec
.LBB261_4:
	s_and_saveexec_b64 s[6:7], s[2:3]
	s_cbranch_execnz .LBB261_6
; %bb.5:
	s_endpgm
.LBB261_6:
	s_load_dwordx2 s[2:3], s[4:5], 0x0
	s_load_dword s6, s[4:5], 0x8
	s_lshl_b64 s[0:1], s[0:1], 2
	v_mov_b32_e32 v1, 0
	v_lshlrev_b64 v[0:1], 2, v[0:1]
	s_waitcnt lgkmcnt(0)
	s_add_u32 s0, s2, s0
	s_addc_u32 s1, s3, s1
	v_mov_b32_e32 v2, s1
	v_add_co_u32_e32 v0, vcc, s0, v0
	v_addc_co_u32_e32 v1, vcc, v2, v1, vcc
	v_mov_b32_e32 v2, s6
	flat_store_dword v[0:1], v2
	s_endpgm
	.section	.rodata,"a",@progbits
	.p2align	6, 0x0
	.amdhsa_kernel _ZN6thrust23THRUST_200600_302600_NS11hip_rocprim14__parallel_for6kernelILj256ENS1_20__uninitialized_fill7functorINS0_7pointerIiNS1_3tagERiNS0_11use_defaultEEEiEEmLj1EEEvT0_T1_SD_
		.amdhsa_group_segment_fixed_size 0
		.amdhsa_private_segment_fixed_size 0
		.amdhsa_kernarg_size 32
		.amdhsa_user_sgpr_count 6
		.amdhsa_user_sgpr_private_segment_buffer 1
		.amdhsa_user_sgpr_dispatch_ptr 0
		.amdhsa_user_sgpr_queue_ptr 0
		.amdhsa_user_sgpr_kernarg_segment_ptr 1
		.amdhsa_user_sgpr_dispatch_id 0
		.amdhsa_user_sgpr_flat_scratch_init 0
		.amdhsa_user_sgpr_kernarg_preload_length 0
		.amdhsa_user_sgpr_kernarg_preload_offset 0
		.amdhsa_user_sgpr_private_segment_size 0
		.amdhsa_uses_dynamic_stack 0
		.amdhsa_system_sgpr_private_segment_wavefront_offset 0
		.amdhsa_system_sgpr_workgroup_id_x 1
		.amdhsa_system_sgpr_workgroup_id_y 0
		.amdhsa_system_sgpr_workgroup_id_z 0
		.amdhsa_system_sgpr_workgroup_info 0
		.amdhsa_system_vgpr_workitem_id 0
		.amdhsa_next_free_vgpr 4
		.amdhsa_next_free_sgpr 12
		.amdhsa_accum_offset 4
		.amdhsa_reserve_vcc 1
		.amdhsa_reserve_flat_scratch 0
		.amdhsa_float_round_mode_32 0
		.amdhsa_float_round_mode_16_64 0
		.amdhsa_float_denorm_mode_32 3
		.amdhsa_float_denorm_mode_16_64 3
		.amdhsa_dx10_clamp 1
		.amdhsa_ieee_mode 1
		.amdhsa_fp16_overflow 0
		.amdhsa_tg_split 0
		.amdhsa_exception_fp_ieee_invalid_op 0
		.amdhsa_exception_fp_denorm_src 0
		.amdhsa_exception_fp_ieee_div_zero 0
		.amdhsa_exception_fp_ieee_overflow 0
		.amdhsa_exception_fp_ieee_underflow 0
		.amdhsa_exception_fp_ieee_inexact 0
		.amdhsa_exception_int_div_zero 0
	.end_amdhsa_kernel
	.section	.text._ZN6thrust23THRUST_200600_302600_NS11hip_rocprim14__parallel_for6kernelILj256ENS1_20__uninitialized_fill7functorINS0_7pointerIiNS1_3tagERiNS0_11use_defaultEEEiEEmLj1EEEvT0_T1_SD_,"axG",@progbits,_ZN6thrust23THRUST_200600_302600_NS11hip_rocprim14__parallel_for6kernelILj256ENS1_20__uninitialized_fill7functorINS0_7pointerIiNS1_3tagERiNS0_11use_defaultEEEiEEmLj1EEEvT0_T1_SD_,comdat
.Lfunc_end261:
	.size	_ZN6thrust23THRUST_200600_302600_NS11hip_rocprim14__parallel_for6kernelILj256ENS1_20__uninitialized_fill7functorINS0_7pointerIiNS1_3tagERiNS0_11use_defaultEEEiEEmLj1EEEvT0_T1_SD_, .Lfunc_end261-_ZN6thrust23THRUST_200600_302600_NS11hip_rocprim14__parallel_for6kernelILj256ENS1_20__uninitialized_fill7functorINS0_7pointerIiNS1_3tagERiNS0_11use_defaultEEEiEEmLj1EEEvT0_T1_SD_
                                        ; -- End function
	.section	.AMDGPU.csdata,"",@progbits
; Kernel info:
; codeLenInByte = 160
; NumSgprs: 16
; NumVgprs: 4
; NumAgprs: 0
; TotalNumVgprs: 4
; ScratchSize: 0
; MemoryBound: 0
; FloatMode: 240
; IeeeMode: 1
; LDSByteSize: 0 bytes/workgroup (compile time only)
; SGPRBlocks: 1
; VGPRBlocks: 0
; NumSGPRsForWavesPerEU: 16
; NumVGPRsForWavesPerEU: 4
; AccumOffset: 4
; Occupancy: 8
; WaveLimiterHint : 0
; COMPUTE_PGM_RSRC2:SCRATCH_EN: 0
; COMPUTE_PGM_RSRC2:USER_SGPR: 6
; COMPUTE_PGM_RSRC2:TRAP_HANDLER: 0
; COMPUTE_PGM_RSRC2:TGID_X_EN: 1
; COMPUTE_PGM_RSRC2:TGID_Y_EN: 0
; COMPUTE_PGM_RSRC2:TGID_Z_EN: 0
; COMPUTE_PGM_RSRC2:TIDIG_COMP_CNT: 0
; COMPUTE_PGM_RSRC3_GFX90A:ACCUM_OFFSET: 0
; COMPUTE_PGM_RSRC3_GFX90A:TG_SPLIT: 0
	.section	.text._ZN6thrust23THRUST_200600_302600_NS11hip_rocprim14__parallel_for6kernelILj256ENS1_20__uninitialized_fill7functorINS0_10device_ptrIhEEhEEmLj1EEEvT0_T1_SA_,"axG",@progbits,_ZN6thrust23THRUST_200600_302600_NS11hip_rocprim14__parallel_for6kernelILj256ENS1_20__uninitialized_fill7functorINS0_10device_ptrIhEEhEEmLj1EEEvT0_T1_SA_,comdat
	.protected	_ZN6thrust23THRUST_200600_302600_NS11hip_rocprim14__parallel_for6kernelILj256ENS1_20__uninitialized_fill7functorINS0_10device_ptrIhEEhEEmLj1EEEvT0_T1_SA_ ; -- Begin function _ZN6thrust23THRUST_200600_302600_NS11hip_rocprim14__parallel_for6kernelILj256ENS1_20__uninitialized_fill7functorINS0_10device_ptrIhEEhEEmLj1EEEvT0_T1_SA_
	.globl	_ZN6thrust23THRUST_200600_302600_NS11hip_rocprim14__parallel_for6kernelILj256ENS1_20__uninitialized_fill7functorINS0_10device_ptrIhEEhEEmLj1EEEvT0_T1_SA_
	.p2align	8
	.type	_ZN6thrust23THRUST_200600_302600_NS11hip_rocprim14__parallel_for6kernelILj256ENS1_20__uninitialized_fill7functorINS0_10device_ptrIhEEhEEmLj1EEEvT0_T1_SA_,@function
_ZN6thrust23THRUST_200600_302600_NS11hip_rocprim14__parallel_for6kernelILj256ENS1_20__uninitialized_fill7functorINS0_10device_ptrIhEEhEEmLj1EEEvT0_T1_SA_: ; @_ZN6thrust23THRUST_200600_302600_NS11hip_rocprim14__parallel_for6kernelILj256ENS1_20__uninitialized_fill7functorINS0_10device_ptrIhEEhEEmLj1EEEvT0_T1_SA_
; %bb.0:
	s_load_dwordx4 s[0:3], s[4:5], 0x10
	s_lshl_b32 s6, s6, 8
	v_mov_b32_e32 v2, 0x100
	v_mov_b32_e32 v3, 0
	s_waitcnt lgkmcnt(0)
	s_add_u32 s6, s6, s2
	s_addc_u32 s7, 0, s3
	s_sub_u32 s0, s0, s6
	s_subb_u32 s1, s1, s7
	v_cmp_lt_u64_e32 vcc, s[0:1], v[2:3]
	s_cbranch_vccz .LBB262_2
; %bb.1:
	v_cmp_gt_u32_e32 vcc, s0, v0
	s_and_b64 s[0:1], vcc, exec
	s_cbranch_execz .LBB262_3
	s_branch .LBB262_4
.LBB262_2:
	s_mov_b64 s[0:1], 0
.LBB262_3:
	s_or_b64 s[0:1], s[0:1], exec
.LBB262_4:
	s_and_saveexec_b64 s[2:3], s[0:1]
	s_cbranch_execnz .LBB262_6
; %bb.5:
	s_endpgm
.LBB262_6:
	s_load_dwordx2 s[0:1], s[4:5], 0x0
	s_load_dword s2, s[4:5], 0x8
	s_waitcnt lgkmcnt(0)
	s_add_u32 s0, s0, s6
	s_addc_u32 s1, s1, s7
	v_mov_b32_e32 v1, s1
	v_add_co_u32_e32 v0, vcc, s0, v0
	v_addc_co_u32_e32 v1, vcc, 0, v1, vcc
	v_mov_b32_e32 v2, s2
	flat_store_byte v[0:1], v2
	s_endpgm
	.section	.rodata,"a",@progbits
	.p2align	6, 0x0
	.amdhsa_kernel _ZN6thrust23THRUST_200600_302600_NS11hip_rocprim14__parallel_for6kernelILj256ENS1_20__uninitialized_fill7functorINS0_10device_ptrIhEEhEEmLj1EEEvT0_T1_SA_
		.amdhsa_group_segment_fixed_size 0
		.amdhsa_private_segment_fixed_size 0
		.amdhsa_kernarg_size 32
		.amdhsa_user_sgpr_count 6
		.amdhsa_user_sgpr_private_segment_buffer 1
		.amdhsa_user_sgpr_dispatch_ptr 0
		.amdhsa_user_sgpr_queue_ptr 0
		.amdhsa_user_sgpr_kernarg_segment_ptr 1
		.amdhsa_user_sgpr_dispatch_id 0
		.amdhsa_user_sgpr_flat_scratch_init 0
		.amdhsa_user_sgpr_kernarg_preload_length 0
		.amdhsa_user_sgpr_kernarg_preload_offset 0
		.amdhsa_user_sgpr_private_segment_size 0
		.amdhsa_uses_dynamic_stack 0
		.amdhsa_system_sgpr_private_segment_wavefront_offset 0
		.amdhsa_system_sgpr_workgroup_id_x 1
		.amdhsa_system_sgpr_workgroup_id_y 0
		.amdhsa_system_sgpr_workgroup_id_z 0
		.amdhsa_system_sgpr_workgroup_info 0
		.amdhsa_system_vgpr_workitem_id 0
		.amdhsa_next_free_vgpr 4
		.amdhsa_next_free_sgpr 8
		.amdhsa_accum_offset 4
		.amdhsa_reserve_vcc 1
		.amdhsa_reserve_flat_scratch 0
		.amdhsa_float_round_mode_32 0
		.amdhsa_float_round_mode_16_64 0
		.amdhsa_float_denorm_mode_32 3
		.amdhsa_float_denorm_mode_16_64 3
		.amdhsa_dx10_clamp 1
		.amdhsa_ieee_mode 1
		.amdhsa_fp16_overflow 0
		.amdhsa_tg_split 0
		.amdhsa_exception_fp_ieee_invalid_op 0
		.amdhsa_exception_fp_denorm_src 0
		.amdhsa_exception_fp_ieee_div_zero 0
		.amdhsa_exception_fp_ieee_overflow 0
		.amdhsa_exception_fp_ieee_underflow 0
		.amdhsa_exception_fp_ieee_inexact 0
		.amdhsa_exception_int_div_zero 0
	.end_amdhsa_kernel
	.section	.text._ZN6thrust23THRUST_200600_302600_NS11hip_rocprim14__parallel_for6kernelILj256ENS1_20__uninitialized_fill7functorINS0_10device_ptrIhEEhEEmLj1EEEvT0_T1_SA_,"axG",@progbits,_ZN6thrust23THRUST_200600_302600_NS11hip_rocprim14__parallel_for6kernelILj256ENS1_20__uninitialized_fill7functorINS0_10device_ptrIhEEhEEmLj1EEEvT0_T1_SA_,comdat
.Lfunc_end262:
	.size	_ZN6thrust23THRUST_200600_302600_NS11hip_rocprim14__parallel_for6kernelILj256ENS1_20__uninitialized_fill7functorINS0_10device_ptrIhEEhEEmLj1EEEvT0_T1_SA_, .Lfunc_end262-_ZN6thrust23THRUST_200600_302600_NS11hip_rocprim14__parallel_for6kernelILj256ENS1_20__uninitialized_fill7functorINS0_10device_ptrIhEEhEEmLj1EEEvT0_T1_SA_
                                        ; -- End function
	.section	.AMDGPU.csdata,"",@progbits
; Kernel info:
; codeLenInByte = 144
; NumSgprs: 12
; NumVgprs: 4
; NumAgprs: 0
; TotalNumVgprs: 4
; ScratchSize: 0
; MemoryBound: 0
; FloatMode: 240
; IeeeMode: 1
; LDSByteSize: 0 bytes/workgroup (compile time only)
; SGPRBlocks: 1
; VGPRBlocks: 0
; NumSGPRsForWavesPerEU: 12
; NumVGPRsForWavesPerEU: 4
; AccumOffset: 4
; Occupancy: 8
; WaveLimiterHint : 0
; COMPUTE_PGM_RSRC2:SCRATCH_EN: 0
; COMPUTE_PGM_RSRC2:USER_SGPR: 6
; COMPUTE_PGM_RSRC2:TRAP_HANDLER: 0
; COMPUTE_PGM_RSRC2:TGID_X_EN: 1
; COMPUTE_PGM_RSRC2:TGID_Y_EN: 0
; COMPUTE_PGM_RSRC2:TGID_Z_EN: 0
; COMPUTE_PGM_RSRC2:TIDIG_COMP_CNT: 0
; COMPUTE_PGM_RSRC3_GFX90A:ACCUM_OFFSET: 0
; COMPUTE_PGM_RSRC3_GFX90A:TG_SPLIT: 0
	.section	.text._ZN7rocprim17ROCPRIM_400000_NS6detail17trampoline_kernelINS0_14default_configENS1_35adjacent_difference_config_selectorILb0EhEEZNS1_24adjacent_difference_implIS3_Lb0ELb0EPhS7_N6thrust23THRUST_200600_302600_NS5minusIhEEEE10hipError_tPvRmT2_T3_mT4_P12ihipStream_tbEUlT_E_NS1_11comp_targetILNS1_3genE0ELNS1_11target_archE4294967295ELNS1_3gpuE0ELNS1_3repE0EEENS1_30default_config_static_selectorELNS0_4arch9wavefront6targetE1EEEvT1_,"axG",@progbits,_ZN7rocprim17ROCPRIM_400000_NS6detail17trampoline_kernelINS0_14default_configENS1_35adjacent_difference_config_selectorILb0EhEEZNS1_24adjacent_difference_implIS3_Lb0ELb0EPhS7_N6thrust23THRUST_200600_302600_NS5minusIhEEEE10hipError_tPvRmT2_T3_mT4_P12ihipStream_tbEUlT_E_NS1_11comp_targetILNS1_3genE0ELNS1_11target_archE4294967295ELNS1_3gpuE0ELNS1_3repE0EEENS1_30default_config_static_selectorELNS0_4arch9wavefront6targetE1EEEvT1_,comdat
	.protected	_ZN7rocprim17ROCPRIM_400000_NS6detail17trampoline_kernelINS0_14default_configENS1_35adjacent_difference_config_selectorILb0EhEEZNS1_24adjacent_difference_implIS3_Lb0ELb0EPhS7_N6thrust23THRUST_200600_302600_NS5minusIhEEEE10hipError_tPvRmT2_T3_mT4_P12ihipStream_tbEUlT_E_NS1_11comp_targetILNS1_3genE0ELNS1_11target_archE4294967295ELNS1_3gpuE0ELNS1_3repE0EEENS1_30default_config_static_selectorELNS0_4arch9wavefront6targetE1EEEvT1_ ; -- Begin function _ZN7rocprim17ROCPRIM_400000_NS6detail17trampoline_kernelINS0_14default_configENS1_35adjacent_difference_config_selectorILb0EhEEZNS1_24adjacent_difference_implIS3_Lb0ELb0EPhS7_N6thrust23THRUST_200600_302600_NS5minusIhEEEE10hipError_tPvRmT2_T3_mT4_P12ihipStream_tbEUlT_E_NS1_11comp_targetILNS1_3genE0ELNS1_11target_archE4294967295ELNS1_3gpuE0ELNS1_3repE0EEENS1_30default_config_static_selectorELNS0_4arch9wavefront6targetE1EEEvT1_
	.globl	_ZN7rocprim17ROCPRIM_400000_NS6detail17trampoline_kernelINS0_14default_configENS1_35adjacent_difference_config_selectorILb0EhEEZNS1_24adjacent_difference_implIS3_Lb0ELb0EPhS7_N6thrust23THRUST_200600_302600_NS5minusIhEEEE10hipError_tPvRmT2_T3_mT4_P12ihipStream_tbEUlT_E_NS1_11comp_targetILNS1_3genE0ELNS1_11target_archE4294967295ELNS1_3gpuE0ELNS1_3repE0EEENS1_30default_config_static_selectorELNS0_4arch9wavefront6targetE1EEEvT1_
	.p2align	8
	.type	_ZN7rocprim17ROCPRIM_400000_NS6detail17trampoline_kernelINS0_14default_configENS1_35adjacent_difference_config_selectorILb0EhEEZNS1_24adjacent_difference_implIS3_Lb0ELb0EPhS7_N6thrust23THRUST_200600_302600_NS5minusIhEEEE10hipError_tPvRmT2_T3_mT4_P12ihipStream_tbEUlT_E_NS1_11comp_targetILNS1_3genE0ELNS1_11target_archE4294967295ELNS1_3gpuE0ELNS1_3repE0EEENS1_30default_config_static_selectorELNS0_4arch9wavefront6targetE1EEEvT1_,@function
_ZN7rocprim17ROCPRIM_400000_NS6detail17trampoline_kernelINS0_14default_configENS1_35adjacent_difference_config_selectorILb0EhEEZNS1_24adjacent_difference_implIS3_Lb0ELb0EPhS7_N6thrust23THRUST_200600_302600_NS5minusIhEEEE10hipError_tPvRmT2_T3_mT4_P12ihipStream_tbEUlT_E_NS1_11comp_targetILNS1_3genE0ELNS1_11target_archE4294967295ELNS1_3gpuE0ELNS1_3repE0EEENS1_30default_config_static_selectorELNS0_4arch9wavefront6targetE1EEEvT1_: ; @_ZN7rocprim17ROCPRIM_400000_NS6detail17trampoline_kernelINS0_14default_configENS1_35adjacent_difference_config_selectorILb0EhEEZNS1_24adjacent_difference_implIS3_Lb0ELb0EPhS7_N6thrust23THRUST_200600_302600_NS5minusIhEEEE10hipError_tPvRmT2_T3_mT4_P12ihipStream_tbEUlT_E_NS1_11comp_targetILNS1_3genE0ELNS1_11target_archE4294967295ELNS1_3gpuE0ELNS1_3repE0EEENS1_30default_config_static_selectorELNS0_4arch9wavefront6targetE1EEEvT1_
; %bb.0:
	.section	.rodata,"a",@progbits
	.p2align	6, 0x0
	.amdhsa_kernel _ZN7rocprim17ROCPRIM_400000_NS6detail17trampoline_kernelINS0_14default_configENS1_35adjacent_difference_config_selectorILb0EhEEZNS1_24adjacent_difference_implIS3_Lb0ELb0EPhS7_N6thrust23THRUST_200600_302600_NS5minusIhEEEE10hipError_tPvRmT2_T3_mT4_P12ihipStream_tbEUlT_E_NS1_11comp_targetILNS1_3genE0ELNS1_11target_archE4294967295ELNS1_3gpuE0ELNS1_3repE0EEENS1_30default_config_static_selectorELNS0_4arch9wavefront6targetE1EEEvT1_
		.amdhsa_group_segment_fixed_size 0
		.amdhsa_private_segment_fixed_size 0
		.amdhsa_kernarg_size 56
		.amdhsa_user_sgpr_count 6
		.amdhsa_user_sgpr_private_segment_buffer 1
		.amdhsa_user_sgpr_dispatch_ptr 0
		.amdhsa_user_sgpr_queue_ptr 0
		.amdhsa_user_sgpr_kernarg_segment_ptr 1
		.amdhsa_user_sgpr_dispatch_id 0
		.amdhsa_user_sgpr_flat_scratch_init 0
		.amdhsa_user_sgpr_kernarg_preload_length 0
		.amdhsa_user_sgpr_kernarg_preload_offset 0
		.amdhsa_user_sgpr_private_segment_size 0
		.amdhsa_uses_dynamic_stack 0
		.amdhsa_system_sgpr_private_segment_wavefront_offset 0
		.amdhsa_system_sgpr_workgroup_id_x 1
		.amdhsa_system_sgpr_workgroup_id_y 0
		.amdhsa_system_sgpr_workgroup_id_z 0
		.amdhsa_system_sgpr_workgroup_info 0
		.amdhsa_system_vgpr_workitem_id 0
		.amdhsa_next_free_vgpr 1
		.amdhsa_next_free_sgpr 0
		.amdhsa_accum_offset 4
		.amdhsa_reserve_vcc 0
		.amdhsa_reserve_flat_scratch 0
		.amdhsa_float_round_mode_32 0
		.amdhsa_float_round_mode_16_64 0
		.amdhsa_float_denorm_mode_32 3
		.amdhsa_float_denorm_mode_16_64 3
		.amdhsa_dx10_clamp 1
		.amdhsa_ieee_mode 1
		.amdhsa_fp16_overflow 0
		.amdhsa_tg_split 0
		.amdhsa_exception_fp_ieee_invalid_op 0
		.amdhsa_exception_fp_denorm_src 0
		.amdhsa_exception_fp_ieee_div_zero 0
		.amdhsa_exception_fp_ieee_overflow 0
		.amdhsa_exception_fp_ieee_underflow 0
		.amdhsa_exception_fp_ieee_inexact 0
		.amdhsa_exception_int_div_zero 0
	.end_amdhsa_kernel
	.section	.text._ZN7rocprim17ROCPRIM_400000_NS6detail17trampoline_kernelINS0_14default_configENS1_35adjacent_difference_config_selectorILb0EhEEZNS1_24adjacent_difference_implIS3_Lb0ELb0EPhS7_N6thrust23THRUST_200600_302600_NS5minusIhEEEE10hipError_tPvRmT2_T3_mT4_P12ihipStream_tbEUlT_E_NS1_11comp_targetILNS1_3genE0ELNS1_11target_archE4294967295ELNS1_3gpuE0ELNS1_3repE0EEENS1_30default_config_static_selectorELNS0_4arch9wavefront6targetE1EEEvT1_,"axG",@progbits,_ZN7rocprim17ROCPRIM_400000_NS6detail17trampoline_kernelINS0_14default_configENS1_35adjacent_difference_config_selectorILb0EhEEZNS1_24adjacent_difference_implIS3_Lb0ELb0EPhS7_N6thrust23THRUST_200600_302600_NS5minusIhEEEE10hipError_tPvRmT2_T3_mT4_P12ihipStream_tbEUlT_E_NS1_11comp_targetILNS1_3genE0ELNS1_11target_archE4294967295ELNS1_3gpuE0ELNS1_3repE0EEENS1_30default_config_static_selectorELNS0_4arch9wavefront6targetE1EEEvT1_,comdat
.Lfunc_end263:
	.size	_ZN7rocprim17ROCPRIM_400000_NS6detail17trampoline_kernelINS0_14default_configENS1_35adjacent_difference_config_selectorILb0EhEEZNS1_24adjacent_difference_implIS3_Lb0ELb0EPhS7_N6thrust23THRUST_200600_302600_NS5minusIhEEEE10hipError_tPvRmT2_T3_mT4_P12ihipStream_tbEUlT_E_NS1_11comp_targetILNS1_3genE0ELNS1_11target_archE4294967295ELNS1_3gpuE0ELNS1_3repE0EEENS1_30default_config_static_selectorELNS0_4arch9wavefront6targetE1EEEvT1_, .Lfunc_end263-_ZN7rocprim17ROCPRIM_400000_NS6detail17trampoline_kernelINS0_14default_configENS1_35adjacent_difference_config_selectorILb0EhEEZNS1_24adjacent_difference_implIS3_Lb0ELb0EPhS7_N6thrust23THRUST_200600_302600_NS5minusIhEEEE10hipError_tPvRmT2_T3_mT4_P12ihipStream_tbEUlT_E_NS1_11comp_targetILNS1_3genE0ELNS1_11target_archE4294967295ELNS1_3gpuE0ELNS1_3repE0EEENS1_30default_config_static_selectorELNS0_4arch9wavefront6targetE1EEEvT1_
                                        ; -- End function
	.section	.AMDGPU.csdata,"",@progbits
; Kernel info:
; codeLenInByte = 0
; NumSgprs: 4
; NumVgprs: 0
; NumAgprs: 0
; TotalNumVgprs: 0
; ScratchSize: 0
; MemoryBound: 0
; FloatMode: 240
; IeeeMode: 1
; LDSByteSize: 0 bytes/workgroup (compile time only)
; SGPRBlocks: 0
; VGPRBlocks: 0
; NumSGPRsForWavesPerEU: 4
; NumVGPRsForWavesPerEU: 1
; AccumOffset: 4
; Occupancy: 8
; WaveLimiterHint : 0
; COMPUTE_PGM_RSRC2:SCRATCH_EN: 0
; COMPUTE_PGM_RSRC2:USER_SGPR: 6
; COMPUTE_PGM_RSRC2:TRAP_HANDLER: 0
; COMPUTE_PGM_RSRC2:TGID_X_EN: 1
; COMPUTE_PGM_RSRC2:TGID_Y_EN: 0
; COMPUTE_PGM_RSRC2:TGID_Z_EN: 0
; COMPUTE_PGM_RSRC2:TIDIG_COMP_CNT: 0
; COMPUTE_PGM_RSRC3_GFX90A:ACCUM_OFFSET: 0
; COMPUTE_PGM_RSRC3_GFX90A:TG_SPLIT: 0
	.section	.text._ZN7rocprim17ROCPRIM_400000_NS6detail17trampoline_kernelINS0_14default_configENS1_35adjacent_difference_config_selectorILb0EhEEZNS1_24adjacent_difference_implIS3_Lb0ELb0EPhS7_N6thrust23THRUST_200600_302600_NS5minusIhEEEE10hipError_tPvRmT2_T3_mT4_P12ihipStream_tbEUlT_E_NS1_11comp_targetILNS1_3genE10ELNS1_11target_archE1201ELNS1_3gpuE5ELNS1_3repE0EEENS1_30default_config_static_selectorELNS0_4arch9wavefront6targetE1EEEvT1_,"axG",@progbits,_ZN7rocprim17ROCPRIM_400000_NS6detail17trampoline_kernelINS0_14default_configENS1_35adjacent_difference_config_selectorILb0EhEEZNS1_24adjacent_difference_implIS3_Lb0ELb0EPhS7_N6thrust23THRUST_200600_302600_NS5minusIhEEEE10hipError_tPvRmT2_T3_mT4_P12ihipStream_tbEUlT_E_NS1_11comp_targetILNS1_3genE10ELNS1_11target_archE1201ELNS1_3gpuE5ELNS1_3repE0EEENS1_30default_config_static_selectorELNS0_4arch9wavefront6targetE1EEEvT1_,comdat
	.protected	_ZN7rocprim17ROCPRIM_400000_NS6detail17trampoline_kernelINS0_14default_configENS1_35adjacent_difference_config_selectorILb0EhEEZNS1_24adjacent_difference_implIS3_Lb0ELb0EPhS7_N6thrust23THRUST_200600_302600_NS5minusIhEEEE10hipError_tPvRmT2_T3_mT4_P12ihipStream_tbEUlT_E_NS1_11comp_targetILNS1_3genE10ELNS1_11target_archE1201ELNS1_3gpuE5ELNS1_3repE0EEENS1_30default_config_static_selectorELNS0_4arch9wavefront6targetE1EEEvT1_ ; -- Begin function _ZN7rocprim17ROCPRIM_400000_NS6detail17trampoline_kernelINS0_14default_configENS1_35adjacent_difference_config_selectorILb0EhEEZNS1_24adjacent_difference_implIS3_Lb0ELb0EPhS7_N6thrust23THRUST_200600_302600_NS5minusIhEEEE10hipError_tPvRmT2_T3_mT4_P12ihipStream_tbEUlT_E_NS1_11comp_targetILNS1_3genE10ELNS1_11target_archE1201ELNS1_3gpuE5ELNS1_3repE0EEENS1_30default_config_static_selectorELNS0_4arch9wavefront6targetE1EEEvT1_
	.globl	_ZN7rocprim17ROCPRIM_400000_NS6detail17trampoline_kernelINS0_14default_configENS1_35adjacent_difference_config_selectorILb0EhEEZNS1_24adjacent_difference_implIS3_Lb0ELb0EPhS7_N6thrust23THRUST_200600_302600_NS5minusIhEEEE10hipError_tPvRmT2_T3_mT4_P12ihipStream_tbEUlT_E_NS1_11comp_targetILNS1_3genE10ELNS1_11target_archE1201ELNS1_3gpuE5ELNS1_3repE0EEENS1_30default_config_static_selectorELNS0_4arch9wavefront6targetE1EEEvT1_
	.p2align	8
	.type	_ZN7rocprim17ROCPRIM_400000_NS6detail17trampoline_kernelINS0_14default_configENS1_35adjacent_difference_config_selectorILb0EhEEZNS1_24adjacent_difference_implIS3_Lb0ELb0EPhS7_N6thrust23THRUST_200600_302600_NS5minusIhEEEE10hipError_tPvRmT2_T3_mT4_P12ihipStream_tbEUlT_E_NS1_11comp_targetILNS1_3genE10ELNS1_11target_archE1201ELNS1_3gpuE5ELNS1_3repE0EEENS1_30default_config_static_selectorELNS0_4arch9wavefront6targetE1EEEvT1_,@function
_ZN7rocprim17ROCPRIM_400000_NS6detail17trampoline_kernelINS0_14default_configENS1_35adjacent_difference_config_selectorILb0EhEEZNS1_24adjacent_difference_implIS3_Lb0ELb0EPhS7_N6thrust23THRUST_200600_302600_NS5minusIhEEEE10hipError_tPvRmT2_T3_mT4_P12ihipStream_tbEUlT_E_NS1_11comp_targetILNS1_3genE10ELNS1_11target_archE1201ELNS1_3gpuE5ELNS1_3repE0EEENS1_30default_config_static_selectorELNS0_4arch9wavefront6targetE1EEEvT1_: ; @_ZN7rocprim17ROCPRIM_400000_NS6detail17trampoline_kernelINS0_14default_configENS1_35adjacent_difference_config_selectorILb0EhEEZNS1_24adjacent_difference_implIS3_Lb0ELb0EPhS7_N6thrust23THRUST_200600_302600_NS5minusIhEEEE10hipError_tPvRmT2_T3_mT4_P12ihipStream_tbEUlT_E_NS1_11comp_targetILNS1_3genE10ELNS1_11target_archE1201ELNS1_3gpuE5ELNS1_3repE0EEENS1_30default_config_static_selectorELNS0_4arch9wavefront6targetE1EEEvT1_
; %bb.0:
	.section	.rodata,"a",@progbits
	.p2align	6, 0x0
	.amdhsa_kernel _ZN7rocprim17ROCPRIM_400000_NS6detail17trampoline_kernelINS0_14default_configENS1_35adjacent_difference_config_selectorILb0EhEEZNS1_24adjacent_difference_implIS3_Lb0ELb0EPhS7_N6thrust23THRUST_200600_302600_NS5minusIhEEEE10hipError_tPvRmT2_T3_mT4_P12ihipStream_tbEUlT_E_NS1_11comp_targetILNS1_3genE10ELNS1_11target_archE1201ELNS1_3gpuE5ELNS1_3repE0EEENS1_30default_config_static_selectorELNS0_4arch9wavefront6targetE1EEEvT1_
		.amdhsa_group_segment_fixed_size 0
		.amdhsa_private_segment_fixed_size 0
		.amdhsa_kernarg_size 56
		.amdhsa_user_sgpr_count 6
		.amdhsa_user_sgpr_private_segment_buffer 1
		.amdhsa_user_sgpr_dispatch_ptr 0
		.amdhsa_user_sgpr_queue_ptr 0
		.amdhsa_user_sgpr_kernarg_segment_ptr 1
		.amdhsa_user_sgpr_dispatch_id 0
		.amdhsa_user_sgpr_flat_scratch_init 0
		.amdhsa_user_sgpr_kernarg_preload_length 0
		.amdhsa_user_sgpr_kernarg_preload_offset 0
		.amdhsa_user_sgpr_private_segment_size 0
		.amdhsa_uses_dynamic_stack 0
		.amdhsa_system_sgpr_private_segment_wavefront_offset 0
		.amdhsa_system_sgpr_workgroup_id_x 1
		.amdhsa_system_sgpr_workgroup_id_y 0
		.amdhsa_system_sgpr_workgroup_id_z 0
		.amdhsa_system_sgpr_workgroup_info 0
		.amdhsa_system_vgpr_workitem_id 0
		.amdhsa_next_free_vgpr 1
		.amdhsa_next_free_sgpr 0
		.amdhsa_accum_offset 4
		.amdhsa_reserve_vcc 0
		.amdhsa_reserve_flat_scratch 0
		.amdhsa_float_round_mode_32 0
		.amdhsa_float_round_mode_16_64 0
		.amdhsa_float_denorm_mode_32 3
		.amdhsa_float_denorm_mode_16_64 3
		.amdhsa_dx10_clamp 1
		.amdhsa_ieee_mode 1
		.amdhsa_fp16_overflow 0
		.amdhsa_tg_split 0
		.amdhsa_exception_fp_ieee_invalid_op 0
		.amdhsa_exception_fp_denorm_src 0
		.amdhsa_exception_fp_ieee_div_zero 0
		.amdhsa_exception_fp_ieee_overflow 0
		.amdhsa_exception_fp_ieee_underflow 0
		.amdhsa_exception_fp_ieee_inexact 0
		.amdhsa_exception_int_div_zero 0
	.end_amdhsa_kernel
	.section	.text._ZN7rocprim17ROCPRIM_400000_NS6detail17trampoline_kernelINS0_14default_configENS1_35adjacent_difference_config_selectorILb0EhEEZNS1_24adjacent_difference_implIS3_Lb0ELb0EPhS7_N6thrust23THRUST_200600_302600_NS5minusIhEEEE10hipError_tPvRmT2_T3_mT4_P12ihipStream_tbEUlT_E_NS1_11comp_targetILNS1_3genE10ELNS1_11target_archE1201ELNS1_3gpuE5ELNS1_3repE0EEENS1_30default_config_static_selectorELNS0_4arch9wavefront6targetE1EEEvT1_,"axG",@progbits,_ZN7rocprim17ROCPRIM_400000_NS6detail17trampoline_kernelINS0_14default_configENS1_35adjacent_difference_config_selectorILb0EhEEZNS1_24adjacent_difference_implIS3_Lb0ELb0EPhS7_N6thrust23THRUST_200600_302600_NS5minusIhEEEE10hipError_tPvRmT2_T3_mT4_P12ihipStream_tbEUlT_E_NS1_11comp_targetILNS1_3genE10ELNS1_11target_archE1201ELNS1_3gpuE5ELNS1_3repE0EEENS1_30default_config_static_selectorELNS0_4arch9wavefront6targetE1EEEvT1_,comdat
.Lfunc_end264:
	.size	_ZN7rocprim17ROCPRIM_400000_NS6detail17trampoline_kernelINS0_14default_configENS1_35adjacent_difference_config_selectorILb0EhEEZNS1_24adjacent_difference_implIS3_Lb0ELb0EPhS7_N6thrust23THRUST_200600_302600_NS5minusIhEEEE10hipError_tPvRmT2_T3_mT4_P12ihipStream_tbEUlT_E_NS1_11comp_targetILNS1_3genE10ELNS1_11target_archE1201ELNS1_3gpuE5ELNS1_3repE0EEENS1_30default_config_static_selectorELNS0_4arch9wavefront6targetE1EEEvT1_, .Lfunc_end264-_ZN7rocprim17ROCPRIM_400000_NS6detail17trampoline_kernelINS0_14default_configENS1_35adjacent_difference_config_selectorILb0EhEEZNS1_24adjacent_difference_implIS3_Lb0ELb0EPhS7_N6thrust23THRUST_200600_302600_NS5minusIhEEEE10hipError_tPvRmT2_T3_mT4_P12ihipStream_tbEUlT_E_NS1_11comp_targetILNS1_3genE10ELNS1_11target_archE1201ELNS1_3gpuE5ELNS1_3repE0EEENS1_30default_config_static_selectorELNS0_4arch9wavefront6targetE1EEEvT1_
                                        ; -- End function
	.section	.AMDGPU.csdata,"",@progbits
; Kernel info:
; codeLenInByte = 0
; NumSgprs: 4
; NumVgprs: 0
; NumAgprs: 0
; TotalNumVgprs: 0
; ScratchSize: 0
; MemoryBound: 0
; FloatMode: 240
; IeeeMode: 1
; LDSByteSize: 0 bytes/workgroup (compile time only)
; SGPRBlocks: 0
; VGPRBlocks: 0
; NumSGPRsForWavesPerEU: 4
; NumVGPRsForWavesPerEU: 1
; AccumOffset: 4
; Occupancy: 8
; WaveLimiterHint : 0
; COMPUTE_PGM_RSRC2:SCRATCH_EN: 0
; COMPUTE_PGM_RSRC2:USER_SGPR: 6
; COMPUTE_PGM_RSRC2:TRAP_HANDLER: 0
; COMPUTE_PGM_RSRC2:TGID_X_EN: 1
; COMPUTE_PGM_RSRC2:TGID_Y_EN: 0
; COMPUTE_PGM_RSRC2:TGID_Z_EN: 0
; COMPUTE_PGM_RSRC2:TIDIG_COMP_CNT: 0
; COMPUTE_PGM_RSRC3_GFX90A:ACCUM_OFFSET: 0
; COMPUTE_PGM_RSRC3_GFX90A:TG_SPLIT: 0
	.section	.text._ZN7rocprim17ROCPRIM_400000_NS6detail17trampoline_kernelINS0_14default_configENS1_35adjacent_difference_config_selectorILb0EhEEZNS1_24adjacent_difference_implIS3_Lb0ELb0EPhS7_N6thrust23THRUST_200600_302600_NS5minusIhEEEE10hipError_tPvRmT2_T3_mT4_P12ihipStream_tbEUlT_E_NS1_11comp_targetILNS1_3genE5ELNS1_11target_archE942ELNS1_3gpuE9ELNS1_3repE0EEENS1_30default_config_static_selectorELNS0_4arch9wavefront6targetE1EEEvT1_,"axG",@progbits,_ZN7rocprim17ROCPRIM_400000_NS6detail17trampoline_kernelINS0_14default_configENS1_35adjacent_difference_config_selectorILb0EhEEZNS1_24adjacent_difference_implIS3_Lb0ELb0EPhS7_N6thrust23THRUST_200600_302600_NS5minusIhEEEE10hipError_tPvRmT2_T3_mT4_P12ihipStream_tbEUlT_E_NS1_11comp_targetILNS1_3genE5ELNS1_11target_archE942ELNS1_3gpuE9ELNS1_3repE0EEENS1_30default_config_static_selectorELNS0_4arch9wavefront6targetE1EEEvT1_,comdat
	.protected	_ZN7rocprim17ROCPRIM_400000_NS6detail17trampoline_kernelINS0_14default_configENS1_35adjacent_difference_config_selectorILb0EhEEZNS1_24adjacent_difference_implIS3_Lb0ELb0EPhS7_N6thrust23THRUST_200600_302600_NS5minusIhEEEE10hipError_tPvRmT2_T3_mT4_P12ihipStream_tbEUlT_E_NS1_11comp_targetILNS1_3genE5ELNS1_11target_archE942ELNS1_3gpuE9ELNS1_3repE0EEENS1_30default_config_static_selectorELNS0_4arch9wavefront6targetE1EEEvT1_ ; -- Begin function _ZN7rocprim17ROCPRIM_400000_NS6detail17trampoline_kernelINS0_14default_configENS1_35adjacent_difference_config_selectorILb0EhEEZNS1_24adjacent_difference_implIS3_Lb0ELb0EPhS7_N6thrust23THRUST_200600_302600_NS5minusIhEEEE10hipError_tPvRmT2_T3_mT4_P12ihipStream_tbEUlT_E_NS1_11comp_targetILNS1_3genE5ELNS1_11target_archE942ELNS1_3gpuE9ELNS1_3repE0EEENS1_30default_config_static_selectorELNS0_4arch9wavefront6targetE1EEEvT1_
	.globl	_ZN7rocprim17ROCPRIM_400000_NS6detail17trampoline_kernelINS0_14default_configENS1_35adjacent_difference_config_selectorILb0EhEEZNS1_24adjacent_difference_implIS3_Lb0ELb0EPhS7_N6thrust23THRUST_200600_302600_NS5minusIhEEEE10hipError_tPvRmT2_T3_mT4_P12ihipStream_tbEUlT_E_NS1_11comp_targetILNS1_3genE5ELNS1_11target_archE942ELNS1_3gpuE9ELNS1_3repE0EEENS1_30default_config_static_selectorELNS0_4arch9wavefront6targetE1EEEvT1_
	.p2align	8
	.type	_ZN7rocprim17ROCPRIM_400000_NS6detail17trampoline_kernelINS0_14default_configENS1_35adjacent_difference_config_selectorILb0EhEEZNS1_24adjacent_difference_implIS3_Lb0ELb0EPhS7_N6thrust23THRUST_200600_302600_NS5minusIhEEEE10hipError_tPvRmT2_T3_mT4_P12ihipStream_tbEUlT_E_NS1_11comp_targetILNS1_3genE5ELNS1_11target_archE942ELNS1_3gpuE9ELNS1_3repE0EEENS1_30default_config_static_selectorELNS0_4arch9wavefront6targetE1EEEvT1_,@function
_ZN7rocprim17ROCPRIM_400000_NS6detail17trampoline_kernelINS0_14default_configENS1_35adjacent_difference_config_selectorILb0EhEEZNS1_24adjacent_difference_implIS3_Lb0ELb0EPhS7_N6thrust23THRUST_200600_302600_NS5minusIhEEEE10hipError_tPvRmT2_T3_mT4_P12ihipStream_tbEUlT_E_NS1_11comp_targetILNS1_3genE5ELNS1_11target_archE942ELNS1_3gpuE9ELNS1_3repE0EEENS1_30default_config_static_selectorELNS0_4arch9wavefront6targetE1EEEvT1_: ; @_ZN7rocprim17ROCPRIM_400000_NS6detail17trampoline_kernelINS0_14default_configENS1_35adjacent_difference_config_selectorILb0EhEEZNS1_24adjacent_difference_implIS3_Lb0ELb0EPhS7_N6thrust23THRUST_200600_302600_NS5minusIhEEEE10hipError_tPvRmT2_T3_mT4_P12ihipStream_tbEUlT_E_NS1_11comp_targetILNS1_3genE5ELNS1_11target_archE942ELNS1_3gpuE9ELNS1_3repE0EEENS1_30default_config_static_selectorELNS0_4arch9wavefront6targetE1EEEvT1_
; %bb.0:
	.section	.rodata,"a",@progbits
	.p2align	6, 0x0
	.amdhsa_kernel _ZN7rocprim17ROCPRIM_400000_NS6detail17trampoline_kernelINS0_14default_configENS1_35adjacent_difference_config_selectorILb0EhEEZNS1_24adjacent_difference_implIS3_Lb0ELb0EPhS7_N6thrust23THRUST_200600_302600_NS5minusIhEEEE10hipError_tPvRmT2_T3_mT4_P12ihipStream_tbEUlT_E_NS1_11comp_targetILNS1_3genE5ELNS1_11target_archE942ELNS1_3gpuE9ELNS1_3repE0EEENS1_30default_config_static_selectorELNS0_4arch9wavefront6targetE1EEEvT1_
		.amdhsa_group_segment_fixed_size 0
		.amdhsa_private_segment_fixed_size 0
		.amdhsa_kernarg_size 56
		.amdhsa_user_sgpr_count 6
		.amdhsa_user_sgpr_private_segment_buffer 1
		.amdhsa_user_sgpr_dispatch_ptr 0
		.amdhsa_user_sgpr_queue_ptr 0
		.amdhsa_user_sgpr_kernarg_segment_ptr 1
		.amdhsa_user_sgpr_dispatch_id 0
		.amdhsa_user_sgpr_flat_scratch_init 0
		.amdhsa_user_sgpr_kernarg_preload_length 0
		.amdhsa_user_sgpr_kernarg_preload_offset 0
		.amdhsa_user_sgpr_private_segment_size 0
		.amdhsa_uses_dynamic_stack 0
		.amdhsa_system_sgpr_private_segment_wavefront_offset 0
		.amdhsa_system_sgpr_workgroup_id_x 1
		.amdhsa_system_sgpr_workgroup_id_y 0
		.amdhsa_system_sgpr_workgroup_id_z 0
		.amdhsa_system_sgpr_workgroup_info 0
		.amdhsa_system_vgpr_workitem_id 0
		.amdhsa_next_free_vgpr 1
		.amdhsa_next_free_sgpr 0
		.amdhsa_accum_offset 4
		.amdhsa_reserve_vcc 0
		.amdhsa_reserve_flat_scratch 0
		.amdhsa_float_round_mode_32 0
		.amdhsa_float_round_mode_16_64 0
		.amdhsa_float_denorm_mode_32 3
		.amdhsa_float_denorm_mode_16_64 3
		.amdhsa_dx10_clamp 1
		.amdhsa_ieee_mode 1
		.amdhsa_fp16_overflow 0
		.amdhsa_tg_split 0
		.amdhsa_exception_fp_ieee_invalid_op 0
		.amdhsa_exception_fp_denorm_src 0
		.amdhsa_exception_fp_ieee_div_zero 0
		.amdhsa_exception_fp_ieee_overflow 0
		.amdhsa_exception_fp_ieee_underflow 0
		.amdhsa_exception_fp_ieee_inexact 0
		.amdhsa_exception_int_div_zero 0
	.end_amdhsa_kernel
	.section	.text._ZN7rocprim17ROCPRIM_400000_NS6detail17trampoline_kernelINS0_14default_configENS1_35adjacent_difference_config_selectorILb0EhEEZNS1_24adjacent_difference_implIS3_Lb0ELb0EPhS7_N6thrust23THRUST_200600_302600_NS5minusIhEEEE10hipError_tPvRmT2_T3_mT4_P12ihipStream_tbEUlT_E_NS1_11comp_targetILNS1_3genE5ELNS1_11target_archE942ELNS1_3gpuE9ELNS1_3repE0EEENS1_30default_config_static_selectorELNS0_4arch9wavefront6targetE1EEEvT1_,"axG",@progbits,_ZN7rocprim17ROCPRIM_400000_NS6detail17trampoline_kernelINS0_14default_configENS1_35adjacent_difference_config_selectorILb0EhEEZNS1_24adjacent_difference_implIS3_Lb0ELb0EPhS7_N6thrust23THRUST_200600_302600_NS5minusIhEEEE10hipError_tPvRmT2_T3_mT4_P12ihipStream_tbEUlT_E_NS1_11comp_targetILNS1_3genE5ELNS1_11target_archE942ELNS1_3gpuE9ELNS1_3repE0EEENS1_30default_config_static_selectorELNS0_4arch9wavefront6targetE1EEEvT1_,comdat
.Lfunc_end265:
	.size	_ZN7rocprim17ROCPRIM_400000_NS6detail17trampoline_kernelINS0_14default_configENS1_35adjacent_difference_config_selectorILb0EhEEZNS1_24adjacent_difference_implIS3_Lb0ELb0EPhS7_N6thrust23THRUST_200600_302600_NS5minusIhEEEE10hipError_tPvRmT2_T3_mT4_P12ihipStream_tbEUlT_E_NS1_11comp_targetILNS1_3genE5ELNS1_11target_archE942ELNS1_3gpuE9ELNS1_3repE0EEENS1_30default_config_static_selectorELNS0_4arch9wavefront6targetE1EEEvT1_, .Lfunc_end265-_ZN7rocprim17ROCPRIM_400000_NS6detail17trampoline_kernelINS0_14default_configENS1_35adjacent_difference_config_selectorILb0EhEEZNS1_24adjacent_difference_implIS3_Lb0ELb0EPhS7_N6thrust23THRUST_200600_302600_NS5minusIhEEEE10hipError_tPvRmT2_T3_mT4_P12ihipStream_tbEUlT_E_NS1_11comp_targetILNS1_3genE5ELNS1_11target_archE942ELNS1_3gpuE9ELNS1_3repE0EEENS1_30default_config_static_selectorELNS0_4arch9wavefront6targetE1EEEvT1_
                                        ; -- End function
	.section	.AMDGPU.csdata,"",@progbits
; Kernel info:
; codeLenInByte = 0
; NumSgprs: 4
; NumVgprs: 0
; NumAgprs: 0
; TotalNumVgprs: 0
; ScratchSize: 0
; MemoryBound: 0
; FloatMode: 240
; IeeeMode: 1
; LDSByteSize: 0 bytes/workgroup (compile time only)
; SGPRBlocks: 0
; VGPRBlocks: 0
; NumSGPRsForWavesPerEU: 4
; NumVGPRsForWavesPerEU: 1
; AccumOffset: 4
; Occupancy: 8
; WaveLimiterHint : 0
; COMPUTE_PGM_RSRC2:SCRATCH_EN: 0
; COMPUTE_PGM_RSRC2:USER_SGPR: 6
; COMPUTE_PGM_RSRC2:TRAP_HANDLER: 0
; COMPUTE_PGM_RSRC2:TGID_X_EN: 1
; COMPUTE_PGM_RSRC2:TGID_Y_EN: 0
; COMPUTE_PGM_RSRC2:TGID_Z_EN: 0
; COMPUTE_PGM_RSRC2:TIDIG_COMP_CNT: 0
; COMPUTE_PGM_RSRC3_GFX90A:ACCUM_OFFSET: 0
; COMPUTE_PGM_RSRC3_GFX90A:TG_SPLIT: 0
	.section	.text._ZN7rocprim17ROCPRIM_400000_NS6detail17trampoline_kernelINS0_14default_configENS1_35adjacent_difference_config_selectorILb0EhEEZNS1_24adjacent_difference_implIS3_Lb0ELb0EPhS7_N6thrust23THRUST_200600_302600_NS5minusIhEEEE10hipError_tPvRmT2_T3_mT4_P12ihipStream_tbEUlT_E_NS1_11comp_targetILNS1_3genE4ELNS1_11target_archE910ELNS1_3gpuE8ELNS1_3repE0EEENS1_30default_config_static_selectorELNS0_4arch9wavefront6targetE1EEEvT1_,"axG",@progbits,_ZN7rocprim17ROCPRIM_400000_NS6detail17trampoline_kernelINS0_14default_configENS1_35adjacent_difference_config_selectorILb0EhEEZNS1_24adjacent_difference_implIS3_Lb0ELb0EPhS7_N6thrust23THRUST_200600_302600_NS5minusIhEEEE10hipError_tPvRmT2_T3_mT4_P12ihipStream_tbEUlT_E_NS1_11comp_targetILNS1_3genE4ELNS1_11target_archE910ELNS1_3gpuE8ELNS1_3repE0EEENS1_30default_config_static_selectorELNS0_4arch9wavefront6targetE1EEEvT1_,comdat
	.protected	_ZN7rocprim17ROCPRIM_400000_NS6detail17trampoline_kernelINS0_14default_configENS1_35adjacent_difference_config_selectorILb0EhEEZNS1_24adjacent_difference_implIS3_Lb0ELb0EPhS7_N6thrust23THRUST_200600_302600_NS5minusIhEEEE10hipError_tPvRmT2_T3_mT4_P12ihipStream_tbEUlT_E_NS1_11comp_targetILNS1_3genE4ELNS1_11target_archE910ELNS1_3gpuE8ELNS1_3repE0EEENS1_30default_config_static_selectorELNS0_4arch9wavefront6targetE1EEEvT1_ ; -- Begin function _ZN7rocprim17ROCPRIM_400000_NS6detail17trampoline_kernelINS0_14default_configENS1_35adjacent_difference_config_selectorILb0EhEEZNS1_24adjacent_difference_implIS3_Lb0ELb0EPhS7_N6thrust23THRUST_200600_302600_NS5minusIhEEEE10hipError_tPvRmT2_T3_mT4_P12ihipStream_tbEUlT_E_NS1_11comp_targetILNS1_3genE4ELNS1_11target_archE910ELNS1_3gpuE8ELNS1_3repE0EEENS1_30default_config_static_selectorELNS0_4arch9wavefront6targetE1EEEvT1_
	.globl	_ZN7rocprim17ROCPRIM_400000_NS6detail17trampoline_kernelINS0_14default_configENS1_35adjacent_difference_config_selectorILb0EhEEZNS1_24adjacent_difference_implIS3_Lb0ELb0EPhS7_N6thrust23THRUST_200600_302600_NS5minusIhEEEE10hipError_tPvRmT2_T3_mT4_P12ihipStream_tbEUlT_E_NS1_11comp_targetILNS1_3genE4ELNS1_11target_archE910ELNS1_3gpuE8ELNS1_3repE0EEENS1_30default_config_static_selectorELNS0_4arch9wavefront6targetE1EEEvT1_
	.p2align	8
	.type	_ZN7rocprim17ROCPRIM_400000_NS6detail17trampoline_kernelINS0_14default_configENS1_35adjacent_difference_config_selectorILb0EhEEZNS1_24adjacent_difference_implIS3_Lb0ELb0EPhS7_N6thrust23THRUST_200600_302600_NS5minusIhEEEE10hipError_tPvRmT2_T3_mT4_P12ihipStream_tbEUlT_E_NS1_11comp_targetILNS1_3genE4ELNS1_11target_archE910ELNS1_3gpuE8ELNS1_3repE0EEENS1_30default_config_static_selectorELNS0_4arch9wavefront6targetE1EEEvT1_,@function
_ZN7rocprim17ROCPRIM_400000_NS6detail17trampoline_kernelINS0_14default_configENS1_35adjacent_difference_config_selectorILb0EhEEZNS1_24adjacent_difference_implIS3_Lb0ELb0EPhS7_N6thrust23THRUST_200600_302600_NS5minusIhEEEE10hipError_tPvRmT2_T3_mT4_P12ihipStream_tbEUlT_E_NS1_11comp_targetILNS1_3genE4ELNS1_11target_archE910ELNS1_3gpuE8ELNS1_3repE0EEENS1_30default_config_static_selectorELNS0_4arch9wavefront6targetE1EEEvT1_: ; @_ZN7rocprim17ROCPRIM_400000_NS6detail17trampoline_kernelINS0_14default_configENS1_35adjacent_difference_config_selectorILb0EhEEZNS1_24adjacent_difference_implIS3_Lb0ELb0EPhS7_N6thrust23THRUST_200600_302600_NS5minusIhEEEE10hipError_tPvRmT2_T3_mT4_P12ihipStream_tbEUlT_E_NS1_11comp_targetILNS1_3genE4ELNS1_11target_archE910ELNS1_3gpuE8ELNS1_3repE0EEENS1_30default_config_static_selectorELNS0_4arch9wavefront6targetE1EEEvT1_
; %bb.0:
	s_load_dwordx8 s[8:15], s[4:5], 0x0
	s_mov_b32 s2, 0xb9435940
	s_load_dwordx2 s[0:1], s[4:5], 0x30
	s_movk_i32 s7, 0x4c0
	s_mul_i32 s20, s6, 0x4c0
	s_waitcnt lgkmcnt(0)
	s_add_u32 s8, s8, s10
	s_addc_u32 s9, s9, s11
	s_add_u32 s2, 0x294, s2
	s_addc_u32 s4, 0, 0
	v_add_co_u32_e64 v1, s[2:3], s2, -2.0
	s_cmp_lg_u64 s[2:3], 0
	s_addc_u32 s2, s4, 0x35e50c
	v_readfirstlane_b32 s4, v1
	s_mul_hi_u32 s5, s4, 0xfffffb40
	s_mul_i32 s3, s2, 0xfffffb40
	s_sub_i32 s5, s5, s4
	s_add_i32 s5, s5, s3
	s_mul_i32 s17, s4, 0xfffffb40
	s_mul_hi_u32 s3, s4, s5
	s_mul_i32 s16, s4, s5
	s_mul_hi_u32 s4, s4, s17
	s_add_u32 s4, s4, s16
	s_addc_u32 s3, 0, s3
	s_mul_hi_u32 s18, s2, s17
	s_mul_i32 s17, s2, s17
	s_add_u32 s4, s4, s17
	s_mul_hi_u32 s16, s2, s5
	s_addc_u32 s3, s3, s18
	s_addc_u32 s4, s16, 0
	s_mul_i32 s5, s2, s5
	s_add_u32 s3, s3, s5
	s_addc_u32 s4, 0, s4
	v_add_co_u32_e32 v1, vcc, s3, v1
	s_cmp_lg_u64 vcc, 0
	s_addc_u32 s2, s2, s4
	v_readfirstlane_b32 s5, v1
	s_mul_i32 s4, s14, s2
	s_mul_hi_u32 s16, s14, s5
	s_mul_hi_u32 s3, s14, s2
	s_add_u32 s4, s16, s4
	s_addc_u32 s3, 0, s3
	s_mul_hi_u32 s17, s15, s5
	s_mul_i32 s5, s15, s5
	s_add_u32 s4, s4, s5
	s_mul_hi_u32 s16, s15, s2
	s_addc_u32 s3, s3, s17
	s_addc_u32 s4, s16, 0
	s_mul_i32 s2, s15, s2
	s_add_u32 s2, s3, s2
	s_addc_u32 s3, 0, s4
	s_add_u32 s4, s2, 1
	s_addc_u32 s5, s3, 0
	s_add_u32 s16, s2, 2
	s_mul_i32 s18, s3, 0x4c0
	s_mul_hi_u32 s19, s2, 0x4c0
	s_addc_u32 s17, s3, 0
	s_add_i32 s19, s19, s18
	s_mul_i32 s18, s2, 0x4c0
	v_mov_b32_e32 v1, s18
	v_sub_co_u32_e32 v1, vcc, s14, v1
	s_cmp_lg_u64 vcc, 0
	s_subb_u32 s18, s15, s19
	v_subrev_co_u32_e32 v2, vcc, s7, v1
	s_cmp_lg_u64 vcc, 0
	s_subb_u32 s7, s18, 0
	v_readfirstlane_b32 s19, v2
	s_cmpk_gt_u32 s19, 0x4bf
	s_cselect_b32 s19, -1, 0
	s_cmp_eq_u32 s7, 0
	s_cselect_b32 s7, s19, -1
	s_cmp_lg_u32 s7, 0
	v_readfirstlane_b32 s7, v1
	s_cselect_b32 s4, s16, s4
	s_cselect_b32 s5, s17, s5
	s_cmpk_gt_u32 s7, 0x4bf
	s_cselect_b32 s7, -1, 0
	s_cmp_eq_u32 s18, 0
	s_cselect_b32 s7, s7, -1
	s_cmp_lg_u32 s7, 0
	s_cselect_b32 s5, s5, s3
	s_cselect_b32 s4, s4, s2
	s_mul_i32 s2, s5, 0x4c0
	s_mul_hi_u32 s3, s4, 0x4c0
	s_add_i32 s3, s3, s2
	s_mul_i32 s2, s4, 0x4c0
	s_sub_u32 s2, s14, s2
	s_subb_u32 s3, s15, s3
	s_cmp_lg_u64 s[2:3], 0
	s_cselect_b64 s[2:3], -1, 0
	v_cndmask_b32_e64 v1, 0, 1, s[2:3]
	v_readfirstlane_b32 s2, v1
	s_add_u32 s2, s4, s2
	s_addc_u32 s3, s5, 0
	s_add_u32 s4, s0, s6
	s_addc_u32 s5, s1, 0
	s_add_u32 s6, s2, -1
	s_addc_u32 s7, s3, -1
	v_pk_mov_b32 v[2:3], s[6:7], s[6:7] op_sel:[0,1]
	v_cmp_ge_u64_e64 s[0:1], s[4:5], v[2:3]
	s_mov_b64 s[16:17], -1
	s_and_b64 vcc, exec, s[0:1]
	s_mul_i32 s15, s6, 0xfffffb40
	s_cbranch_vccz .LBB266_40
; %bb.1:
	s_add_i32 s21, s15, s14
	s_add_u32 s16, s8, s20
	s_addc_u32 s17, s9, 0
	v_cmp_gt_u32_e32 vcc, s21, v0
                                        ; implicit-def: $vgpr1
	s_and_saveexec_b64 s[18:19], vcc
	s_cbranch_execz .LBB266_3
; %bb.2:
	global_load_ubyte v1, v0, s[16:17]
.LBB266_3:
	s_or_b64 exec, exec, s[18:19]
	v_or_b32_e32 v2, 64, v0
	v_cmp_gt_u32_e32 vcc, s21, v2
                                        ; implicit-def: $vgpr2
	s_and_saveexec_b64 s[18:19], vcc
	s_cbranch_execz .LBB266_5
; %bb.4:
	global_load_ubyte v2, v0, s[16:17] offset:64
.LBB266_5:
	s_or_b64 exec, exec, s[18:19]
	v_or_b32_e32 v3, 0x80, v0
	v_cmp_gt_u32_e32 vcc, s21, v3
                                        ; implicit-def: $vgpr3
	s_and_saveexec_b64 s[18:19], vcc
	s_cbranch_execz .LBB266_7
; %bb.6:
	global_load_ubyte v3, v0, s[16:17] offset:128
.LBB266_7:
	s_or_b64 exec, exec, s[18:19]
	v_or_b32_e32 v4, 0xc0, v0
	v_cmp_gt_u32_e32 vcc, s21, v4
                                        ; implicit-def: $vgpr4
	s_and_saveexec_b64 s[18:19], vcc
	s_cbranch_execz .LBB266_9
; %bb.8:
	global_load_ubyte v4, v0, s[16:17] offset:192
.LBB266_9:
	s_or_b64 exec, exec, s[18:19]
	v_or_b32_e32 v5, 0x100, v0
	v_cmp_gt_u32_e32 vcc, s21, v5
                                        ; implicit-def: $vgpr5
	s_and_saveexec_b64 s[18:19], vcc
	s_cbranch_execz .LBB266_11
; %bb.10:
	global_load_ubyte v5, v0, s[16:17] offset:256
.LBB266_11:
	s_or_b64 exec, exec, s[18:19]
	v_or_b32_e32 v6, 0x140, v0
	v_cmp_gt_u32_e32 vcc, s21, v6
                                        ; implicit-def: $vgpr6
	s_and_saveexec_b64 s[18:19], vcc
	s_cbranch_execz .LBB266_13
; %bb.12:
	global_load_ubyte v6, v0, s[16:17] offset:320
.LBB266_13:
	s_or_b64 exec, exec, s[18:19]
	v_or_b32_e32 v7, 0x180, v0
	v_cmp_gt_u32_e32 vcc, s21, v7
                                        ; implicit-def: $vgpr7
	s_and_saveexec_b64 s[18:19], vcc
	s_cbranch_execz .LBB266_15
; %bb.14:
	global_load_ubyte v7, v0, s[16:17] offset:384
.LBB266_15:
	s_or_b64 exec, exec, s[18:19]
	v_or_b32_e32 v8, 0x1c0, v0
	v_cmp_gt_u32_e32 vcc, s21, v8
                                        ; implicit-def: $vgpr8
	s_and_saveexec_b64 s[18:19], vcc
	s_cbranch_execz .LBB266_17
; %bb.16:
	global_load_ubyte v8, v0, s[16:17] offset:448
.LBB266_17:
	s_or_b64 exec, exec, s[18:19]
	v_or_b32_e32 v9, 0x200, v0
	v_cmp_gt_u32_e32 vcc, s21, v9
                                        ; implicit-def: $vgpr9
	s_and_saveexec_b64 s[18:19], vcc
	s_cbranch_execz .LBB266_19
; %bb.18:
	global_load_ubyte v9, v0, s[16:17] offset:512
.LBB266_19:
	s_or_b64 exec, exec, s[18:19]
	v_or_b32_e32 v10, 0x240, v0
	v_cmp_gt_u32_e32 vcc, s21, v10
                                        ; implicit-def: $vgpr10
	s_and_saveexec_b64 s[18:19], vcc
	s_cbranch_execz .LBB266_21
; %bb.20:
	global_load_ubyte v10, v0, s[16:17] offset:576
.LBB266_21:
	s_or_b64 exec, exec, s[18:19]
	v_or_b32_e32 v11, 0x280, v0
	v_cmp_gt_u32_e32 vcc, s21, v11
                                        ; implicit-def: $vgpr11
	s_and_saveexec_b64 s[18:19], vcc
	s_cbranch_execz .LBB266_23
; %bb.22:
	global_load_ubyte v11, v0, s[16:17] offset:640
.LBB266_23:
	s_or_b64 exec, exec, s[18:19]
	v_or_b32_e32 v12, 0x2c0, v0
	v_cmp_gt_u32_e32 vcc, s21, v12
                                        ; implicit-def: $vgpr12
	s_and_saveexec_b64 s[18:19], vcc
	s_cbranch_execz .LBB266_25
; %bb.24:
	global_load_ubyte v12, v0, s[16:17] offset:704
.LBB266_25:
	s_or_b64 exec, exec, s[18:19]
	v_or_b32_e32 v13, 0x300, v0
	v_cmp_gt_u32_e32 vcc, s21, v13
                                        ; implicit-def: $vgpr13
	s_and_saveexec_b64 s[18:19], vcc
	s_cbranch_execz .LBB266_27
; %bb.26:
	global_load_ubyte v13, v0, s[16:17] offset:768
.LBB266_27:
	s_or_b64 exec, exec, s[18:19]
	v_or_b32_e32 v14, 0x340, v0
	v_cmp_gt_u32_e32 vcc, s21, v14
                                        ; implicit-def: $vgpr14
	s_and_saveexec_b64 s[18:19], vcc
	s_cbranch_execz .LBB266_29
; %bb.28:
	global_load_ubyte v14, v0, s[16:17] offset:832
.LBB266_29:
	s_or_b64 exec, exec, s[18:19]
	v_or_b32_e32 v15, 0x380, v0
	v_cmp_gt_u32_e32 vcc, s21, v15
                                        ; implicit-def: $vgpr15
	s_and_saveexec_b64 s[18:19], vcc
	s_cbranch_execz .LBB266_31
; %bb.30:
	global_load_ubyte v15, v0, s[16:17] offset:896
.LBB266_31:
	s_or_b64 exec, exec, s[18:19]
	v_or_b32_e32 v16, 0x3c0, v0
	v_cmp_gt_u32_e32 vcc, s21, v16
                                        ; implicit-def: $vgpr16
	s_and_saveexec_b64 s[18:19], vcc
	s_cbranch_execz .LBB266_33
; %bb.32:
	global_load_ubyte v16, v0, s[16:17] offset:960
.LBB266_33:
	s_or_b64 exec, exec, s[18:19]
	v_or_b32_e32 v17, 0x400, v0
	v_cmp_gt_u32_e32 vcc, s21, v17
                                        ; implicit-def: $vgpr17
	s_and_saveexec_b64 s[18:19], vcc
	s_cbranch_execz .LBB266_35
; %bb.34:
	global_load_ubyte v17, v0, s[16:17] offset:1024
.LBB266_35:
	s_or_b64 exec, exec, s[18:19]
	v_or_b32_e32 v18, 0x440, v0
	v_cmp_gt_u32_e32 vcc, s21, v18
                                        ; implicit-def: $vgpr18
	s_and_saveexec_b64 s[18:19], vcc
	s_cbranch_execz .LBB266_37
; %bb.36:
	global_load_ubyte v18, v0, s[16:17] offset:1088
.LBB266_37:
	s_or_b64 exec, exec, s[18:19]
	v_or_b32_e32 v19, 0x480, v0
	v_cmp_gt_u32_e32 vcc, s21, v19
                                        ; implicit-def: $vgpr19
	s_and_saveexec_b64 s[18:19], vcc
	s_cbranch_execz .LBB266_39
; %bb.38:
	global_load_ubyte v19, v0, s[16:17] offset:1152
.LBB266_39:
	s_or_b64 exec, exec, s[18:19]
	s_mov_b64 s[16:17], 0
	s_waitcnt vmcnt(0)
	ds_write_b8 v0, v1
	ds_write_b8 v0, v2 offset:64
	ds_write_b8 v0, v3 offset:128
	;; [unrolled: 1-line block ×18, first 2 shown]
	s_waitcnt lgkmcnt(0)
	; wave barrier
.LBB266_40:
	s_and_b64 vcc, exec, s[16:17]
	s_cbranch_vccz .LBB266_42
; %bb.41:
	s_add_u32 s16, s8, s20
	s_addc_u32 s17, s9, 0
	global_load_ubyte v1, v0, s[16:17]
	global_load_ubyte v2, v0, s[16:17] offset:64
	global_load_ubyte v3, v0, s[16:17] offset:128
	;; [unrolled: 1-line block ×18, first 2 shown]
	s_waitcnt vmcnt(18)
	ds_write_b8 v0, v1
	s_waitcnt vmcnt(17)
	ds_write_b8 v0, v2 offset:64
	s_waitcnt vmcnt(16)
	ds_write_b8 v0, v3 offset:128
	s_waitcnt vmcnt(15)
	ds_write_b8 v0, v4 offset:192
	s_waitcnt vmcnt(14)
	ds_write_b8 v0, v5 offset:256
	s_waitcnt vmcnt(13)
	ds_write_b8 v0, v6 offset:320
	s_waitcnt vmcnt(12)
	ds_write_b8 v0, v7 offset:384
	s_waitcnt vmcnt(11)
	ds_write_b8 v0, v8 offset:448
	s_waitcnt vmcnt(10)
	ds_write_b8 v0, v9 offset:512
	s_waitcnt vmcnt(9)
	ds_write_b8 v0, v10 offset:576
	s_waitcnt vmcnt(8)
	ds_write_b8 v0, v11 offset:640
	s_waitcnt vmcnt(7)
	ds_write_b8 v0, v12 offset:704
	s_waitcnt vmcnt(6)
	ds_write_b8 v0, v13 offset:768
	s_waitcnt vmcnt(5)
	ds_write_b8 v0, v14 offset:832
	s_waitcnt vmcnt(4)
	ds_write_b8 v0, v15 offset:896
	s_waitcnt vmcnt(3)
	ds_write_b8 v0, v16 offset:960
	s_waitcnt vmcnt(2)
	ds_write_b8 v0, v17 offset:1024
	s_waitcnt vmcnt(1)
	ds_write_b8 v0, v18 offset:1088
	s_waitcnt vmcnt(0)
	ds_write_b8 v0, v19 offset:1152
	s_waitcnt lgkmcnt(0)
	; wave barrier
.LBB266_42:
	v_mul_u32_u24_e32 v1, 19, v0
	s_waitcnt lgkmcnt(0)
	ds_read_u8 v7, v1
	ds_read_b64 v[4:5], v1 offset:1
	ds_read_u8 v6, v1 offset:9
	ds_read_b64 v[2:3], v1 offset:10
	ds_read_u8 v1, v1 offset:18
	s_cmp_eq_u64 s[4:5], 0
	s_waitcnt lgkmcnt(0)
	; wave barrier
	s_waitcnt lgkmcnt(0)
	s_cbranch_scc1 .LBB266_47
; %bb.43:
	v_mov_b32_e32 v8, s20
	global_load_ubyte v12, v8, s[8:9] offset:-1
	s_cmp_eq_u64 s[4:5], s[6:7]
	s_cbranch_scc1 .LBB266_48
; %bb.44:
	v_cmp_ne_u32_e32 vcc, 0, v0
	s_waitcnt vmcnt(0)
	v_mov_b32_e32 v8, v12
	ds_write_b8 v0, v1
	s_waitcnt lgkmcnt(0)
	; wave barrier
	s_waitcnt lgkmcnt(0)
	s_and_saveexec_b64 s[6:7], vcc
	s_cbranch_execz .LBB266_46
; %bb.45:
	v_add_u32_e32 v8, -1, v0
	ds_read_u8 v8, v8
.LBB266_46:
	s_or_b64 exec, exec, s[6:7]
	v_lshrrev_b32_e32 v9, 16, v4
	v_lshlrev_b16_e32 v13, 8, v4
	v_lshlrev_b16_e32 v15, 8, v9
	v_mov_b32_e32 v18, 8
	v_lshrrev_b32_e32 v9, 16, v2
	v_lshrrev_b32_sdwa v13, v18, v13 dst_sel:BYTE_1 dst_unused:UNUSED_PAD src0_sel:DWORD src1_sel:DWORD
	v_lshrrev_b32_sdwa v15, v18, v15 dst_sel:BYTE_1 dst_unused:UNUSED_PAD src0_sel:DWORD src1_sel:DWORD
	v_lshlrev_b16_e32 v16, 8, v2
	v_lshlrev_b16_e32 v17, 8, v9
	v_or_b32_sdwa v13, v7, v13 dst_sel:DWORD dst_unused:UNUSED_PAD src0_sel:BYTE_0 src1_sel:DWORD
	v_or_b32_sdwa v15, v4, v15 dst_sel:WORD_1 dst_unused:UNUSED_PAD src0_sel:BYTE_1 src1_sel:DWORD
	v_or_b32_sdwa v15, v13, v15 dst_sel:DWORD dst_unused:UNUSED_PAD src0_sel:WORD_0 src1_sel:DWORD
	v_lshrrev_b32_sdwa v13, v18, v16 dst_sel:BYTE_1 dst_unused:UNUSED_PAD src0_sel:DWORD src1_sel:DWORD
	v_lshrrev_b32_sdwa v16, v18, v17 dst_sel:BYTE_1 dst_unused:UNUSED_PAD src0_sel:DWORD src1_sel:DWORD
	s_mov_b32 s5, 0x2010007
	v_or_b32_sdwa v13, v6, v13 dst_sel:DWORD dst_unused:UNUSED_PAD src0_sel:BYTE_0 src1_sel:DWORD
	v_or_b32_sdwa v16, v2, v16 dst_sel:WORD_1 dst_unused:UNUSED_PAD src0_sel:BYTE_1 src1_sel:DWORD
	s_waitcnt lgkmcnt(0)
	v_sub_u16_e32 v8, v7, v8
	v_perm_b32 v14, v4, v5, s5
	v_lshrrev_b32_e32 v10, 24, v5
	v_perm_b32 v11, v2, v3, s5
	v_lshrrev_b32_e32 v9, 24, v3
	v_or_b32_sdwa v13, v13, v16 dst_sel:DWORD dst_unused:UNUSED_PAD src0_sel:WORD_0 src1_sel:DWORD
	s_branch .LBB266_52
.LBB266_47:
                                        ; implicit-def: $vgpr11
                                        ; implicit-def: $vgpr13
                                        ; implicit-def: $vgpr14
                                        ; implicit-def: $vgpr15
                                        ; implicit-def: $vgpr8
                                        ; implicit-def: $vgpr10
                                        ; implicit-def: $vgpr9
	s_branch .LBB266_53
.LBB266_48:
                                        ; implicit-def: $vgpr11
                                        ; implicit-def: $vgpr13
                                        ; implicit-def: $vgpr14
                                        ; implicit-def: $vgpr15
                                        ; implicit-def: $vgpr8
                                        ; implicit-def: $vgpr10
                                        ; implicit-def: $vgpr9
	s_cbranch_execz .LBB266_52
; %bb.49:
	v_mul_u32_u24_e32 v8, 19, v0
	v_cmp_ne_u32_e32 vcc, 0, v0
	ds_write_b8 v0, v1
	s_waitcnt lgkmcnt(0)
	; wave barrier
	s_waitcnt lgkmcnt(0)
	s_and_saveexec_b64 s[6:7], vcc
	s_cbranch_execz .LBB266_51
; %bb.50:
	v_add_u32_e32 v9, -1, v0
	s_waitcnt vmcnt(0)
	ds_read_u8 v12, v9
.LBB266_51:
	s_or_b64 exec, exec, s[6:7]
	s_mulk_i32 s4, 0xfb40
	s_add_i32 s4, s4, s14
	v_add_u32_e32 v9, 18, v8
	v_lshrrev_b32_e32 v21, 24, v3
	v_cmp_gt_u32_e32 vcc, s4, v9
	v_cndmask_b32_e32 v9, 0, v21, vcc
	v_add_u32_e32 v21, 16, v8
	v_lshrrev_b16_e32 v20, 8, v3
	v_add_u32_e32 v22, 17, v8
	v_cmp_gt_u32_e32 vcc, s4, v21
	v_lshrrev_b32_e32 v19, 16, v3
	v_add_u32_e32 v23, 14, v8
	v_cndmask_b32_e32 v20, 0, v20, vcc
	v_cmp_gt_u32_e32 vcc, s4, v22
	v_lshrrev_b32_e32 v18, 24, v2
	v_add_u32_e32 v24, 15, v8
	v_cndmask_b32_e32 v19, 0, v19, vcc
	v_cmp_gt_u32_e32 vcc, s4, v23
	v_add_u32_e32 v25, 12, v8
	v_cndmask_b32_e32 v18, 0, v18, vcc
	v_cmp_gt_u32_e32 vcc, s4, v24
	v_lshrrev_b16_e32 v17, 8, v2
	v_add_u32_e32 v26, 13, v8
	v_cndmask_b32_e32 v22, 0, v3, vcc
	v_cmp_gt_u32_e32 vcc, s4, v25
	v_lshrrev_b32_e32 v10, 16, v2
	v_add_u32_e32 v27, 11, v8
	v_cndmask_b32_e32 v17, 0, v17, vcc
	v_cmp_gt_u32_e32 vcc, s4, v26
	v_cndmask_b32_e32 v10, 0, v10, vcc
	v_cmp_gt_u32_e32 vcc, s4, v27
	v_add_u32_e32 v28, 10, v8
	v_lshlrev_b16_e32 v23, 8, v10
	v_cndmask_b32_e32 v10, 0, v2, vcc
	v_lshlrev_b16_e32 v24, 8, v10
	v_cmp_gt_u32_e32 vcc, s4, v28
	v_add_u32_e32 v10, 9, v8
	v_cndmask_b32_e32 v25, 0, v6, vcc
	v_lshrrev_b32_e32 v26, 24, v5
	v_cmp_gt_u32_e32 vcc, s4, v10
	v_cndmask_b32_e32 v10, 0, v26, vcc
	v_add_u32_e32 v26, 7, v8
	v_lshrrev_b16_e32 v16, 8, v5
	v_add_u32_e32 v27, 8, v8
	v_cmp_gt_u32_e32 vcc, s4, v26
	v_lshrrev_b32_e32 v15, 16, v5
	v_add_u32_e32 v28, 5, v8
	v_cndmask_b32_e32 v16, 0, v16, vcc
	v_cmp_gt_u32_e32 vcc, s4, v27
	v_lshrrev_b32_e32 v14, 24, v4
	v_add_u32_e32 v29, 6, v8
	v_cndmask_b32_e32 v15, 0, v15, vcc
	v_cmp_gt_u32_e32 vcc, s4, v28
	v_mov_b32_e32 v21, 8
	v_add_u32_e32 v30, 3, v8
	v_lshlrev_b16_e32 v15, 8, v15
	v_cndmask_b32_e32 v14, 0, v14, vcc
	v_cmp_gt_u32_e32 vcc, s4, v29
	v_lshrrev_b16_e32 v13, 8, v4
	v_add_u32_e32 v31, 4, v8
	v_lshrrev_b32_sdwa v26, v21, v15 dst_sel:BYTE_1 dst_unused:UNUSED_PAD src0_sel:DWORD src1_sel:DWORD
	v_cndmask_b32_e32 v15, 0, v5, vcc
	v_cmp_gt_u32_e32 vcc, s4, v30
	v_lshrrev_b32_e32 v11, 16, v4
	v_add_u32_e32 v32, 2, v8
	v_cndmask_b32_e32 v13, 0, v13, vcc
	v_cmp_gt_u32_e32 vcc, s4, v31
	v_add_u32_e32 v33, 1, v8
	v_lshlrev_b16_e32 v15, 8, v15
	v_cndmask_b32_e32 v11, 0, v11, vcc
	v_cmp_gt_u32_e32 vcc, s4, v32
	v_lshrrev_b32_sdwa v27, v21, v15 dst_sel:BYTE_1 dst_unused:UNUSED_PAD src0_sel:DWORD src1_sel:DWORD
	v_cndmask_b32_e32 v15, 0, v4, vcc
	v_cmp_gt_u32_e32 vcc, s4, v33
	v_lshlrev_b16_e32 v11, 8, v11
	v_lshlrev_b16_e32 v15, 8, v15
	v_cndmask_b32_e32 v28, 0, v7, vcc
	v_cmp_gt_u32_e32 vcc, s4, v8
	s_waitcnt vmcnt(0) lgkmcnt(0)
	v_cndmask_b32_e32 v8, 0, v12, vcc
	v_lshrrev_b32_sdwa v12, v21, v15 dst_sel:BYTE_1 dst_unused:UNUSED_PAD src0_sel:DWORD src1_sel:DWORD
	v_lshrrev_b32_sdwa v11, v21, v11 dst_sel:BYTE_1 dst_unused:UNUSED_PAD src0_sel:DWORD src1_sel:DWORD
	v_or_b32_sdwa v12, v28, v12 dst_sel:DWORD dst_unused:UNUSED_PAD src0_sel:BYTE_0 src1_sel:DWORD
	v_or_b32_sdwa v11, v13, v11 dst_sel:WORD_1 dst_unused:UNUSED_PAD src0_sel:DWORD src1_sel:DWORD
	v_or_b32_sdwa v15, v12, v11 dst_sel:DWORD dst_unused:UNUSED_PAD src0_sel:WORD_0 src1_sel:DWORD
	v_or_b32_e32 v11, v14, v27
	v_or_b32_sdwa v12, v16, v26 dst_sel:WORD_1 dst_unused:UNUSED_PAD src0_sel:DWORD src1_sel:DWORD
	v_lshlrev_b16_e32 v19, 8, v19
	v_lshlrev_b16_e32 v22, 8, v22
	v_or_b32_sdwa v14, v11, v12 dst_sel:DWORD dst_unused:UNUSED_PAD src0_sel:WORD_0 src1_sel:DWORD
	v_lshrrev_b32_sdwa v11, v21, v24 dst_sel:BYTE_1 dst_unused:UNUSED_PAD src0_sel:DWORD src1_sel:DWORD
	v_lshrrev_b32_sdwa v12, v21, v23 dst_sel:BYTE_1 dst_unused:UNUSED_PAD src0_sel:DWORD src1_sel:DWORD
	v_lshrrev_b32_sdwa v19, v21, v19 dst_sel:BYTE_1 dst_unused:UNUSED_PAD src0_sel:DWORD src1_sel:DWORD
	v_lshrrev_b32_sdwa v22, v21, v22 dst_sel:BYTE_1 dst_unused:UNUSED_PAD src0_sel:DWORD src1_sel:DWORD
	v_or_b32_sdwa v11, v25, v11 dst_sel:DWORD dst_unused:UNUSED_PAD src0_sel:BYTE_0 src1_sel:DWORD
	v_or_b32_sdwa v12, v17, v12 dst_sel:WORD_1 dst_unused:UNUSED_PAD src0_sel:DWORD src1_sel:DWORD
	v_or_b32_sdwa v13, v11, v12 dst_sel:DWORD dst_unused:UNUSED_PAD src0_sel:WORD_0 src1_sel:DWORD
	v_or_b32_e32 v11, v18, v22
	v_or_b32_sdwa v12, v20, v19 dst_sel:WORD_1 dst_unused:UNUSED_PAD src0_sel:DWORD src1_sel:DWORD
	v_sub_u16_e32 v8, v7, v8
	v_or_b32_sdwa v11, v11, v12 dst_sel:DWORD dst_unused:UNUSED_PAD src0_sel:WORD_0 src1_sel:DWORD
.LBB266_52:
	s_cbranch_execnz .LBB266_61
.LBB266_53:
	s_cmp_eq_u64 s[2:3], 1
	v_cmp_ne_u32_e32 vcc, 0, v0
	s_cbranch_scc1 .LBB266_57
; %bb.54:
	v_lshlrev_b16_e32 v8, 8, v4
	v_lshrrev_b32_e32 v9, 16, v4
	v_mov_b32_e32 v14, 8
	v_lshlrev_b16_e32 v9, 8, v9
	v_lshrrev_b32_sdwa v8, v14, v8 dst_sel:BYTE_1 dst_unused:UNUSED_PAD src0_sel:DWORD src1_sel:DWORD
	v_lshlrev_b16_e32 v10, 8, v2
	v_lshrrev_b32_e32 v11, 16, v2
	s_waitcnt vmcnt(0)
	v_or_b32_sdwa v12, v7, v8 dst_sel:DWORD dst_unused:UNUSED_PAD src0_sel:BYTE_0 src1_sel:DWORD
	v_lshrrev_b32_sdwa v8, v14, v9 dst_sel:BYTE_1 dst_unused:UNUSED_PAD src0_sel:DWORD src1_sel:DWORD
	v_lshlrev_b16_e32 v11, 8, v11
	v_or_b32_sdwa v13, v4, v8 dst_sel:WORD_1 dst_unused:UNUSED_PAD src0_sel:BYTE_1 src1_sel:DWORD
	v_lshrrev_b32_sdwa v8, v14, v10 dst_sel:BYTE_1 dst_unused:UNUSED_PAD src0_sel:DWORD src1_sel:DWORD
	v_or_b32_sdwa v16, v6, v8 dst_sel:DWORD dst_unused:UNUSED_PAD src0_sel:BYTE_0 src1_sel:DWORD
	v_lshrrev_b32_sdwa v8, v14, v11 dst_sel:BYTE_1 dst_unused:UNUSED_PAD src0_sel:DWORD src1_sel:DWORD
	s_mov_b32 s4, 0x2010007
	v_or_b32_sdwa v17, v2, v8 dst_sel:WORD_1 dst_unused:UNUSED_PAD src0_sel:BYTE_1 src1_sel:DWORD
	v_mov_b32_e32 v8, v7
	ds_write_b8 v0, v1
	s_waitcnt lgkmcnt(0)
	; wave barrier
	s_waitcnt lgkmcnt(0)
	s_and_saveexec_b64 s[2:3], vcc
	s_cbranch_execz .LBB266_56
; %bb.55:
	v_add_u32_e32 v8, -1, v0
	ds_read_u8 v8, v8
	s_waitcnt lgkmcnt(0)
	v_sub_u16_e32 v8, v7, v8
.LBB266_56:
	s_or_b64 exec, exec, s[2:3]
	v_perm_b32 v14, v4, v5, s4
	v_lshrrev_b32_e32 v10, 24, v5
	v_perm_b32 v11, v2, v3, s4
	v_lshrrev_b32_e32 v9, 24, v3
	v_or_b32_sdwa v15, v12, v13 dst_sel:DWORD dst_unused:UNUSED_PAD src0_sel:WORD_0 src1_sel:DWORD
	v_or_b32_sdwa v13, v16, v17 dst_sel:DWORD dst_unused:UNUSED_PAD src0_sel:WORD_0 src1_sel:DWORD
	s_cbranch_execz .LBB266_58
	s_branch .LBB266_61
.LBB266_57:
                                        ; implicit-def: $vgpr11
                                        ; implicit-def: $vgpr13
                                        ; implicit-def: $vgpr14
                                        ; implicit-def: $vgpr15
                                        ; implicit-def: $vgpr8
                                        ; implicit-def: $vgpr10
                                        ; implicit-def: $vgpr9
.LBB266_58:
	v_mad_u32_u24 v20, v0, 19, 16
	v_lshrrev_b16_e32 v18, 8, v3
	v_mad_u32_u24 v21, v0, 19, 17
	v_cmp_gt_u32_e64 s[2:3], s14, v20
	v_lshrrev_b32_e32 v17, 16, v3
	v_mad_u32_u24 v22, v0, 19, 14
	v_cndmask_b32_e64 v20, 0, v18, s[2:3]
	v_cmp_gt_u32_e64 s[2:3], s14, v21
	v_lshrrev_b32_e32 v16, 24, v2
	v_mad_u32_u24 v23, v0, 19, 15
	v_cndmask_b32_e64 v17, 0, v17, s[2:3]
	v_cmp_gt_u32_e64 s[2:3], s14, v22
	v_mad_u32_u24 v24, v0, 19, 12
	v_cndmask_b32_e64 v22, 0, v16, s[2:3]
	v_cmp_gt_u32_e64 s[2:3], s14, v23
	v_lshrrev_b16_e32 v15, 8, v2
	v_mad_u32_u24 v25, v0, 19, 13
	v_cndmask_b32_e64 v16, 0, v3, s[2:3]
	v_cmp_gt_u32_e64 s[2:3], s14, v24
	v_lshrrev_b32_e32 v10, 16, v2
	v_mad_u32_u24 v26, v0, 19, 11
	v_cndmask_b32_e64 v15, 0, v15, s[2:3]
	v_cmp_gt_u32_e64 s[2:3], s14, v25
	v_mad_u32_u24 v25, v0, 19, 7
	v_lshrrev_b16_e32 v14, 8, v5
	v_cndmask_b32_e64 v10, 0, v10, s[2:3]
	v_cmp_gt_u32_e64 s[2:3], s14, v26
	v_mad_u32_u24 v26, v0, 19, 8
	v_cmp_gt_u32_e64 s[4:5], s14, v25
	v_lshrrev_b32_e32 v13, 16, v5
	v_mad_u32_u24 v27, v0, 19, 10
	v_lshlrev_b16_e32 v17, 8, v17
	v_mov_b32_e32 v18, 8
	v_cndmask_b32_e64 v14, 0, v14, s[4:5]
	v_cmp_gt_u32_e64 s[4:5], s14, v26
	v_lshrrev_b32_sdwa v21, v18, v17 dst_sel:BYTE_1 dst_unused:UNUSED_PAD src0_sel:DWORD src1_sel:DWORD
	v_lshlrev_b16_e32 v17, 8, v10
	v_cndmask_b32_e64 v10, 0, v2, s[2:3]
	v_cmp_gt_u32_e64 s[2:3], s14, v27
	v_mad_u32_u24 v27, v0, 19, 5
	v_cndmask_b32_e64 v13, 0, v13, s[4:5]
	s_waitcnt vmcnt(0)
	v_lshrrev_b32_e32 v12, 24, v4
	v_mad_u32_u24 v28, v0, 19, 6
	v_lshlrev_b16_e32 v13, 8, v13
	v_cmp_gt_u32_e64 s[4:5], s14, v27
	v_lshrrev_b32_sdwa v25, v18, v13 dst_sel:BYTE_1 dst_unused:UNUSED_PAD src0_sel:DWORD src1_sel:DWORD
	v_cndmask_b32_e64 v13, 0, v12, s[4:5]
	v_cmp_gt_u32_e64 s[4:5], s14, v28
	v_mad_u32_u24 v29, v0, 19, 3
	v_cndmask_b32_e64 v12, 0, v5, s[4:5]
	v_lshrrev_b16_e32 v11, 8, v4
	v_mad_u32_u24 v30, v0, 19, 4
	v_lshlrev_b16_e32 v12, 8, v12
	v_cmp_gt_u32_e64 s[4:5], s14, v29
	v_lshrrev_b32_e32 v9, 16, v4
	v_lshrrev_b32_sdwa v26, v18, v12 dst_sel:BYTE_1 dst_unused:UNUSED_PAD src0_sel:DWORD src1_sel:DWORD
	v_cndmask_b32_e64 v12, 0, v11, s[4:5]
	v_cmp_gt_u32_e64 s[4:5], s14, v30
	v_mad_u32_u24 v31, v0, 19, 2
	v_cndmask_b32_e64 v9, 0, v9, s[4:5]
	v_lshlrev_b16_e32 v16, 8, v16
	v_lshlrev_b16_e32 v9, 8, v9
	v_cmp_gt_u32_e64 s[4:5], s14, v31
	v_lshrrev_b32_sdwa v23, v18, v16 dst_sel:BYTE_1 dst_unused:UNUSED_PAD src0_sel:DWORD src1_sel:DWORD
	v_lshlrev_b16_e32 v16, 8, v10
	v_mad_u32_u24 v32, v0, 19, 1
	v_cndmask_b32_e64 v11, 0, v4, s[4:5]
	v_lshrrev_b32_sdwa v9, v18, v9 dst_sel:BYTE_1 dst_unused:UNUSED_PAD src0_sel:DWORD src1_sel:DWORD
	v_mul_u32_u24_e32 v19, 19, v0
	v_cndmask_b32_e64 v24, 0, v6, s[2:3]
	v_lshlrev_b16_e32 v11, 8, v11
	v_cmp_gt_u32_e64 s[4:5], s14, v32
	v_or_b32_sdwa v12, v12, v9 dst_sel:WORD_1 dst_unused:UNUSED_PAD src0_sel:DWORD src1_sel:DWORD
	v_lshrrev_b32_sdwa v9, v18, v16 dst_sel:BYTE_1 dst_unused:UNUSED_PAD src0_sel:DWORD src1_sel:DWORD
	v_mad_u32_u24 v8, v0, 19, 18
	v_mad_u32_u24 v10, v0, 19, 9
	v_cndmask_b32_e64 v27, 0, v7, s[4:5]
	v_cmp_ne_u32_e64 s[4:5], 0, v0
	v_cmp_gt_u32_e64 s[6:7], s14, v19
	v_lshrrev_b32_sdwa v11, v18, v11 dst_sel:BYTE_1 dst_unused:UNUSED_PAD src0_sel:DWORD src1_sel:DWORD
	v_or_b32_sdwa v16, v24, v9 dst_sel:DWORD dst_unused:UNUSED_PAD src0_sel:BYTE_0 src1_sel:DWORD
	v_lshrrev_b32_sdwa v9, v18, v17 dst_sel:BYTE_1 dst_unused:UNUSED_PAD src0_sel:DWORD src1_sel:DWORD
	v_cmp_gt_u32_e32 vcc, s14, v8
	v_lshrrev_b32_e32 v8, 24, v3
	v_cmp_gt_u32_e64 s[2:3], s14, v10
	v_lshrrev_b32_e32 v10, 24, v5
	s_and_b64 s[6:7], s[4:5], s[6:7]
	v_or_b32_sdwa v11, v27, v11 dst_sel:DWORD dst_unused:UNUSED_PAD src0_sel:BYTE_0 src1_sel:DWORD
	v_or_b32_e32 v13, v13, v26
	v_or_b32_sdwa v14, v14, v25 dst_sel:WORD_1 dst_unused:UNUSED_PAD src0_sel:DWORD src1_sel:DWORD
	v_or_b32_sdwa v17, v15, v9 dst_sel:WORD_1 dst_unused:UNUSED_PAD src0_sel:DWORD src1_sel:DWORD
	v_or_b32_e32 v18, v22, v23
	v_or_b32_sdwa v19, v20, v21 dst_sel:WORD_1 dst_unused:UNUSED_PAD src0_sel:DWORD src1_sel:DWORD
	ds_write_b8 v0, v1
	s_waitcnt lgkmcnt(0)
	; wave barrier
	s_waitcnt lgkmcnt(0)
	s_and_saveexec_b64 s[4:5], s[6:7]
	s_cbranch_execz .LBB266_60
; %bb.59:
	v_add_u32_e32 v9, -1, v0
	ds_read_u8 v9, v9
	s_waitcnt lgkmcnt(0)
	v_sub_u16_e32 v7, v7, v9
.LBB266_60:
	s_or_b64 exec, exec, s[4:5]
	v_cndmask_b32_e32 v9, 0, v8, vcc
	v_cndmask_b32_e64 v10, 0, v10, s[2:3]
	v_or_b32_sdwa v15, v11, v12 dst_sel:DWORD dst_unused:UNUSED_PAD src0_sel:WORD_0 src1_sel:DWORD
	v_or_b32_sdwa v14, v13, v14 dst_sel:DWORD dst_unused:UNUSED_PAD src0_sel:WORD_0 src1_sel:DWORD
	;; [unrolled: 1-line block ×4, first 2 shown]
	v_mov_b32_e32 v8, v7
.LBB266_61:
	v_sub_u16_sdwa v7, v5, v14 dst_sel:BYTE_1 dst_unused:UNUSED_PAD src0_sel:BYTE_3 src1_sel:BYTE_3
	s_waitcnt vmcnt(0)
	v_sub_u16_sdwa v12, v5, v14 dst_sel:DWORD dst_unused:UNUSED_PAD src0_sel:WORD_1 src1_sel:WORD_1
	v_or_b32_sdwa v7, v12, v7 dst_sel:WORD_1 dst_unused:UNUSED_PAD src0_sel:BYTE_0 src1_sel:DWORD
	v_sub_u16_sdwa v12, v5, v14 dst_sel:BYTE_1 dst_unused:UNUSED_PAD src0_sel:BYTE_1 src1_sel:BYTE_1
	v_sub_u16_e32 v5, v5, v14
	v_or_b32_sdwa v5, v5, v12 dst_sel:DWORD dst_unused:UNUSED_PAD src0_sel:BYTE_0 src1_sel:DWORD
	v_or_b32_sdwa v5, v5, v7 dst_sel:DWORD dst_unused:UNUSED_PAD src0_sel:WORD_0 src1_sel:DWORD
	v_sub_u16_sdwa v7, v4, v15 dst_sel:BYTE_1 dst_unused:UNUSED_PAD src0_sel:BYTE_3 src1_sel:BYTE_3
	v_sub_u16_sdwa v12, v4, v15 dst_sel:DWORD dst_unused:UNUSED_PAD src0_sel:WORD_1 src1_sel:WORD_1
	v_or_b32_sdwa v7, v12, v7 dst_sel:WORD_1 dst_unused:UNUSED_PAD src0_sel:BYTE_0 src1_sel:DWORD
	v_sub_u16_sdwa v12, v4, v15 dst_sel:BYTE_1 dst_unused:UNUSED_PAD src0_sel:BYTE_1 src1_sel:BYTE_1
	v_sub_u16_e32 v4, v4, v15
	v_or_b32_sdwa v4, v4, v12 dst_sel:DWORD dst_unused:UNUSED_PAD src0_sel:BYTE_0 src1_sel:DWORD
	v_or_b32_sdwa v4, v4, v7 dst_sel:DWORD dst_unused:UNUSED_PAD src0_sel:WORD_0 src1_sel:DWORD
	v_sub_u16_e32 v10, v6, v10
	v_sub_u16_sdwa v6, v3, v11 dst_sel:BYTE_1 dst_unused:UNUSED_PAD src0_sel:BYTE_3 src1_sel:BYTE_3
	v_sub_u16_sdwa v7, v3, v11 dst_sel:DWORD dst_unused:UNUSED_PAD src0_sel:WORD_1 src1_sel:WORD_1
	v_or_b32_sdwa v6, v7, v6 dst_sel:WORD_1 dst_unused:UNUSED_PAD src0_sel:BYTE_0 src1_sel:DWORD
	v_sub_u16_sdwa v7, v3, v11 dst_sel:BYTE_1 dst_unused:UNUSED_PAD src0_sel:BYTE_1 src1_sel:BYTE_1
	v_sub_u16_e32 v3, v3, v11
	v_or_b32_sdwa v3, v3, v7 dst_sel:DWORD dst_unused:UNUSED_PAD src0_sel:BYTE_0 src1_sel:DWORD
	v_or_b32_sdwa v3, v3, v6 dst_sel:DWORD dst_unused:UNUSED_PAD src0_sel:WORD_0 src1_sel:DWORD
	v_sub_u16_sdwa v6, v2, v13 dst_sel:BYTE_1 dst_unused:UNUSED_PAD src0_sel:BYTE_3 src1_sel:BYTE_3
	v_sub_u16_sdwa v7, v2, v13 dst_sel:DWORD dst_unused:UNUSED_PAD src0_sel:WORD_1 src1_sel:WORD_1
	v_or_b32_sdwa v6, v7, v6 dst_sel:WORD_1 dst_unused:UNUSED_PAD src0_sel:BYTE_0 src1_sel:DWORD
	v_sub_u16_sdwa v7, v2, v13 dst_sel:BYTE_1 dst_unused:UNUSED_PAD src0_sel:BYTE_1 src1_sel:BYTE_1
	v_sub_u16_e32 v2, v2, v13
	s_add_u32 s4, s12, s10
	v_or_b32_sdwa v2, v2, v7 dst_sel:DWORD dst_unused:UNUSED_PAD src0_sel:BYTE_0 src1_sel:DWORD
	s_addc_u32 s5, s13, s11
	v_or_b32_sdwa v2, v2, v6 dst_sel:DWORD dst_unused:UNUSED_PAD src0_sel:WORD_0 src1_sel:DWORD
	v_sub_u16_e32 v1, v1, v9
	s_and_b64 vcc, exec, s[0:1]
	v_mul_u32_u24_e32 v9, 19, v0
	s_waitcnt lgkmcnt(0)
	; wave barrier
	s_cbranch_vccz .LBB266_99
; %bb.62:
	ds_write_b8 v9, v8
	ds_write_b64 v9, v[4:5] offset:1
	ds_write_b8 v9, v10 offset:9
	ds_write_b64 v9, v[2:3] offset:10
	ds_write_b8 v9, v1 offset:18
	s_waitcnt lgkmcnt(0)
	; wave barrier
	s_waitcnt lgkmcnt(0)
	ds_read_u8 v28, v0 offset:64
	ds_read_u8 v27, v0 offset:128
	;; [unrolled: 1-line block ×18, first 2 shown]
	s_add_i32 s15, s15, s14
	s_add_u32 s0, s4, s20
	s_addc_u32 s1, s5, 0
	v_mov_b32_e32 v7, s1
	v_add_co_u32_e32 v6, vcc, s0, v0
	v_addc_co_u32_e32 v7, vcc, 0, v7, vcc
	v_cmp_gt_u32_e32 vcc, s15, v0
	s_and_saveexec_b64 s[0:1], vcc
	s_cbranch_execz .LBB266_64
; %bb.63:
	ds_read_u8 v29, v0
	s_waitcnt lgkmcnt(0)
	global_store_byte v[6:7], v29, off
.LBB266_64:
	s_or_b64 exec, exec, s[0:1]
	v_or_b32_e32 v29, 64, v0
	v_cmp_gt_u32_e32 vcc, s15, v29
	s_and_saveexec_b64 s[0:1], vcc
	s_cbranch_execz .LBB266_66
; %bb.65:
	s_waitcnt lgkmcnt(14)
	global_store_byte v[6:7], v28, off offset:64
.LBB266_66:
	s_or_b64 exec, exec, s[0:1]
	s_waitcnt lgkmcnt(14)
	v_or_b32_e32 v28, 0x80, v0
	v_cmp_gt_u32_e32 vcc, s15, v28
	s_and_saveexec_b64 s[0:1], vcc
	s_cbranch_execz .LBB266_68
; %bb.67:
	global_store_byte v[6:7], v27, off offset:128
.LBB266_68:
	s_or_b64 exec, exec, s[0:1]
	v_or_b32_e32 v27, 0xc0, v0
	v_cmp_gt_u32_e32 vcc, s15, v27
	s_and_saveexec_b64 s[0:1], vcc
	s_cbranch_execz .LBB266_70
; %bb.69:
	global_store_byte v[6:7], v26, off offset:192
.LBB266_70:
	s_or_b64 exec, exec, s[0:1]
	;; [unrolled: 8-line block ×3, first 2 shown]
	v_or_b32_e32 v25, 0x140, v0
	v_cmp_gt_u32_e32 vcc, s15, v25
	s_and_saveexec_b64 s[0:1], vcc
	s_cbranch_execz .LBB266_74
; %bb.73:
	s_waitcnt lgkmcnt(13)
	global_store_byte v[6:7], v24, off offset:320
.LBB266_74:
	s_or_b64 exec, exec, s[0:1]
	s_waitcnt lgkmcnt(13)
	v_or_b32_e32 v24, 0x180, v0
	v_cmp_gt_u32_e32 vcc, s15, v24
	s_and_saveexec_b64 s[0:1], vcc
	s_cbranch_execz .LBB266_76
; %bb.75:
	s_waitcnt lgkmcnt(12)
	global_store_byte v[6:7], v23, off offset:384
.LBB266_76:
	s_or_b64 exec, exec, s[0:1]
	s_waitcnt lgkmcnt(12)
	;; [unrolled: 10-line block ×13, first 2 shown]
	v_or_b32_e32 v12, 0x480, v0
	v_cmp_gt_u32_e64 s[0:1], s15, v12
	s_branch .LBB266_101
.LBB266_99:
	s_mov_b64 s[0:1], 0
                                        ; implicit-def: $vgpr11
                                        ; implicit-def: $vgpr6_vgpr7
	s_cbranch_execz .LBB266_101
; %bb.100:
	s_add_u32 s2, s4, s20
	ds_write_b8 v9, v8
	ds_write_b64 v9, v[4:5] offset:1
	ds_write_b8 v9, v10 offset:9
	ds_write_b64 v9, v[2:3] offset:10
	ds_write_b8 v9, v1 offset:18
	s_waitcnt lgkmcnt(0)
	; wave barrier
	s_waitcnt lgkmcnt(0)
	ds_read_u8 v1, v0
	ds_read_u8 v2, v0 offset:64
	ds_read_u8 v3, v0 offset:128
	;; [unrolled: 1-line block ×18, first 2 shown]
	s_addc_u32 s3, s5, 0
	v_mov_b32_e32 v7, s3
	v_add_co_u32_e32 v6, vcc, s2, v0
	v_addc_co_u32_e32 v7, vcc, 0, v7, vcc
	s_or_b64 s[0:1], s[0:1], exec
	s_waitcnt lgkmcnt(14)
	global_store_byte v0, v1, s[2:3]
	global_store_byte v0, v2, s[2:3] offset:64
	global_store_byte v0, v3, s[2:3] offset:128
	;; [unrolled: 1-line block ×4, first 2 shown]
	s_waitcnt lgkmcnt(13)
	global_store_byte v0, v8, s[2:3] offset:320
	s_waitcnt lgkmcnt(12)
	global_store_byte v0, v9, s[2:3] offset:384
	;; [unrolled: 2-line block ×13, first 2 shown]
.LBB266_101:
	s_and_saveexec_b64 s[2:3], s[0:1]
	s_cbranch_execnz .LBB266_103
; %bb.102:
	s_endpgm
.LBB266_103:
	s_waitcnt lgkmcnt(0)
	global_store_byte v[6:7], v11, off offset:1152
	s_endpgm
	.section	.rodata,"a",@progbits
	.p2align	6, 0x0
	.amdhsa_kernel _ZN7rocprim17ROCPRIM_400000_NS6detail17trampoline_kernelINS0_14default_configENS1_35adjacent_difference_config_selectorILb0EhEEZNS1_24adjacent_difference_implIS3_Lb0ELb0EPhS7_N6thrust23THRUST_200600_302600_NS5minusIhEEEE10hipError_tPvRmT2_T3_mT4_P12ihipStream_tbEUlT_E_NS1_11comp_targetILNS1_3genE4ELNS1_11target_archE910ELNS1_3gpuE8ELNS1_3repE0EEENS1_30default_config_static_selectorELNS0_4arch9wavefront6targetE1EEEvT1_
		.amdhsa_group_segment_fixed_size 1216
		.amdhsa_private_segment_fixed_size 0
		.amdhsa_kernarg_size 56
		.amdhsa_user_sgpr_count 6
		.amdhsa_user_sgpr_private_segment_buffer 1
		.amdhsa_user_sgpr_dispatch_ptr 0
		.amdhsa_user_sgpr_queue_ptr 0
		.amdhsa_user_sgpr_kernarg_segment_ptr 1
		.amdhsa_user_sgpr_dispatch_id 0
		.amdhsa_user_sgpr_flat_scratch_init 0
		.amdhsa_user_sgpr_kernarg_preload_length 0
		.amdhsa_user_sgpr_kernarg_preload_offset 0
		.amdhsa_user_sgpr_private_segment_size 0
		.amdhsa_uses_dynamic_stack 0
		.amdhsa_system_sgpr_private_segment_wavefront_offset 0
		.amdhsa_system_sgpr_workgroup_id_x 1
		.amdhsa_system_sgpr_workgroup_id_y 0
		.amdhsa_system_sgpr_workgroup_id_z 0
		.amdhsa_system_sgpr_workgroup_info 0
		.amdhsa_system_vgpr_workitem_id 0
		.amdhsa_next_free_vgpr 34
		.amdhsa_next_free_sgpr 22
		.amdhsa_accum_offset 36
		.amdhsa_reserve_vcc 1
		.amdhsa_reserve_flat_scratch 0
		.amdhsa_float_round_mode_32 0
		.amdhsa_float_round_mode_16_64 0
		.amdhsa_float_denorm_mode_32 3
		.amdhsa_float_denorm_mode_16_64 3
		.amdhsa_dx10_clamp 1
		.amdhsa_ieee_mode 1
		.amdhsa_fp16_overflow 0
		.amdhsa_tg_split 0
		.amdhsa_exception_fp_ieee_invalid_op 0
		.amdhsa_exception_fp_denorm_src 0
		.amdhsa_exception_fp_ieee_div_zero 0
		.amdhsa_exception_fp_ieee_overflow 0
		.amdhsa_exception_fp_ieee_underflow 0
		.amdhsa_exception_fp_ieee_inexact 0
		.amdhsa_exception_int_div_zero 0
	.end_amdhsa_kernel
	.section	.text._ZN7rocprim17ROCPRIM_400000_NS6detail17trampoline_kernelINS0_14default_configENS1_35adjacent_difference_config_selectorILb0EhEEZNS1_24adjacent_difference_implIS3_Lb0ELb0EPhS7_N6thrust23THRUST_200600_302600_NS5minusIhEEEE10hipError_tPvRmT2_T3_mT4_P12ihipStream_tbEUlT_E_NS1_11comp_targetILNS1_3genE4ELNS1_11target_archE910ELNS1_3gpuE8ELNS1_3repE0EEENS1_30default_config_static_selectorELNS0_4arch9wavefront6targetE1EEEvT1_,"axG",@progbits,_ZN7rocprim17ROCPRIM_400000_NS6detail17trampoline_kernelINS0_14default_configENS1_35adjacent_difference_config_selectorILb0EhEEZNS1_24adjacent_difference_implIS3_Lb0ELb0EPhS7_N6thrust23THRUST_200600_302600_NS5minusIhEEEE10hipError_tPvRmT2_T3_mT4_P12ihipStream_tbEUlT_E_NS1_11comp_targetILNS1_3genE4ELNS1_11target_archE910ELNS1_3gpuE8ELNS1_3repE0EEENS1_30default_config_static_selectorELNS0_4arch9wavefront6targetE1EEEvT1_,comdat
.Lfunc_end266:
	.size	_ZN7rocprim17ROCPRIM_400000_NS6detail17trampoline_kernelINS0_14default_configENS1_35adjacent_difference_config_selectorILb0EhEEZNS1_24adjacent_difference_implIS3_Lb0ELb0EPhS7_N6thrust23THRUST_200600_302600_NS5minusIhEEEE10hipError_tPvRmT2_T3_mT4_P12ihipStream_tbEUlT_E_NS1_11comp_targetILNS1_3genE4ELNS1_11target_archE910ELNS1_3gpuE8ELNS1_3repE0EEENS1_30default_config_static_selectorELNS0_4arch9wavefront6targetE1EEEvT1_, .Lfunc_end266-_ZN7rocprim17ROCPRIM_400000_NS6detail17trampoline_kernelINS0_14default_configENS1_35adjacent_difference_config_selectorILb0EhEEZNS1_24adjacent_difference_implIS3_Lb0ELb0EPhS7_N6thrust23THRUST_200600_302600_NS5minusIhEEEE10hipError_tPvRmT2_T3_mT4_P12ihipStream_tbEUlT_E_NS1_11comp_targetILNS1_3genE4ELNS1_11target_archE910ELNS1_3gpuE8ELNS1_3repE0EEENS1_30default_config_static_selectorELNS0_4arch9wavefront6targetE1EEEvT1_
                                        ; -- End function
	.section	.AMDGPU.csdata,"",@progbits
; Kernel info:
; codeLenInByte = 5080
; NumSgprs: 26
; NumVgprs: 34
; NumAgprs: 0
; TotalNumVgprs: 34
; ScratchSize: 0
; MemoryBound: 0
; FloatMode: 240
; IeeeMode: 1
; LDSByteSize: 1216 bytes/workgroup (compile time only)
; SGPRBlocks: 3
; VGPRBlocks: 4
; NumSGPRsForWavesPerEU: 26
; NumVGPRsForWavesPerEU: 34
; AccumOffset: 36
; Occupancy: 8
; WaveLimiterHint : 0
; COMPUTE_PGM_RSRC2:SCRATCH_EN: 0
; COMPUTE_PGM_RSRC2:USER_SGPR: 6
; COMPUTE_PGM_RSRC2:TRAP_HANDLER: 0
; COMPUTE_PGM_RSRC2:TGID_X_EN: 1
; COMPUTE_PGM_RSRC2:TGID_Y_EN: 0
; COMPUTE_PGM_RSRC2:TGID_Z_EN: 0
; COMPUTE_PGM_RSRC2:TIDIG_COMP_CNT: 0
; COMPUTE_PGM_RSRC3_GFX90A:ACCUM_OFFSET: 8
; COMPUTE_PGM_RSRC3_GFX90A:TG_SPLIT: 0
	.section	.text._ZN7rocprim17ROCPRIM_400000_NS6detail17trampoline_kernelINS0_14default_configENS1_35adjacent_difference_config_selectorILb0EhEEZNS1_24adjacent_difference_implIS3_Lb0ELb0EPhS7_N6thrust23THRUST_200600_302600_NS5minusIhEEEE10hipError_tPvRmT2_T3_mT4_P12ihipStream_tbEUlT_E_NS1_11comp_targetILNS1_3genE3ELNS1_11target_archE908ELNS1_3gpuE7ELNS1_3repE0EEENS1_30default_config_static_selectorELNS0_4arch9wavefront6targetE1EEEvT1_,"axG",@progbits,_ZN7rocprim17ROCPRIM_400000_NS6detail17trampoline_kernelINS0_14default_configENS1_35adjacent_difference_config_selectorILb0EhEEZNS1_24adjacent_difference_implIS3_Lb0ELb0EPhS7_N6thrust23THRUST_200600_302600_NS5minusIhEEEE10hipError_tPvRmT2_T3_mT4_P12ihipStream_tbEUlT_E_NS1_11comp_targetILNS1_3genE3ELNS1_11target_archE908ELNS1_3gpuE7ELNS1_3repE0EEENS1_30default_config_static_selectorELNS0_4arch9wavefront6targetE1EEEvT1_,comdat
	.protected	_ZN7rocprim17ROCPRIM_400000_NS6detail17trampoline_kernelINS0_14default_configENS1_35adjacent_difference_config_selectorILb0EhEEZNS1_24adjacent_difference_implIS3_Lb0ELb0EPhS7_N6thrust23THRUST_200600_302600_NS5minusIhEEEE10hipError_tPvRmT2_T3_mT4_P12ihipStream_tbEUlT_E_NS1_11comp_targetILNS1_3genE3ELNS1_11target_archE908ELNS1_3gpuE7ELNS1_3repE0EEENS1_30default_config_static_selectorELNS0_4arch9wavefront6targetE1EEEvT1_ ; -- Begin function _ZN7rocprim17ROCPRIM_400000_NS6detail17trampoline_kernelINS0_14default_configENS1_35adjacent_difference_config_selectorILb0EhEEZNS1_24adjacent_difference_implIS3_Lb0ELb0EPhS7_N6thrust23THRUST_200600_302600_NS5minusIhEEEE10hipError_tPvRmT2_T3_mT4_P12ihipStream_tbEUlT_E_NS1_11comp_targetILNS1_3genE3ELNS1_11target_archE908ELNS1_3gpuE7ELNS1_3repE0EEENS1_30default_config_static_selectorELNS0_4arch9wavefront6targetE1EEEvT1_
	.globl	_ZN7rocprim17ROCPRIM_400000_NS6detail17trampoline_kernelINS0_14default_configENS1_35adjacent_difference_config_selectorILb0EhEEZNS1_24adjacent_difference_implIS3_Lb0ELb0EPhS7_N6thrust23THRUST_200600_302600_NS5minusIhEEEE10hipError_tPvRmT2_T3_mT4_P12ihipStream_tbEUlT_E_NS1_11comp_targetILNS1_3genE3ELNS1_11target_archE908ELNS1_3gpuE7ELNS1_3repE0EEENS1_30default_config_static_selectorELNS0_4arch9wavefront6targetE1EEEvT1_
	.p2align	8
	.type	_ZN7rocprim17ROCPRIM_400000_NS6detail17trampoline_kernelINS0_14default_configENS1_35adjacent_difference_config_selectorILb0EhEEZNS1_24adjacent_difference_implIS3_Lb0ELb0EPhS7_N6thrust23THRUST_200600_302600_NS5minusIhEEEE10hipError_tPvRmT2_T3_mT4_P12ihipStream_tbEUlT_E_NS1_11comp_targetILNS1_3genE3ELNS1_11target_archE908ELNS1_3gpuE7ELNS1_3repE0EEENS1_30default_config_static_selectorELNS0_4arch9wavefront6targetE1EEEvT1_,@function
_ZN7rocprim17ROCPRIM_400000_NS6detail17trampoline_kernelINS0_14default_configENS1_35adjacent_difference_config_selectorILb0EhEEZNS1_24adjacent_difference_implIS3_Lb0ELb0EPhS7_N6thrust23THRUST_200600_302600_NS5minusIhEEEE10hipError_tPvRmT2_T3_mT4_P12ihipStream_tbEUlT_E_NS1_11comp_targetILNS1_3genE3ELNS1_11target_archE908ELNS1_3gpuE7ELNS1_3repE0EEENS1_30default_config_static_selectorELNS0_4arch9wavefront6targetE1EEEvT1_: ; @_ZN7rocprim17ROCPRIM_400000_NS6detail17trampoline_kernelINS0_14default_configENS1_35adjacent_difference_config_selectorILb0EhEEZNS1_24adjacent_difference_implIS3_Lb0ELb0EPhS7_N6thrust23THRUST_200600_302600_NS5minusIhEEEE10hipError_tPvRmT2_T3_mT4_P12ihipStream_tbEUlT_E_NS1_11comp_targetILNS1_3genE3ELNS1_11target_archE908ELNS1_3gpuE7ELNS1_3repE0EEENS1_30default_config_static_selectorELNS0_4arch9wavefront6targetE1EEEvT1_
; %bb.0:
	.section	.rodata,"a",@progbits
	.p2align	6, 0x0
	.amdhsa_kernel _ZN7rocprim17ROCPRIM_400000_NS6detail17trampoline_kernelINS0_14default_configENS1_35adjacent_difference_config_selectorILb0EhEEZNS1_24adjacent_difference_implIS3_Lb0ELb0EPhS7_N6thrust23THRUST_200600_302600_NS5minusIhEEEE10hipError_tPvRmT2_T3_mT4_P12ihipStream_tbEUlT_E_NS1_11comp_targetILNS1_3genE3ELNS1_11target_archE908ELNS1_3gpuE7ELNS1_3repE0EEENS1_30default_config_static_selectorELNS0_4arch9wavefront6targetE1EEEvT1_
		.amdhsa_group_segment_fixed_size 0
		.amdhsa_private_segment_fixed_size 0
		.amdhsa_kernarg_size 56
		.amdhsa_user_sgpr_count 6
		.amdhsa_user_sgpr_private_segment_buffer 1
		.amdhsa_user_sgpr_dispatch_ptr 0
		.amdhsa_user_sgpr_queue_ptr 0
		.amdhsa_user_sgpr_kernarg_segment_ptr 1
		.amdhsa_user_sgpr_dispatch_id 0
		.amdhsa_user_sgpr_flat_scratch_init 0
		.amdhsa_user_sgpr_kernarg_preload_length 0
		.amdhsa_user_sgpr_kernarg_preload_offset 0
		.amdhsa_user_sgpr_private_segment_size 0
		.amdhsa_uses_dynamic_stack 0
		.amdhsa_system_sgpr_private_segment_wavefront_offset 0
		.amdhsa_system_sgpr_workgroup_id_x 1
		.amdhsa_system_sgpr_workgroup_id_y 0
		.amdhsa_system_sgpr_workgroup_id_z 0
		.amdhsa_system_sgpr_workgroup_info 0
		.amdhsa_system_vgpr_workitem_id 0
		.amdhsa_next_free_vgpr 1
		.amdhsa_next_free_sgpr 0
		.amdhsa_accum_offset 4
		.amdhsa_reserve_vcc 0
		.amdhsa_reserve_flat_scratch 0
		.amdhsa_float_round_mode_32 0
		.amdhsa_float_round_mode_16_64 0
		.amdhsa_float_denorm_mode_32 3
		.amdhsa_float_denorm_mode_16_64 3
		.amdhsa_dx10_clamp 1
		.amdhsa_ieee_mode 1
		.amdhsa_fp16_overflow 0
		.amdhsa_tg_split 0
		.amdhsa_exception_fp_ieee_invalid_op 0
		.amdhsa_exception_fp_denorm_src 0
		.amdhsa_exception_fp_ieee_div_zero 0
		.amdhsa_exception_fp_ieee_overflow 0
		.amdhsa_exception_fp_ieee_underflow 0
		.amdhsa_exception_fp_ieee_inexact 0
		.amdhsa_exception_int_div_zero 0
	.end_amdhsa_kernel
	.section	.text._ZN7rocprim17ROCPRIM_400000_NS6detail17trampoline_kernelINS0_14default_configENS1_35adjacent_difference_config_selectorILb0EhEEZNS1_24adjacent_difference_implIS3_Lb0ELb0EPhS7_N6thrust23THRUST_200600_302600_NS5minusIhEEEE10hipError_tPvRmT2_T3_mT4_P12ihipStream_tbEUlT_E_NS1_11comp_targetILNS1_3genE3ELNS1_11target_archE908ELNS1_3gpuE7ELNS1_3repE0EEENS1_30default_config_static_selectorELNS0_4arch9wavefront6targetE1EEEvT1_,"axG",@progbits,_ZN7rocprim17ROCPRIM_400000_NS6detail17trampoline_kernelINS0_14default_configENS1_35adjacent_difference_config_selectorILb0EhEEZNS1_24adjacent_difference_implIS3_Lb0ELb0EPhS7_N6thrust23THRUST_200600_302600_NS5minusIhEEEE10hipError_tPvRmT2_T3_mT4_P12ihipStream_tbEUlT_E_NS1_11comp_targetILNS1_3genE3ELNS1_11target_archE908ELNS1_3gpuE7ELNS1_3repE0EEENS1_30default_config_static_selectorELNS0_4arch9wavefront6targetE1EEEvT1_,comdat
.Lfunc_end267:
	.size	_ZN7rocprim17ROCPRIM_400000_NS6detail17trampoline_kernelINS0_14default_configENS1_35adjacent_difference_config_selectorILb0EhEEZNS1_24adjacent_difference_implIS3_Lb0ELb0EPhS7_N6thrust23THRUST_200600_302600_NS5minusIhEEEE10hipError_tPvRmT2_T3_mT4_P12ihipStream_tbEUlT_E_NS1_11comp_targetILNS1_3genE3ELNS1_11target_archE908ELNS1_3gpuE7ELNS1_3repE0EEENS1_30default_config_static_selectorELNS0_4arch9wavefront6targetE1EEEvT1_, .Lfunc_end267-_ZN7rocprim17ROCPRIM_400000_NS6detail17trampoline_kernelINS0_14default_configENS1_35adjacent_difference_config_selectorILb0EhEEZNS1_24adjacent_difference_implIS3_Lb0ELb0EPhS7_N6thrust23THRUST_200600_302600_NS5minusIhEEEE10hipError_tPvRmT2_T3_mT4_P12ihipStream_tbEUlT_E_NS1_11comp_targetILNS1_3genE3ELNS1_11target_archE908ELNS1_3gpuE7ELNS1_3repE0EEENS1_30default_config_static_selectorELNS0_4arch9wavefront6targetE1EEEvT1_
                                        ; -- End function
	.section	.AMDGPU.csdata,"",@progbits
; Kernel info:
; codeLenInByte = 0
; NumSgprs: 4
; NumVgprs: 0
; NumAgprs: 0
; TotalNumVgprs: 0
; ScratchSize: 0
; MemoryBound: 0
; FloatMode: 240
; IeeeMode: 1
; LDSByteSize: 0 bytes/workgroup (compile time only)
; SGPRBlocks: 0
; VGPRBlocks: 0
; NumSGPRsForWavesPerEU: 4
; NumVGPRsForWavesPerEU: 1
; AccumOffset: 4
; Occupancy: 8
; WaveLimiterHint : 0
; COMPUTE_PGM_RSRC2:SCRATCH_EN: 0
; COMPUTE_PGM_RSRC2:USER_SGPR: 6
; COMPUTE_PGM_RSRC2:TRAP_HANDLER: 0
; COMPUTE_PGM_RSRC2:TGID_X_EN: 1
; COMPUTE_PGM_RSRC2:TGID_Y_EN: 0
; COMPUTE_PGM_RSRC2:TGID_Z_EN: 0
; COMPUTE_PGM_RSRC2:TIDIG_COMP_CNT: 0
; COMPUTE_PGM_RSRC3_GFX90A:ACCUM_OFFSET: 0
; COMPUTE_PGM_RSRC3_GFX90A:TG_SPLIT: 0
	.section	.text._ZN7rocprim17ROCPRIM_400000_NS6detail17trampoline_kernelINS0_14default_configENS1_35adjacent_difference_config_selectorILb0EhEEZNS1_24adjacent_difference_implIS3_Lb0ELb0EPhS7_N6thrust23THRUST_200600_302600_NS5minusIhEEEE10hipError_tPvRmT2_T3_mT4_P12ihipStream_tbEUlT_E_NS1_11comp_targetILNS1_3genE2ELNS1_11target_archE906ELNS1_3gpuE6ELNS1_3repE0EEENS1_30default_config_static_selectorELNS0_4arch9wavefront6targetE1EEEvT1_,"axG",@progbits,_ZN7rocprim17ROCPRIM_400000_NS6detail17trampoline_kernelINS0_14default_configENS1_35adjacent_difference_config_selectorILb0EhEEZNS1_24adjacent_difference_implIS3_Lb0ELb0EPhS7_N6thrust23THRUST_200600_302600_NS5minusIhEEEE10hipError_tPvRmT2_T3_mT4_P12ihipStream_tbEUlT_E_NS1_11comp_targetILNS1_3genE2ELNS1_11target_archE906ELNS1_3gpuE6ELNS1_3repE0EEENS1_30default_config_static_selectorELNS0_4arch9wavefront6targetE1EEEvT1_,comdat
	.protected	_ZN7rocprim17ROCPRIM_400000_NS6detail17trampoline_kernelINS0_14default_configENS1_35adjacent_difference_config_selectorILb0EhEEZNS1_24adjacent_difference_implIS3_Lb0ELb0EPhS7_N6thrust23THRUST_200600_302600_NS5minusIhEEEE10hipError_tPvRmT2_T3_mT4_P12ihipStream_tbEUlT_E_NS1_11comp_targetILNS1_3genE2ELNS1_11target_archE906ELNS1_3gpuE6ELNS1_3repE0EEENS1_30default_config_static_selectorELNS0_4arch9wavefront6targetE1EEEvT1_ ; -- Begin function _ZN7rocprim17ROCPRIM_400000_NS6detail17trampoline_kernelINS0_14default_configENS1_35adjacent_difference_config_selectorILb0EhEEZNS1_24adjacent_difference_implIS3_Lb0ELb0EPhS7_N6thrust23THRUST_200600_302600_NS5minusIhEEEE10hipError_tPvRmT2_T3_mT4_P12ihipStream_tbEUlT_E_NS1_11comp_targetILNS1_3genE2ELNS1_11target_archE906ELNS1_3gpuE6ELNS1_3repE0EEENS1_30default_config_static_selectorELNS0_4arch9wavefront6targetE1EEEvT1_
	.globl	_ZN7rocprim17ROCPRIM_400000_NS6detail17trampoline_kernelINS0_14default_configENS1_35adjacent_difference_config_selectorILb0EhEEZNS1_24adjacent_difference_implIS3_Lb0ELb0EPhS7_N6thrust23THRUST_200600_302600_NS5minusIhEEEE10hipError_tPvRmT2_T3_mT4_P12ihipStream_tbEUlT_E_NS1_11comp_targetILNS1_3genE2ELNS1_11target_archE906ELNS1_3gpuE6ELNS1_3repE0EEENS1_30default_config_static_selectorELNS0_4arch9wavefront6targetE1EEEvT1_
	.p2align	8
	.type	_ZN7rocprim17ROCPRIM_400000_NS6detail17trampoline_kernelINS0_14default_configENS1_35adjacent_difference_config_selectorILb0EhEEZNS1_24adjacent_difference_implIS3_Lb0ELb0EPhS7_N6thrust23THRUST_200600_302600_NS5minusIhEEEE10hipError_tPvRmT2_T3_mT4_P12ihipStream_tbEUlT_E_NS1_11comp_targetILNS1_3genE2ELNS1_11target_archE906ELNS1_3gpuE6ELNS1_3repE0EEENS1_30default_config_static_selectorELNS0_4arch9wavefront6targetE1EEEvT1_,@function
_ZN7rocprim17ROCPRIM_400000_NS6detail17trampoline_kernelINS0_14default_configENS1_35adjacent_difference_config_selectorILb0EhEEZNS1_24adjacent_difference_implIS3_Lb0ELb0EPhS7_N6thrust23THRUST_200600_302600_NS5minusIhEEEE10hipError_tPvRmT2_T3_mT4_P12ihipStream_tbEUlT_E_NS1_11comp_targetILNS1_3genE2ELNS1_11target_archE906ELNS1_3gpuE6ELNS1_3repE0EEENS1_30default_config_static_selectorELNS0_4arch9wavefront6targetE1EEEvT1_: ; @_ZN7rocprim17ROCPRIM_400000_NS6detail17trampoline_kernelINS0_14default_configENS1_35adjacent_difference_config_selectorILb0EhEEZNS1_24adjacent_difference_implIS3_Lb0ELb0EPhS7_N6thrust23THRUST_200600_302600_NS5minusIhEEEE10hipError_tPvRmT2_T3_mT4_P12ihipStream_tbEUlT_E_NS1_11comp_targetILNS1_3genE2ELNS1_11target_archE906ELNS1_3gpuE6ELNS1_3repE0EEENS1_30default_config_static_selectorELNS0_4arch9wavefront6targetE1EEEvT1_
; %bb.0:
	.section	.rodata,"a",@progbits
	.p2align	6, 0x0
	.amdhsa_kernel _ZN7rocprim17ROCPRIM_400000_NS6detail17trampoline_kernelINS0_14default_configENS1_35adjacent_difference_config_selectorILb0EhEEZNS1_24adjacent_difference_implIS3_Lb0ELb0EPhS7_N6thrust23THRUST_200600_302600_NS5minusIhEEEE10hipError_tPvRmT2_T3_mT4_P12ihipStream_tbEUlT_E_NS1_11comp_targetILNS1_3genE2ELNS1_11target_archE906ELNS1_3gpuE6ELNS1_3repE0EEENS1_30default_config_static_selectorELNS0_4arch9wavefront6targetE1EEEvT1_
		.amdhsa_group_segment_fixed_size 0
		.amdhsa_private_segment_fixed_size 0
		.amdhsa_kernarg_size 56
		.amdhsa_user_sgpr_count 6
		.amdhsa_user_sgpr_private_segment_buffer 1
		.amdhsa_user_sgpr_dispatch_ptr 0
		.amdhsa_user_sgpr_queue_ptr 0
		.amdhsa_user_sgpr_kernarg_segment_ptr 1
		.amdhsa_user_sgpr_dispatch_id 0
		.amdhsa_user_sgpr_flat_scratch_init 0
		.amdhsa_user_sgpr_kernarg_preload_length 0
		.amdhsa_user_sgpr_kernarg_preload_offset 0
		.amdhsa_user_sgpr_private_segment_size 0
		.amdhsa_uses_dynamic_stack 0
		.amdhsa_system_sgpr_private_segment_wavefront_offset 0
		.amdhsa_system_sgpr_workgroup_id_x 1
		.amdhsa_system_sgpr_workgroup_id_y 0
		.amdhsa_system_sgpr_workgroup_id_z 0
		.amdhsa_system_sgpr_workgroup_info 0
		.amdhsa_system_vgpr_workitem_id 0
		.amdhsa_next_free_vgpr 1
		.amdhsa_next_free_sgpr 0
		.amdhsa_accum_offset 4
		.amdhsa_reserve_vcc 0
		.amdhsa_reserve_flat_scratch 0
		.amdhsa_float_round_mode_32 0
		.amdhsa_float_round_mode_16_64 0
		.amdhsa_float_denorm_mode_32 3
		.amdhsa_float_denorm_mode_16_64 3
		.amdhsa_dx10_clamp 1
		.amdhsa_ieee_mode 1
		.amdhsa_fp16_overflow 0
		.amdhsa_tg_split 0
		.amdhsa_exception_fp_ieee_invalid_op 0
		.amdhsa_exception_fp_denorm_src 0
		.amdhsa_exception_fp_ieee_div_zero 0
		.amdhsa_exception_fp_ieee_overflow 0
		.amdhsa_exception_fp_ieee_underflow 0
		.amdhsa_exception_fp_ieee_inexact 0
		.amdhsa_exception_int_div_zero 0
	.end_amdhsa_kernel
	.section	.text._ZN7rocprim17ROCPRIM_400000_NS6detail17trampoline_kernelINS0_14default_configENS1_35adjacent_difference_config_selectorILb0EhEEZNS1_24adjacent_difference_implIS3_Lb0ELb0EPhS7_N6thrust23THRUST_200600_302600_NS5minusIhEEEE10hipError_tPvRmT2_T3_mT4_P12ihipStream_tbEUlT_E_NS1_11comp_targetILNS1_3genE2ELNS1_11target_archE906ELNS1_3gpuE6ELNS1_3repE0EEENS1_30default_config_static_selectorELNS0_4arch9wavefront6targetE1EEEvT1_,"axG",@progbits,_ZN7rocprim17ROCPRIM_400000_NS6detail17trampoline_kernelINS0_14default_configENS1_35adjacent_difference_config_selectorILb0EhEEZNS1_24adjacent_difference_implIS3_Lb0ELb0EPhS7_N6thrust23THRUST_200600_302600_NS5minusIhEEEE10hipError_tPvRmT2_T3_mT4_P12ihipStream_tbEUlT_E_NS1_11comp_targetILNS1_3genE2ELNS1_11target_archE906ELNS1_3gpuE6ELNS1_3repE0EEENS1_30default_config_static_selectorELNS0_4arch9wavefront6targetE1EEEvT1_,comdat
.Lfunc_end268:
	.size	_ZN7rocprim17ROCPRIM_400000_NS6detail17trampoline_kernelINS0_14default_configENS1_35adjacent_difference_config_selectorILb0EhEEZNS1_24adjacent_difference_implIS3_Lb0ELb0EPhS7_N6thrust23THRUST_200600_302600_NS5minusIhEEEE10hipError_tPvRmT2_T3_mT4_P12ihipStream_tbEUlT_E_NS1_11comp_targetILNS1_3genE2ELNS1_11target_archE906ELNS1_3gpuE6ELNS1_3repE0EEENS1_30default_config_static_selectorELNS0_4arch9wavefront6targetE1EEEvT1_, .Lfunc_end268-_ZN7rocprim17ROCPRIM_400000_NS6detail17trampoline_kernelINS0_14default_configENS1_35adjacent_difference_config_selectorILb0EhEEZNS1_24adjacent_difference_implIS3_Lb0ELb0EPhS7_N6thrust23THRUST_200600_302600_NS5minusIhEEEE10hipError_tPvRmT2_T3_mT4_P12ihipStream_tbEUlT_E_NS1_11comp_targetILNS1_3genE2ELNS1_11target_archE906ELNS1_3gpuE6ELNS1_3repE0EEENS1_30default_config_static_selectorELNS0_4arch9wavefront6targetE1EEEvT1_
                                        ; -- End function
	.section	.AMDGPU.csdata,"",@progbits
; Kernel info:
; codeLenInByte = 0
; NumSgprs: 4
; NumVgprs: 0
; NumAgprs: 0
; TotalNumVgprs: 0
; ScratchSize: 0
; MemoryBound: 0
; FloatMode: 240
; IeeeMode: 1
; LDSByteSize: 0 bytes/workgroup (compile time only)
; SGPRBlocks: 0
; VGPRBlocks: 0
; NumSGPRsForWavesPerEU: 4
; NumVGPRsForWavesPerEU: 1
; AccumOffset: 4
; Occupancy: 8
; WaveLimiterHint : 0
; COMPUTE_PGM_RSRC2:SCRATCH_EN: 0
; COMPUTE_PGM_RSRC2:USER_SGPR: 6
; COMPUTE_PGM_RSRC2:TRAP_HANDLER: 0
; COMPUTE_PGM_RSRC2:TGID_X_EN: 1
; COMPUTE_PGM_RSRC2:TGID_Y_EN: 0
; COMPUTE_PGM_RSRC2:TGID_Z_EN: 0
; COMPUTE_PGM_RSRC2:TIDIG_COMP_CNT: 0
; COMPUTE_PGM_RSRC3_GFX90A:ACCUM_OFFSET: 0
; COMPUTE_PGM_RSRC3_GFX90A:TG_SPLIT: 0
	.section	.text._ZN7rocprim17ROCPRIM_400000_NS6detail17trampoline_kernelINS0_14default_configENS1_35adjacent_difference_config_selectorILb0EhEEZNS1_24adjacent_difference_implIS3_Lb0ELb0EPhS7_N6thrust23THRUST_200600_302600_NS5minusIhEEEE10hipError_tPvRmT2_T3_mT4_P12ihipStream_tbEUlT_E_NS1_11comp_targetILNS1_3genE9ELNS1_11target_archE1100ELNS1_3gpuE3ELNS1_3repE0EEENS1_30default_config_static_selectorELNS0_4arch9wavefront6targetE1EEEvT1_,"axG",@progbits,_ZN7rocprim17ROCPRIM_400000_NS6detail17trampoline_kernelINS0_14default_configENS1_35adjacent_difference_config_selectorILb0EhEEZNS1_24adjacent_difference_implIS3_Lb0ELb0EPhS7_N6thrust23THRUST_200600_302600_NS5minusIhEEEE10hipError_tPvRmT2_T3_mT4_P12ihipStream_tbEUlT_E_NS1_11comp_targetILNS1_3genE9ELNS1_11target_archE1100ELNS1_3gpuE3ELNS1_3repE0EEENS1_30default_config_static_selectorELNS0_4arch9wavefront6targetE1EEEvT1_,comdat
	.protected	_ZN7rocprim17ROCPRIM_400000_NS6detail17trampoline_kernelINS0_14default_configENS1_35adjacent_difference_config_selectorILb0EhEEZNS1_24adjacent_difference_implIS3_Lb0ELb0EPhS7_N6thrust23THRUST_200600_302600_NS5minusIhEEEE10hipError_tPvRmT2_T3_mT4_P12ihipStream_tbEUlT_E_NS1_11comp_targetILNS1_3genE9ELNS1_11target_archE1100ELNS1_3gpuE3ELNS1_3repE0EEENS1_30default_config_static_selectorELNS0_4arch9wavefront6targetE1EEEvT1_ ; -- Begin function _ZN7rocprim17ROCPRIM_400000_NS6detail17trampoline_kernelINS0_14default_configENS1_35adjacent_difference_config_selectorILb0EhEEZNS1_24adjacent_difference_implIS3_Lb0ELb0EPhS7_N6thrust23THRUST_200600_302600_NS5minusIhEEEE10hipError_tPvRmT2_T3_mT4_P12ihipStream_tbEUlT_E_NS1_11comp_targetILNS1_3genE9ELNS1_11target_archE1100ELNS1_3gpuE3ELNS1_3repE0EEENS1_30default_config_static_selectorELNS0_4arch9wavefront6targetE1EEEvT1_
	.globl	_ZN7rocprim17ROCPRIM_400000_NS6detail17trampoline_kernelINS0_14default_configENS1_35adjacent_difference_config_selectorILb0EhEEZNS1_24adjacent_difference_implIS3_Lb0ELb0EPhS7_N6thrust23THRUST_200600_302600_NS5minusIhEEEE10hipError_tPvRmT2_T3_mT4_P12ihipStream_tbEUlT_E_NS1_11comp_targetILNS1_3genE9ELNS1_11target_archE1100ELNS1_3gpuE3ELNS1_3repE0EEENS1_30default_config_static_selectorELNS0_4arch9wavefront6targetE1EEEvT1_
	.p2align	8
	.type	_ZN7rocprim17ROCPRIM_400000_NS6detail17trampoline_kernelINS0_14default_configENS1_35adjacent_difference_config_selectorILb0EhEEZNS1_24adjacent_difference_implIS3_Lb0ELb0EPhS7_N6thrust23THRUST_200600_302600_NS5minusIhEEEE10hipError_tPvRmT2_T3_mT4_P12ihipStream_tbEUlT_E_NS1_11comp_targetILNS1_3genE9ELNS1_11target_archE1100ELNS1_3gpuE3ELNS1_3repE0EEENS1_30default_config_static_selectorELNS0_4arch9wavefront6targetE1EEEvT1_,@function
_ZN7rocprim17ROCPRIM_400000_NS6detail17trampoline_kernelINS0_14default_configENS1_35adjacent_difference_config_selectorILb0EhEEZNS1_24adjacent_difference_implIS3_Lb0ELb0EPhS7_N6thrust23THRUST_200600_302600_NS5minusIhEEEE10hipError_tPvRmT2_T3_mT4_P12ihipStream_tbEUlT_E_NS1_11comp_targetILNS1_3genE9ELNS1_11target_archE1100ELNS1_3gpuE3ELNS1_3repE0EEENS1_30default_config_static_selectorELNS0_4arch9wavefront6targetE1EEEvT1_: ; @_ZN7rocprim17ROCPRIM_400000_NS6detail17trampoline_kernelINS0_14default_configENS1_35adjacent_difference_config_selectorILb0EhEEZNS1_24adjacent_difference_implIS3_Lb0ELb0EPhS7_N6thrust23THRUST_200600_302600_NS5minusIhEEEE10hipError_tPvRmT2_T3_mT4_P12ihipStream_tbEUlT_E_NS1_11comp_targetILNS1_3genE9ELNS1_11target_archE1100ELNS1_3gpuE3ELNS1_3repE0EEENS1_30default_config_static_selectorELNS0_4arch9wavefront6targetE1EEEvT1_
; %bb.0:
	.section	.rodata,"a",@progbits
	.p2align	6, 0x0
	.amdhsa_kernel _ZN7rocprim17ROCPRIM_400000_NS6detail17trampoline_kernelINS0_14default_configENS1_35adjacent_difference_config_selectorILb0EhEEZNS1_24adjacent_difference_implIS3_Lb0ELb0EPhS7_N6thrust23THRUST_200600_302600_NS5minusIhEEEE10hipError_tPvRmT2_T3_mT4_P12ihipStream_tbEUlT_E_NS1_11comp_targetILNS1_3genE9ELNS1_11target_archE1100ELNS1_3gpuE3ELNS1_3repE0EEENS1_30default_config_static_selectorELNS0_4arch9wavefront6targetE1EEEvT1_
		.amdhsa_group_segment_fixed_size 0
		.amdhsa_private_segment_fixed_size 0
		.amdhsa_kernarg_size 56
		.amdhsa_user_sgpr_count 6
		.amdhsa_user_sgpr_private_segment_buffer 1
		.amdhsa_user_sgpr_dispatch_ptr 0
		.amdhsa_user_sgpr_queue_ptr 0
		.amdhsa_user_sgpr_kernarg_segment_ptr 1
		.amdhsa_user_sgpr_dispatch_id 0
		.amdhsa_user_sgpr_flat_scratch_init 0
		.amdhsa_user_sgpr_kernarg_preload_length 0
		.amdhsa_user_sgpr_kernarg_preload_offset 0
		.amdhsa_user_sgpr_private_segment_size 0
		.amdhsa_uses_dynamic_stack 0
		.amdhsa_system_sgpr_private_segment_wavefront_offset 0
		.amdhsa_system_sgpr_workgroup_id_x 1
		.amdhsa_system_sgpr_workgroup_id_y 0
		.amdhsa_system_sgpr_workgroup_id_z 0
		.amdhsa_system_sgpr_workgroup_info 0
		.amdhsa_system_vgpr_workitem_id 0
		.amdhsa_next_free_vgpr 1
		.amdhsa_next_free_sgpr 0
		.amdhsa_accum_offset 4
		.amdhsa_reserve_vcc 0
		.amdhsa_reserve_flat_scratch 0
		.amdhsa_float_round_mode_32 0
		.amdhsa_float_round_mode_16_64 0
		.amdhsa_float_denorm_mode_32 3
		.amdhsa_float_denorm_mode_16_64 3
		.amdhsa_dx10_clamp 1
		.amdhsa_ieee_mode 1
		.amdhsa_fp16_overflow 0
		.amdhsa_tg_split 0
		.amdhsa_exception_fp_ieee_invalid_op 0
		.amdhsa_exception_fp_denorm_src 0
		.amdhsa_exception_fp_ieee_div_zero 0
		.amdhsa_exception_fp_ieee_overflow 0
		.amdhsa_exception_fp_ieee_underflow 0
		.amdhsa_exception_fp_ieee_inexact 0
		.amdhsa_exception_int_div_zero 0
	.end_amdhsa_kernel
	.section	.text._ZN7rocprim17ROCPRIM_400000_NS6detail17trampoline_kernelINS0_14default_configENS1_35adjacent_difference_config_selectorILb0EhEEZNS1_24adjacent_difference_implIS3_Lb0ELb0EPhS7_N6thrust23THRUST_200600_302600_NS5minusIhEEEE10hipError_tPvRmT2_T3_mT4_P12ihipStream_tbEUlT_E_NS1_11comp_targetILNS1_3genE9ELNS1_11target_archE1100ELNS1_3gpuE3ELNS1_3repE0EEENS1_30default_config_static_selectorELNS0_4arch9wavefront6targetE1EEEvT1_,"axG",@progbits,_ZN7rocprim17ROCPRIM_400000_NS6detail17trampoline_kernelINS0_14default_configENS1_35adjacent_difference_config_selectorILb0EhEEZNS1_24adjacent_difference_implIS3_Lb0ELb0EPhS7_N6thrust23THRUST_200600_302600_NS5minusIhEEEE10hipError_tPvRmT2_T3_mT4_P12ihipStream_tbEUlT_E_NS1_11comp_targetILNS1_3genE9ELNS1_11target_archE1100ELNS1_3gpuE3ELNS1_3repE0EEENS1_30default_config_static_selectorELNS0_4arch9wavefront6targetE1EEEvT1_,comdat
.Lfunc_end269:
	.size	_ZN7rocprim17ROCPRIM_400000_NS6detail17trampoline_kernelINS0_14default_configENS1_35adjacent_difference_config_selectorILb0EhEEZNS1_24adjacent_difference_implIS3_Lb0ELb0EPhS7_N6thrust23THRUST_200600_302600_NS5minusIhEEEE10hipError_tPvRmT2_T3_mT4_P12ihipStream_tbEUlT_E_NS1_11comp_targetILNS1_3genE9ELNS1_11target_archE1100ELNS1_3gpuE3ELNS1_3repE0EEENS1_30default_config_static_selectorELNS0_4arch9wavefront6targetE1EEEvT1_, .Lfunc_end269-_ZN7rocprim17ROCPRIM_400000_NS6detail17trampoline_kernelINS0_14default_configENS1_35adjacent_difference_config_selectorILb0EhEEZNS1_24adjacent_difference_implIS3_Lb0ELb0EPhS7_N6thrust23THRUST_200600_302600_NS5minusIhEEEE10hipError_tPvRmT2_T3_mT4_P12ihipStream_tbEUlT_E_NS1_11comp_targetILNS1_3genE9ELNS1_11target_archE1100ELNS1_3gpuE3ELNS1_3repE0EEENS1_30default_config_static_selectorELNS0_4arch9wavefront6targetE1EEEvT1_
                                        ; -- End function
	.section	.AMDGPU.csdata,"",@progbits
; Kernel info:
; codeLenInByte = 0
; NumSgprs: 4
; NumVgprs: 0
; NumAgprs: 0
; TotalNumVgprs: 0
; ScratchSize: 0
; MemoryBound: 0
; FloatMode: 240
; IeeeMode: 1
; LDSByteSize: 0 bytes/workgroup (compile time only)
; SGPRBlocks: 0
; VGPRBlocks: 0
; NumSGPRsForWavesPerEU: 4
; NumVGPRsForWavesPerEU: 1
; AccumOffset: 4
; Occupancy: 8
; WaveLimiterHint : 0
; COMPUTE_PGM_RSRC2:SCRATCH_EN: 0
; COMPUTE_PGM_RSRC2:USER_SGPR: 6
; COMPUTE_PGM_RSRC2:TRAP_HANDLER: 0
; COMPUTE_PGM_RSRC2:TGID_X_EN: 1
; COMPUTE_PGM_RSRC2:TGID_Y_EN: 0
; COMPUTE_PGM_RSRC2:TGID_Z_EN: 0
; COMPUTE_PGM_RSRC2:TIDIG_COMP_CNT: 0
; COMPUTE_PGM_RSRC3_GFX90A:ACCUM_OFFSET: 0
; COMPUTE_PGM_RSRC3_GFX90A:TG_SPLIT: 0
	.section	.text._ZN7rocprim17ROCPRIM_400000_NS6detail17trampoline_kernelINS0_14default_configENS1_35adjacent_difference_config_selectorILb0EhEEZNS1_24adjacent_difference_implIS3_Lb0ELb0EPhS7_N6thrust23THRUST_200600_302600_NS5minusIhEEEE10hipError_tPvRmT2_T3_mT4_P12ihipStream_tbEUlT_E_NS1_11comp_targetILNS1_3genE8ELNS1_11target_archE1030ELNS1_3gpuE2ELNS1_3repE0EEENS1_30default_config_static_selectorELNS0_4arch9wavefront6targetE1EEEvT1_,"axG",@progbits,_ZN7rocprim17ROCPRIM_400000_NS6detail17trampoline_kernelINS0_14default_configENS1_35adjacent_difference_config_selectorILb0EhEEZNS1_24adjacent_difference_implIS3_Lb0ELb0EPhS7_N6thrust23THRUST_200600_302600_NS5minusIhEEEE10hipError_tPvRmT2_T3_mT4_P12ihipStream_tbEUlT_E_NS1_11comp_targetILNS1_3genE8ELNS1_11target_archE1030ELNS1_3gpuE2ELNS1_3repE0EEENS1_30default_config_static_selectorELNS0_4arch9wavefront6targetE1EEEvT1_,comdat
	.protected	_ZN7rocprim17ROCPRIM_400000_NS6detail17trampoline_kernelINS0_14default_configENS1_35adjacent_difference_config_selectorILb0EhEEZNS1_24adjacent_difference_implIS3_Lb0ELb0EPhS7_N6thrust23THRUST_200600_302600_NS5minusIhEEEE10hipError_tPvRmT2_T3_mT4_P12ihipStream_tbEUlT_E_NS1_11comp_targetILNS1_3genE8ELNS1_11target_archE1030ELNS1_3gpuE2ELNS1_3repE0EEENS1_30default_config_static_selectorELNS0_4arch9wavefront6targetE1EEEvT1_ ; -- Begin function _ZN7rocprim17ROCPRIM_400000_NS6detail17trampoline_kernelINS0_14default_configENS1_35adjacent_difference_config_selectorILb0EhEEZNS1_24adjacent_difference_implIS3_Lb0ELb0EPhS7_N6thrust23THRUST_200600_302600_NS5minusIhEEEE10hipError_tPvRmT2_T3_mT4_P12ihipStream_tbEUlT_E_NS1_11comp_targetILNS1_3genE8ELNS1_11target_archE1030ELNS1_3gpuE2ELNS1_3repE0EEENS1_30default_config_static_selectorELNS0_4arch9wavefront6targetE1EEEvT1_
	.globl	_ZN7rocprim17ROCPRIM_400000_NS6detail17trampoline_kernelINS0_14default_configENS1_35adjacent_difference_config_selectorILb0EhEEZNS1_24adjacent_difference_implIS3_Lb0ELb0EPhS7_N6thrust23THRUST_200600_302600_NS5minusIhEEEE10hipError_tPvRmT2_T3_mT4_P12ihipStream_tbEUlT_E_NS1_11comp_targetILNS1_3genE8ELNS1_11target_archE1030ELNS1_3gpuE2ELNS1_3repE0EEENS1_30default_config_static_selectorELNS0_4arch9wavefront6targetE1EEEvT1_
	.p2align	8
	.type	_ZN7rocprim17ROCPRIM_400000_NS6detail17trampoline_kernelINS0_14default_configENS1_35adjacent_difference_config_selectorILb0EhEEZNS1_24adjacent_difference_implIS3_Lb0ELb0EPhS7_N6thrust23THRUST_200600_302600_NS5minusIhEEEE10hipError_tPvRmT2_T3_mT4_P12ihipStream_tbEUlT_E_NS1_11comp_targetILNS1_3genE8ELNS1_11target_archE1030ELNS1_3gpuE2ELNS1_3repE0EEENS1_30default_config_static_selectorELNS0_4arch9wavefront6targetE1EEEvT1_,@function
_ZN7rocprim17ROCPRIM_400000_NS6detail17trampoline_kernelINS0_14default_configENS1_35adjacent_difference_config_selectorILb0EhEEZNS1_24adjacent_difference_implIS3_Lb0ELb0EPhS7_N6thrust23THRUST_200600_302600_NS5minusIhEEEE10hipError_tPvRmT2_T3_mT4_P12ihipStream_tbEUlT_E_NS1_11comp_targetILNS1_3genE8ELNS1_11target_archE1030ELNS1_3gpuE2ELNS1_3repE0EEENS1_30default_config_static_selectorELNS0_4arch9wavefront6targetE1EEEvT1_: ; @_ZN7rocprim17ROCPRIM_400000_NS6detail17trampoline_kernelINS0_14default_configENS1_35adjacent_difference_config_selectorILb0EhEEZNS1_24adjacent_difference_implIS3_Lb0ELb0EPhS7_N6thrust23THRUST_200600_302600_NS5minusIhEEEE10hipError_tPvRmT2_T3_mT4_P12ihipStream_tbEUlT_E_NS1_11comp_targetILNS1_3genE8ELNS1_11target_archE1030ELNS1_3gpuE2ELNS1_3repE0EEENS1_30default_config_static_selectorELNS0_4arch9wavefront6targetE1EEEvT1_
; %bb.0:
	.section	.rodata,"a",@progbits
	.p2align	6, 0x0
	.amdhsa_kernel _ZN7rocprim17ROCPRIM_400000_NS6detail17trampoline_kernelINS0_14default_configENS1_35adjacent_difference_config_selectorILb0EhEEZNS1_24adjacent_difference_implIS3_Lb0ELb0EPhS7_N6thrust23THRUST_200600_302600_NS5minusIhEEEE10hipError_tPvRmT2_T3_mT4_P12ihipStream_tbEUlT_E_NS1_11comp_targetILNS1_3genE8ELNS1_11target_archE1030ELNS1_3gpuE2ELNS1_3repE0EEENS1_30default_config_static_selectorELNS0_4arch9wavefront6targetE1EEEvT1_
		.amdhsa_group_segment_fixed_size 0
		.amdhsa_private_segment_fixed_size 0
		.amdhsa_kernarg_size 56
		.amdhsa_user_sgpr_count 6
		.amdhsa_user_sgpr_private_segment_buffer 1
		.amdhsa_user_sgpr_dispatch_ptr 0
		.amdhsa_user_sgpr_queue_ptr 0
		.amdhsa_user_sgpr_kernarg_segment_ptr 1
		.amdhsa_user_sgpr_dispatch_id 0
		.amdhsa_user_sgpr_flat_scratch_init 0
		.amdhsa_user_sgpr_kernarg_preload_length 0
		.amdhsa_user_sgpr_kernarg_preload_offset 0
		.amdhsa_user_sgpr_private_segment_size 0
		.amdhsa_uses_dynamic_stack 0
		.amdhsa_system_sgpr_private_segment_wavefront_offset 0
		.amdhsa_system_sgpr_workgroup_id_x 1
		.amdhsa_system_sgpr_workgroup_id_y 0
		.amdhsa_system_sgpr_workgroup_id_z 0
		.amdhsa_system_sgpr_workgroup_info 0
		.amdhsa_system_vgpr_workitem_id 0
		.amdhsa_next_free_vgpr 1
		.amdhsa_next_free_sgpr 0
		.amdhsa_accum_offset 4
		.amdhsa_reserve_vcc 0
		.amdhsa_reserve_flat_scratch 0
		.amdhsa_float_round_mode_32 0
		.amdhsa_float_round_mode_16_64 0
		.amdhsa_float_denorm_mode_32 3
		.amdhsa_float_denorm_mode_16_64 3
		.amdhsa_dx10_clamp 1
		.amdhsa_ieee_mode 1
		.amdhsa_fp16_overflow 0
		.amdhsa_tg_split 0
		.amdhsa_exception_fp_ieee_invalid_op 0
		.amdhsa_exception_fp_denorm_src 0
		.amdhsa_exception_fp_ieee_div_zero 0
		.amdhsa_exception_fp_ieee_overflow 0
		.amdhsa_exception_fp_ieee_underflow 0
		.amdhsa_exception_fp_ieee_inexact 0
		.amdhsa_exception_int_div_zero 0
	.end_amdhsa_kernel
	.section	.text._ZN7rocprim17ROCPRIM_400000_NS6detail17trampoline_kernelINS0_14default_configENS1_35adjacent_difference_config_selectorILb0EhEEZNS1_24adjacent_difference_implIS3_Lb0ELb0EPhS7_N6thrust23THRUST_200600_302600_NS5minusIhEEEE10hipError_tPvRmT2_T3_mT4_P12ihipStream_tbEUlT_E_NS1_11comp_targetILNS1_3genE8ELNS1_11target_archE1030ELNS1_3gpuE2ELNS1_3repE0EEENS1_30default_config_static_selectorELNS0_4arch9wavefront6targetE1EEEvT1_,"axG",@progbits,_ZN7rocprim17ROCPRIM_400000_NS6detail17trampoline_kernelINS0_14default_configENS1_35adjacent_difference_config_selectorILb0EhEEZNS1_24adjacent_difference_implIS3_Lb0ELb0EPhS7_N6thrust23THRUST_200600_302600_NS5minusIhEEEE10hipError_tPvRmT2_T3_mT4_P12ihipStream_tbEUlT_E_NS1_11comp_targetILNS1_3genE8ELNS1_11target_archE1030ELNS1_3gpuE2ELNS1_3repE0EEENS1_30default_config_static_selectorELNS0_4arch9wavefront6targetE1EEEvT1_,comdat
.Lfunc_end270:
	.size	_ZN7rocprim17ROCPRIM_400000_NS6detail17trampoline_kernelINS0_14default_configENS1_35adjacent_difference_config_selectorILb0EhEEZNS1_24adjacent_difference_implIS3_Lb0ELb0EPhS7_N6thrust23THRUST_200600_302600_NS5minusIhEEEE10hipError_tPvRmT2_T3_mT4_P12ihipStream_tbEUlT_E_NS1_11comp_targetILNS1_3genE8ELNS1_11target_archE1030ELNS1_3gpuE2ELNS1_3repE0EEENS1_30default_config_static_selectorELNS0_4arch9wavefront6targetE1EEEvT1_, .Lfunc_end270-_ZN7rocprim17ROCPRIM_400000_NS6detail17trampoline_kernelINS0_14default_configENS1_35adjacent_difference_config_selectorILb0EhEEZNS1_24adjacent_difference_implIS3_Lb0ELb0EPhS7_N6thrust23THRUST_200600_302600_NS5minusIhEEEE10hipError_tPvRmT2_T3_mT4_P12ihipStream_tbEUlT_E_NS1_11comp_targetILNS1_3genE8ELNS1_11target_archE1030ELNS1_3gpuE2ELNS1_3repE0EEENS1_30default_config_static_selectorELNS0_4arch9wavefront6targetE1EEEvT1_
                                        ; -- End function
	.section	.AMDGPU.csdata,"",@progbits
; Kernel info:
; codeLenInByte = 0
; NumSgprs: 4
; NumVgprs: 0
; NumAgprs: 0
; TotalNumVgprs: 0
; ScratchSize: 0
; MemoryBound: 0
; FloatMode: 240
; IeeeMode: 1
; LDSByteSize: 0 bytes/workgroup (compile time only)
; SGPRBlocks: 0
; VGPRBlocks: 0
; NumSGPRsForWavesPerEU: 4
; NumVGPRsForWavesPerEU: 1
; AccumOffset: 4
; Occupancy: 8
; WaveLimiterHint : 0
; COMPUTE_PGM_RSRC2:SCRATCH_EN: 0
; COMPUTE_PGM_RSRC2:USER_SGPR: 6
; COMPUTE_PGM_RSRC2:TRAP_HANDLER: 0
; COMPUTE_PGM_RSRC2:TGID_X_EN: 1
; COMPUTE_PGM_RSRC2:TGID_Y_EN: 0
; COMPUTE_PGM_RSRC2:TGID_Z_EN: 0
; COMPUTE_PGM_RSRC2:TIDIG_COMP_CNT: 0
; COMPUTE_PGM_RSRC3_GFX90A:ACCUM_OFFSET: 0
; COMPUTE_PGM_RSRC3_GFX90A:TG_SPLIT: 0
	.section	.text._ZN7rocprim17ROCPRIM_400000_NS6detail17trampoline_kernelINS0_14default_configENS1_25transform_config_selectorIhLb0EEEZNS1_14transform_implILb0ES3_S5_NS0_18transform_iteratorINS0_17counting_iteratorImlEEZNS1_24adjacent_difference_implIS3_Lb1ELb0EPhSB_N6thrust23THRUST_200600_302600_NS5minusIhEEEE10hipError_tPvRmT2_T3_mT4_P12ihipStream_tbEUlmE_hEESB_NS0_8identityIvEEEESG_SJ_SK_mSL_SN_bEUlT_E_NS1_11comp_targetILNS1_3genE0ELNS1_11target_archE4294967295ELNS1_3gpuE0ELNS1_3repE0EEENS1_30default_config_static_selectorELNS0_4arch9wavefront6targetE1EEEvT1_,"axG",@progbits,_ZN7rocprim17ROCPRIM_400000_NS6detail17trampoline_kernelINS0_14default_configENS1_25transform_config_selectorIhLb0EEEZNS1_14transform_implILb0ES3_S5_NS0_18transform_iteratorINS0_17counting_iteratorImlEEZNS1_24adjacent_difference_implIS3_Lb1ELb0EPhSB_N6thrust23THRUST_200600_302600_NS5minusIhEEEE10hipError_tPvRmT2_T3_mT4_P12ihipStream_tbEUlmE_hEESB_NS0_8identityIvEEEESG_SJ_SK_mSL_SN_bEUlT_E_NS1_11comp_targetILNS1_3genE0ELNS1_11target_archE4294967295ELNS1_3gpuE0ELNS1_3repE0EEENS1_30default_config_static_selectorELNS0_4arch9wavefront6targetE1EEEvT1_,comdat
	.protected	_ZN7rocprim17ROCPRIM_400000_NS6detail17trampoline_kernelINS0_14default_configENS1_25transform_config_selectorIhLb0EEEZNS1_14transform_implILb0ES3_S5_NS0_18transform_iteratorINS0_17counting_iteratorImlEEZNS1_24adjacent_difference_implIS3_Lb1ELb0EPhSB_N6thrust23THRUST_200600_302600_NS5minusIhEEEE10hipError_tPvRmT2_T3_mT4_P12ihipStream_tbEUlmE_hEESB_NS0_8identityIvEEEESG_SJ_SK_mSL_SN_bEUlT_E_NS1_11comp_targetILNS1_3genE0ELNS1_11target_archE4294967295ELNS1_3gpuE0ELNS1_3repE0EEENS1_30default_config_static_selectorELNS0_4arch9wavefront6targetE1EEEvT1_ ; -- Begin function _ZN7rocprim17ROCPRIM_400000_NS6detail17trampoline_kernelINS0_14default_configENS1_25transform_config_selectorIhLb0EEEZNS1_14transform_implILb0ES3_S5_NS0_18transform_iteratorINS0_17counting_iteratorImlEEZNS1_24adjacent_difference_implIS3_Lb1ELb0EPhSB_N6thrust23THRUST_200600_302600_NS5minusIhEEEE10hipError_tPvRmT2_T3_mT4_P12ihipStream_tbEUlmE_hEESB_NS0_8identityIvEEEESG_SJ_SK_mSL_SN_bEUlT_E_NS1_11comp_targetILNS1_3genE0ELNS1_11target_archE4294967295ELNS1_3gpuE0ELNS1_3repE0EEENS1_30default_config_static_selectorELNS0_4arch9wavefront6targetE1EEEvT1_
	.globl	_ZN7rocprim17ROCPRIM_400000_NS6detail17trampoline_kernelINS0_14default_configENS1_25transform_config_selectorIhLb0EEEZNS1_14transform_implILb0ES3_S5_NS0_18transform_iteratorINS0_17counting_iteratorImlEEZNS1_24adjacent_difference_implIS3_Lb1ELb0EPhSB_N6thrust23THRUST_200600_302600_NS5minusIhEEEE10hipError_tPvRmT2_T3_mT4_P12ihipStream_tbEUlmE_hEESB_NS0_8identityIvEEEESG_SJ_SK_mSL_SN_bEUlT_E_NS1_11comp_targetILNS1_3genE0ELNS1_11target_archE4294967295ELNS1_3gpuE0ELNS1_3repE0EEENS1_30default_config_static_selectorELNS0_4arch9wavefront6targetE1EEEvT1_
	.p2align	8
	.type	_ZN7rocprim17ROCPRIM_400000_NS6detail17trampoline_kernelINS0_14default_configENS1_25transform_config_selectorIhLb0EEEZNS1_14transform_implILb0ES3_S5_NS0_18transform_iteratorINS0_17counting_iteratorImlEEZNS1_24adjacent_difference_implIS3_Lb1ELb0EPhSB_N6thrust23THRUST_200600_302600_NS5minusIhEEEE10hipError_tPvRmT2_T3_mT4_P12ihipStream_tbEUlmE_hEESB_NS0_8identityIvEEEESG_SJ_SK_mSL_SN_bEUlT_E_NS1_11comp_targetILNS1_3genE0ELNS1_11target_archE4294967295ELNS1_3gpuE0ELNS1_3repE0EEENS1_30default_config_static_selectorELNS0_4arch9wavefront6targetE1EEEvT1_,@function
_ZN7rocprim17ROCPRIM_400000_NS6detail17trampoline_kernelINS0_14default_configENS1_25transform_config_selectorIhLb0EEEZNS1_14transform_implILb0ES3_S5_NS0_18transform_iteratorINS0_17counting_iteratorImlEEZNS1_24adjacent_difference_implIS3_Lb1ELb0EPhSB_N6thrust23THRUST_200600_302600_NS5minusIhEEEE10hipError_tPvRmT2_T3_mT4_P12ihipStream_tbEUlmE_hEESB_NS0_8identityIvEEEESG_SJ_SK_mSL_SN_bEUlT_E_NS1_11comp_targetILNS1_3genE0ELNS1_11target_archE4294967295ELNS1_3gpuE0ELNS1_3repE0EEENS1_30default_config_static_selectorELNS0_4arch9wavefront6targetE1EEEvT1_: ; @_ZN7rocprim17ROCPRIM_400000_NS6detail17trampoline_kernelINS0_14default_configENS1_25transform_config_selectorIhLb0EEEZNS1_14transform_implILb0ES3_S5_NS0_18transform_iteratorINS0_17counting_iteratorImlEEZNS1_24adjacent_difference_implIS3_Lb1ELb0EPhSB_N6thrust23THRUST_200600_302600_NS5minusIhEEEE10hipError_tPvRmT2_T3_mT4_P12ihipStream_tbEUlmE_hEESB_NS0_8identityIvEEEESG_SJ_SK_mSL_SN_bEUlT_E_NS1_11comp_targetILNS1_3genE0ELNS1_11target_archE4294967295ELNS1_3gpuE0ELNS1_3repE0EEENS1_30default_config_static_selectorELNS0_4arch9wavefront6targetE1EEEvT1_
; %bb.0:
	.section	.rodata,"a",@progbits
	.p2align	6, 0x0
	.amdhsa_kernel _ZN7rocprim17ROCPRIM_400000_NS6detail17trampoline_kernelINS0_14default_configENS1_25transform_config_selectorIhLb0EEEZNS1_14transform_implILb0ES3_S5_NS0_18transform_iteratorINS0_17counting_iteratorImlEEZNS1_24adjacent_difference_implIS3_Lb1ELb0EPhSB_N6thrust23THRUST_200600_302600_NS5minusIhEEEE10hipError_tPvRmT2_T3_mT4_P12ihipStream_tbEUlmE_hEESB_NS0_8identityIvEEEESG_SJ_SK_mSL_SN_bEUlT_E_NS1_11comp_targetILNS1_3genE0ELNS1_11target_archE4294967295ELNS1_3gpuE0ELNS1_3repE0EEENS1_30default_config_static_selectorELNS0_4arch9wavefront6targetE1EEEvT1_
		.amdhsa_group_segment_fixed_size 0
		.amdhsa_private_segment_fixed_size 0
		.amdhsa_kernarg_size 56
		.amdhsa_user_sgpr_count 6
		.amdhsa_user_sgpr_private_segment_buffer 1
		.amdhsa_user_sgpr_dispatch_ptr 0
		.amdhsa_user_sgpr_queue_ptr 0
		.amdhsa_user_sgpr_kernarg_segment_ptr 1
		.amdhsa_user_sgpr_dispatch_id 0
		.amdhsa_user_sgpr_flat_scratch_init 0
		.amdhsa_user_sgpr_kernarg_preload_length 0
		.amdhsa_user_sgpr_kernarg_preload_offset 0
		.amdhsa_user_sgpr_private_segment_size 0
		.amdhsa_uses_dynamic_stack 0
		.amdhsa_system_sgpr_private_segment_wavefront_offset 0
		.amdhsa_system_sgpr_workgroup_id_x 1
		.amdhsa_system_sgpr_workgroup_id_y 0
		.amdhsa_system_sgpr_workgroup_id_z 0
		.amdhsa_system_sgpr_workgroup_info 0
		.amdhsa_system_vgpr_workitem_id 0
		.amdhsa_next_free_vgpr 1
		.amdhsa_next_free_sgpr 0
		.amdhsa_accum_offset 4
		.amdhsa_reserve_vcc 0
		.amdhsa_reserve_flat_scratch 0
		.amdhsa_float_round_mode_32 0
		.amdhsa_float_round_mode_16_64 0
		.amdhsa_float_denorm_mode_32 3
		.amdhsa_float_denorm_mode_16_64 3
		.amdhsa_dx10_clamp 1
		.amdhsa_ieee_mode 1
		.amdhsa_fp16_overflow 0
		.amdhsa_tg_split 0
		.amdhsa_exception_fp_ieee_invalid_op 0
		.amdhsa_exception_fp_denorm_src 0
		.amdhsa_exception_fp_ieee_div_zero 0
		.amdhsa_exception_fp_ieee_overflow 0
		.amdhsa_exception_fp_ieee_underflow 0
		.amdhsa_exception_fp_ieee_inexact 0
		.amdhsa_exception_int_div_zero 0
	.end_amdhsa_kernel
	.section	.text._ZN7rocprim17ROCPRIM_400000_NS6detail17trampoline_kernelINS0_14default_configENS1_25transform_config_selectorIhLb0EEEZNS1_14transform_implILb0ES3_S5_NS0_18transform_iteratorINS0_17counting_iteratorImlEEZNS1_24adjacent_difference_implIS3_Lb1ELb0EPhSB_N6thrust23THRUST_200600_302600_NS5minusIhEEEE10hipError_tPvRmT2_T3_mT4_P12ihipStream_tbEUlmE_hEESB_NS0_8identityIvEEEESG_SJ_SK_mSL_SN_bEUlT_E_NS1_11comp_targetILNS1_3genE0ELNS1_11target_archE4294967295ELNS1_3gpuE0ELNS1_3repE0EEENS1_30default_config_static_selectorELNS0_4arch9wavefront6targetE1EEEvT1_,"axG",@progbits,_ZN7rocprim17ROCPRIM_400000_NS6detail17trampoline_kernelINS0_14default_configENS1_25transform_config_selectorIhLb0EEEZNS1_14transform_implILb0ES3_S5_NS0_18transform_iteratorINS0_17counting_iteratorImlEEZNS1_24adjacent_difference_implIS3_Lb1ELb0EPhSB_N6thrust23THRUST_200600_302600_NS5minusIhEEEE10hipError_tPvRmT2_T3_mT4_P12ihipStream_tbEUlmE_hEESB_NS0_8identityIvEEEESG_SJ_SK_mSL_SN_bEUlT_E_NS1_11comp_targetILNS1_3genE0ELNS1_11target_archE4294967295ELNS1_3gpuE0ELNS1_3repE0EEENS1_30default_config_static_selectorELNS0_4arch9wavefront6targetE1EEEvT1_,comdat
.Lfunc_end271:
	.size	_ZN7rocprim17ROCPRIM_400000_NS6detail17trampoline_kernelINS0_14default_configENS1_25transform_config_selectorIhLb0EEEZNS1_14transform_implILb0ES3_S5_NS0_18transform_iteratorINS0_17counting_iteratorImlEEZNS1_24adjacent_difference_implIS3_Lb1ELb0EPhSB_N6thrust23THRUST_200600_302600_NS5minusIhEEEE10hipError_tPvRmT2_T3_mT4_P12ihipStream_tbEUlmE_hEESB_NS0_8identityIvEEEESG_SJ_SK_mSL_SN_bEUlT_E_NS1_11comp_targetILNS1_3genE0ELNS1_11target_archE4294967295ELNS1_3gpuE0ELNS1_3repE0EEENS1_30default_config_static_selectorELNS0_4arch9wavefront6targetE1EEEvT1_, .Lfunc_end271-_ZN7rocprim17ROCPRIM_400000_NS6detail17trampoline_kernelINS0_14default_configENS1_25transform_config_selectorIhLb0EEEZNS1_14transform_implILb0ES3_S5_NS0_18transform_iteratorINS0_17counting_iteratorImlEEZNS1_24adjacent_difference_implIS3_Lb1ELb0EPhSB_N6thrust23THRUST_200600_302600_NS5minusIhEEEE10hipError_tPvRmT2_T3_mT4_P12ihipStream_tbEUlmE_hEESB_NS0_8identityIvEEEESG_SJ_SK_mSL_SN_bEUlT_E_NS1_11comp_targetILNS1_3genE0ELNS1_11target_archE4294967295ELNS1_3gpuE0ELNS1_3repE0EEENS1_30default_config_static_selectorELNS0_4arch9wavefront6targetE1EEEvT1_
                                        ; -- End function
	.section	.AMDGPU.csdata,"",@progbits
; Kernel info:
; codeLenInByte = 0
; NumSgprs: 4
; NumVgprs: 0
; NumAgprs: 0
; TotalNumVgprs: 0
; ScratchSize: 0
; MemoryBound: 0
; FloatMode: 240
; IeeeMode: 1
; LDSByteSize: 0 bytes/workgroup (compile time only)
; SGPRBlocks: 0
; VGPRBlocks: 0
; NumSGPRsForWavesPerEU: 4
; NumVGPRsForWavesPerEU: 1
; AccumOffset: 4
; Occupancy: 8
; WaveLimiterHint : 0
; COMPUTE_PGM_RSRC2:SCRATCH_EN: 0
; COMPUTE_PGM_RSRC2:USER_SGPR: 6
; COMPUTE_PGM_RSRC2:TRAP_HANDLER: 0
; COMPUTE_PGM_RSRC2:TGID_X_EN: 1
; COMPUTE_PGM_RSRC2:TGID_Y_EN: 0
; COMPUTE_PGM_RSRC2:TGID_Z_EN: 0
; COMPUTE_PGM_RSRC2:TIDIG_COMP_CNT: 0
; COMPUTE_PGM_RSRC3_GFX90A:ACCUM_OFFSET: 0
; COMPUTE_PGM_RSRC3_GFX90A:TG_SPLIT: 0
	.section	.text._ZN7rocprim17ROCPRIM_400000_NS6detail17trampoline_kernelINS0_14default_configENS1_25transform_config_selectorIhLb0EEEZNS1_14transform_implILb0ES3_S5_NS0_18transform_iteratorINS0_17counting_iteratorImlEEZNS1_24adjacent_difference_implIS3_Lb1ELb0EPhSB_N6thrust23THRUST_200600_302600_NS5minusIhEEEE10hipError_tPvRmT2_T3_mT4_P12ihipStream_tbEUlmE_hEESB_NS0_8identityIvEEEESG_SJ_SK_mSL_SN_bEUlT_E_NS1_11comp_targetILNS1_3genE5ELNS1_11target_archE942ELNS1_3gpuE9ELNS1_3repE0EEENS1_30default_config_static_selectorELNS0_4arch9wavefront6targetE1EEEvT1_,"axG",@progbits,_ZN7rocprim17ROCPRIM_400000_NS6detail17trampoline_kernelINS0_14default_configENS1_25transform_config_selectorIhLb0EEEZNS1_14transform_implILb0ES3_S5_NS0_18transform_iteratorINS0_17counting_iteratorImlEEZNS1_24adjacent_difference_implIS3_Lb1ELb0EPhSB_N6thrust23THRUST_200600_302600_NS5minusIhEEEE10hipError_tPvRmT2_T3_mT4_P12ihipStream_tbEUlmE_hEESB_NS0_8identityIvEEEESG_SJ_SK_mSL_SN_bEUlT_E_NS1_11comp_targetILNS1_3genE5ELNS1_11target_archE942ELNS1_3gpuE9ELNS1_3repE0EEENS1_30default_config_static_selectorELNS0_4arch9wavefront6targetE1EEEvT1_,comdat
	.protected	_ZN7rocprim17ROCPRIM_400000_NS6detail17trampoline_kernelINS0_14default_configENS1_25transform_config_selectorIhLb0EEEZNS1_14transform_implILb0ES3_S5_NS0_18transform_iteratorINS0_17counting_iteratorImlEEZNS1_24adjacent_difference_implIS3_Lb1ELb0EPhSB_N6thrust23THRUST_200600_302600_NS5minusIhEEEE10hipError_tPvRmT2_T3_mT4_P12ihipStream_tbEUlmE_hEESB_NS0_8identityIvEEEESG_SJ_SK_mSL_SN_bEUlT_E_NS1_11comp_targetILNS1_3genE5ELNS1_11target_archE942ELNS1_3gpuE9ELNS1_3repE0EEENS1_30default_config_static_selectorELNS0_4arch9wavefront6targetE1EEEvT1_ ; -- Begin function _ZN7rocprim17ROCPRIM_400000_NS6detail17trampoline_kernelINS0_14default_configENS1_25transform_config_selectorIhLb0EEEZNS1_14transform_implILb0ES3_S5_NS0_18transform_iteratorINS0_17counting_iteratorImlEEZNS1_24adjacent_difference_implIS3_Lb1ELb0EPhSB_N6thrust23THRUST_200600_302600_NS5minusIhEEEE10hipError_tPvRmT2_T3_mT4_P12ihipStream_tbEUlmE_hEESB_NS0_8identityIvEEEESG_SJ_SK_mSL_SN_bEUlT_E_NS1_11comp_targetILNS1_3genE5ELNS1_11target_archE942ELNS1_3gpuE9ELNS1_3repE0EEENS1_30default_config_static_selectorELNS0_4arch9wavefront6targetE1EEEvT1_
	.globl	_ZN7rocprim17ROCPRIM_400000_NS6detail17trampoline_kernelINS0_14default_configENS1_25transform_config_selectorIhLb0EEEZNS1_14transform_implILb0ES3_S5_NS0_18transform_iteratorINS0_17counting_iteratorImlEEZNS1_24adjacent_difference_implIS3_Lb1ELb0EPhSB_N6thrust23THRUST_200600_302600_NS5minusIhEEEE10hipError_tPvRmT2_T3_mT4_P12ihipStream_tbEUlmE_hEESB_NS0_8identityIvEEEESG_SJ_SK_mSL_SN_bEUlT_E_NS1_11comp_targetILNS1_3genE5ELNS1_11target_archE942ELNS1_3gpuE9ELNS1_3repE0EEENS1_30default_config_static_selectorELNS0_4arch9wavefront6targetE1EEEvT1_
	.p2align	8
	.type	_ZN7rocprim17ROCPRIM_400000_NS6detail17trampoline_kernelINS0_14default_configENS1_25transform_config_selectorIhLb0EEEZNS1_14transform_implILb0ES3_S5_NS0_18transform_iteratorINS0_17counting_iteratorImlEEZNS1_24adjacent_difference_implIS3_Lb1ELb0EPhSB_N6thrust23THRUST_200600_302600_NS5minusIhEEEE10hipError_tPvRmT2_T3_mT4_P12ihipStream_tbEUlmE_hEESB_NS0_8identityIvEEEESG_SJ_SK_mSL_SN_bEUlT_E_NS1_11comp_targetILNS1_3genE5ELNS1_11target_archE942ELNS1_3gpuE9ELNS1_3repE0EEENS1_30default_config_static_selectorELNS0_4arch9wavefront6targetE1EEEvT1_,@function
_ZN7rocprim17ROCPRIM_400000_NS6detail17trampoline_kernelINS0_14default_configENS1_25transform_config_selectorIhLb0EEEZNS1_14transform_implILb0ES3_S5_NS0_18transform_iteratorINS0_17counting_iteratorImlEEZNS1_24adjacent_difference_implIS3_Lb1ELb0EPhSB_N6thrust23THRUST_200600_302600_NS5minusIhEEEE10hipError_tPvRmT2_T3_mT4_P12ihipStream_tbEUlmE_hEESB_NS0_8identityIvEEEESG_SJ_SK_mSL_SN_bEUlT_E_NS1_11comp_targetILNS1_3genE5ELNS1_11target_archE942ELNS1_3gpuE9ELNS1_3repE0EEENS1_30default_config_static_selectorELNS0_4arch9wavefront6targetE1EEEvT1_: ; @_ZN7rocprim17ROCPRIM_400000_NS6detail17trampoline_kernelINS0_14default_configENS1_25transform_config_selectorIhLb0EEEZNS1_14transform_implILb0ES3_S5_NS0_18transform_iteratorINS0_17counting_iteratorImlEEZNS1_24adjacent_difference_implIS3_Lb1ELb0EPhSB_N6thrust23THRUST_200600_302600_NS5minusIhEEEE10hipError_tPvRmT2_T3_mT4_P12ihipStream_tbEUlmE_hEESB_NS0_8identityIvEEEESG_SJ_SK_mSL_SN_bEUlT_E_NS1_11comp_targetILNS1_3genE5ELNS1_11target_archE942ELNS1_3gpuE9ELNS1_3repE0EEENS1_30default_config_static_selectorELNS0_4arch9wavefront6targetE1EEEvT1_
; %bb.0:
	.section	.rodata,"a",@progbits
	.p2align	6, 0x0
	.amdhsa_kernel _ZN7rocprim17ROCPRIM_400000_NS6detail17trampoline_kernelINS0_14default_configENS1_25transform_config_selectorIhLb0EEEZNS1_14transform_implILb0ES3_S5_NS0_18transform_iteratorINS0_17counting_iteratorImlEEZNS1_24adjacent_difference_implIS3_Lb1ELb0EPhSB_N6thrust23THRUST_200600_302600_NS5minusIhEEEE10hipError_tPvRmT2_T3_mT4_P12ihipStream_tbEUlmE_hEESB_NS0_8identityIvEEEESG_SJ_SK_mSL_SN_bEUlT_E_NS1_11comp_targetILNS1_3genE5ELNS1_11target_archE942ELNS1_3gpuE9ELNS1_3repE0EEENS1_30default_config_static_selectorELNS0_4arch9wavefront6targetE1EEEvT1_
		.amdhsa_group_segment_fixed_size 0
		.amdhsa_private_segment_fixed_size 0
		.amdhsa_kernarg_size 56
		.amdhsa_user_sgpr_count 6
		.amdhsa_user_sgpr_private_segment_buffer 1
		.amdhsa_user_sgpr_dispatch_ptr 0
		.amdhsa_user_sgpr_queue_ptr 0
		.amdhsa_user_sgpr_kernarg_segment_ptr 1
		.amdhsa_user_sgpr_dispatch_id 0
		.amdhsa_user_sgpr_flat_scratch_init 0
		.amdhsa_user_sgpr_kernarg_preload_length 0
		.amdhsa_user_sgpr_kernarg_preload_offset 0
		.amdhsa_user_sgpr_private_segment_size 0
		.amdhsa_uses_dynamic_stack 0
		.amdhsa_system_sgpr_private_segment_wavefront_offset 0
		.amdhsa_system_sgpr_workgroup_id_x 1
		.amdhsa_system_sgpr_workgroup_id_y 0
		.amdhsa_system_sgpr_workgroup_id_z 0
		.amdhsa_system_sgpr_workgroup_info 0
		.amdhsa_system_vgpr_workitem_id 0
		.amdhsa_next_free_vgpr 1
		.amdhsa_next_free_sgpr 0
		.amdhsa_accum_offset 4
		.amdhsa_reserve_vcc 0
		.amdhsa_reserve_flat_scratch 0
		.amdhsa_float_round_mode_32 0
		.amdhsa_float_round_mode_16_64 0
		.amdhsa_float_denorm_mode_32 3
		.amdhsa_float_denorm_mode_16_64 3
		.amdhsa_dx10_clamp 1
		.amdhsa_ieee_mode 1
		.amdhsa_fp16_overflow 0
		.amdhsa_tg_split 0
		.amdhsa_exception_fp_ieee_invalid_op 0
		.amdhsa_exception_fp_denorm_src 0
		.amdhsa_exception_fp_ieee_div_zero 0
		.amdhsa_exception_fp_ieee_overflow 0
		.amdhsa_exception_fp_ieee_underflow 0
		.amdhsa_exception_fp_ieee_inexact 0
		.amdhsa_exception_int_div_zero 0
	.end_amdhsa_kernel
	.section	.text._ZN7rocprim17ROCPRIM_400000_NS6detail17trampoline_kernelINS0_14default_configENS1_25transform_config_selectorIhLb0EEEZNS1_14transform_implILb0ES3_S5_NS0_18transform_iteratorINS0_17counting_iteratorImlEEZNS1_24adjacent_difference_implIS3_Lb1ELb0EPhSB_N6thrust23THRUST_200600_302600_NS5minusIhEEEE10hipError_tPvRmT2_T3_mT4_P12ihipStream_tbEUlmE_hEESB_NS0_8identityIvEEEESG_SJ_SK_mSL_SN_bEUlT_E_NS1_11comp_targetILNS1_3genE5ELNS1_11target_archE942ELNS1_3gpuE9ELNS1_3repE0EEENS1_30default_config_static_selectorELNS0_4arch9wavefront6targetE1EEEvT1_,"axG",@progbits,_ZN7rocprim17ROCPRIM_400000_NS6detail17trampoline_kernelINS0_14default_configENS1_25transform_config_selectorIhLb0EEEZNS1_14transform_implILb0ES3_S5_NS0_18transform_iteratorINS0_17counting_iteratorImlEEZNS1_24adjacent_difference_implIS3_Lb1ELb0EPhSB_N6thrust23THRUST_200600_302600_NS5minusIhEEEE10hipError_tPvRmT2_T3_mT4_P12ihipStream_tbEUlmE_hEESB_NS0_8identityIvEEEESG_SJ_SK_mSL_SN_bEUlT_E_NS1_11comp_targetILNS1_3genE5ELNS1_11target_archE942ELNS1_3gpuE9ELNS1_3repE0EEENS1_30default_config_static_selectorELNS0_4arch9wavefront6targetE1EEEvT1_,comdat
.Lfunc_end272:
	.size	_ZN7rocprim17ROCPRIM_400000_NS6detail17trampoline_kernelINS0_14default_configENS1_25transform_config_selectorIhLb0EEEZNS1_14transform_implILb0ES3_S5_NS0_18transform_iteratorINS0_17counting_iteratorImlEEZNS1_24adjacent_difference_implIS3_Lb1ELb0EPhSB_N6thrust23THRUST_200600_302600_NS5minusIhEEEE10hipError_tPvRmT2_T3_mT4_P12ihipStream_tbEUlmE_hEESB_NS0_8identityIvEEEESG_SJ_SK_mSL_SN_bEUlT_E_NS1_11comp_targetILNS1_3genE5ELNS1_11target_archE942ELNS1_3gpuE9ELNS1_3repE0EEENS1_30default_config_static_selectorELNS0_4arch9wavefront6targetE1EEEvT1_, .Lfunc_end272-_ZN7rocprim17ROCPRIM_400000_NS6detail17trampoline_kernelINS0_14default_configENS1_25transform_config_selectorIhLb0EEEZNS1_14transform_implILb0ES3_S5_NS0_18transform_iteratorINS0_17counting_iteratorImlEEZNS1_24adjacent_difference_implIS3_Lb1ELb0EPhSB_N6thrust23THRUST_200600_302600_NS5minusIhEEEE10hipError_tPvRmT2_T3_mT4_P12ihipStream_tbEUlmE_hEESB_NS0_8identityIvEEEESG_SJ_SK_mSL_SN_bEUlT_E_NS1_11comp_targetILNS1_3genE5ELNS1_11target_archE942ELNS1_3gpuE9ELNS1_3repE0EEENS1_30default_config_static_selectorELNS0_4arch9wavefront6targetE1EEEvT1_
                                        ; -- End function
	.section	.AMDGPU.csdata,"",@progbits
; Kernel info:
; codeLenInByte = 0
; NumSgprs: 4
; NumVgprs: 0
; NumAgprs: 0
; TotalNumVgprs: 0
; ScratchSize: 0
; MemoryBound: 0
; FloatMode: 240
; IeeeMode: 1
; LDSByteSize: 0 bytes/workgroup (compile time only)
; SGPRBlocks: 0
; VGPRBlocks: 0
; NumSGPRsForWavesPerEU: 4
; NumVGPRsForWavesPerEU: 1
; AccumOffset: 4
; Occupancy: 8
; WaveLimiterHint : 0
; COMPUTE_PGM_RSRC2:SCRATCH_EN: 0
; COMPUTE_PGM_RSRC2:USER_SGPR: 6
; COMPUTE_PGM_RSRC2:TRAP_HANDLER: 0
; COMPUTE_PGM_RSRC2:TGID_X_EN: 1
; COMPUTE_PGM_RSRC2:TGID_Y_EN: 0
; COMPUTE_PGM_RSRC2:TGID_Z_EN: 0
; COMPUTE_PGM_RSRC2:TIDIG_COMP_CNT: 0
; COMPUTE_PGM_RSRC3_GFX90A:ACCUM_OFFSET: 0
; COMPUTE_PGM_RSRC3_GFX90A:TG_SPLIT: 0
	.section	.text._ZN7rocprim17ROCPRIM_400000_NS6detail17trampoline_kernelINS0_14default_configENS1_25transform_config_selectorIhLb0EEEZNS1_14transform_implILb0ES3_S5_NS0_18transform_iteratorINS0_17counting_iteratorImlEEZNS1_24adjacent_difference_implIS3_Lb1ELb0EPhSB_N6thrust23THRUST_200600_302600_NS5minusIhEEEE10hipError_tPvRmT2_T3_mT4_P12ihipStream_tbEUlmE_hEESB_NS0_8identityIvEEEESG_SJ_SK_mSL_SN_bEUlT_E_NS1_11comp_targetILNS1_3genE4ELNS1_11target_archE910ELNS1_3gpuE8ELNS1_3repE0EEENS1_30default_config_static_selectorELNS0_4arch9wavefront6targetE1EEEvT1_,"axG",@progbits,_ZN7rocprim17ROCPRIM_400000_NS6detail17trampoline_kernelINS0_14default_configENS1_25transform_config_selectorIhLb0EEEZNS1_14transform_implILb0ES3_S5_NS0_18transform_iteratorINS0_17counting_iteratorImlEEZNS1_24adjacent_difference_implIS3_Lb1ELb0EPhSB_N6thrust23THRUST_200600_302600_NS5minusIhEEEE10hipError_tPvRmT2_T3_mT4_P12ihipStream_tbEUlmE_hEESB_NS0_8identityIvEEEESG_SJ_SK_mSL_SN_bEUlT_E_NS1_11comp_targetILNS1_3genE4ELNS1_11target_archE910ELNS1_3gpuE8ELNS1_3repE0EEENS1_30default_config_static_selectorELNS0_4arch9wavefront6targetE1EEEvT1_,comdat
	.protected	_ZN7rocprim17ROCPRIM_400000_NS6detail17trampoline_kernelINS0_14default_configENS1_25transform_config_selectorIhLb0EEEZNS1_14transform_implILb0ES3_S5_NS0_18transform_iteratorINS0_17counting_iteratorImlEEZNS1_24adjacent_difference_implIS3_Lb1ELb0EPhSB_N6thrust23THRUST_200600_302600_NS5minusIhEEEE10hipError_tPvRmT2_T3_mT4_P12ihipStream_tbEUlmE_hEESB_NS0_8identityIvEEEESG_SJ_SK_mSL_SN_bEUlT_E_NS1_11comp_targetILNS1_3genE4ELNS1_11target_archE910ELNS1_3gpuE8ELNS1_3repE0EEENS1_30default_config_static_selectorELNS0_4arch9wavefront6targetE1EEEvT1_ ; -- Begin function _ZN7rocprim17ROCPRIM_400000_NS6detail17trampoline_kernelINS0_14default_configENS1_25transform_config_selectorIhLb0EEEZNS1_14transform_implILb0ES3_S5_NS0_18transform_iteratorINS0_17counting_iteratorImlEEZNS1_24adjacent_difference_implIS3_Lb1ELb0EPhSB_N6thrust23THRUST_200600_302600_NS5minusIhEEEE10hipError_tPvRmT2_T3_mT4_P12ihipStream_tbEUlmE_hEESB_NS0_8identityIvEEEESG_SJ_SK_mSL_SN_bEUlT_E_NS1_11comp_targetILNS1_3genE4ELNS1_11target_archE910ELNS1_3gpuE8ELNS1_3repE0EEENS1_30default_config_static_selectorELNS0_4arch9wavefront6targetE1EEEvT1_
	.globl	_ZN7rocprim17ROCPRIM_400000_NS6detail17trampoline_kernelINS0_14default_configENS1_25transform_config_selectorIhLb0EEEZNS1_14transform_implILb0ES3_S5_NS0_18transform_iteratorINS0_17counting_iteratorImlEEZNS1_24adjacent_difference_implIS3_Lb1ELb0EPhSB_N6thrust23THRUST_200600_302600_NS5minusIhEEEE10hipError_tPvRmT2_T3_mT4_P12ihipStream_tbEUlmE_hEESB_NS0_8identityIvEEEESG_SJ_SK_mSL_SN_bEUlT_E_NS1_11comp_targetILNS1_3genE4ELNS1_11target_archE910ELNS1_3gpuE8ELNS1_3repE0EEENS1_30default_config_static_selectorELNS0_4arch9wavefront6targetE1EEEvT1_
	.p2align	8
	.type	_ZN7rocprim17ROCPRIM_400000_NS6detail17trampoline_kernelINS0_14default_configENS1_25transform_config_selectorIhLb0EEEZNS1_14transform_implILb0ES3_S5_NS0_18transform_iteratorINS0_17counting_iteratorImlEEZNS1_24adjacent_difference_implIS3_Lb1ELb0EPhSB_N6thrust23THRUST_200600_302600_NS5minusIhEEEE10hipError_tPvRmT2_T3_mT4_P12ihipStream_tbEUlmE_hEESB_NS0_8identityIvEEEESG_SJ_SK_mSL_SN_bEUlT_E_NS1_11comp_targetILNS1_3genE4ELNS1_11target_archE910ELNS1_3gpuE8ELNS1_3repE0EEENS1_30default_config_static_selectorELNS0_4arch9wavefront6targetE1EEEvT1_,@function
_ZN7rocprim17ROCPRIM_400000_NS6detail17trampoline_kernelINS0_14default_configENS1_25transform_config_selectorIhLb0EEEZNS1_14transform_implILb0ES3_S5_NS0_18transform_iteratorINS0_17counting_iteratorImlEEZNS1_24adjacent_difference_implIS3_Lb1ELb0EPhSB_N6thrust23THRUST_200600_302600_NS5minusIhEEEE10hipError_tPvRmT2_T3_mT4_P12ihipStream_tbEUlmE_hEESB_NS0_8identityIvEEEESG_SJ_SK_mSL_SN_bEUlT_E_NS1_11comp_targetILNS1_3genE4ELNS1_11target_archE910ELNS1_3gpuE8ELNS1_3repE0EEENS1_30default_config_static_selectorELNS0_4arch9wavefront6targetE1EEEvT1_: ; @_ZN7rocprim17ROCPRIM_400000_NS6detail17trampoline_kernelINS0_14default_configENS1_25transform_config_selectorIhLb0EEEZNS1_14transform_implILb0ES3_S5_NS0_18transform_iteratorINS0_17counting_iteratorImlEEZNS1_24adjacent_difference_implIS3_Lb1ELb0EPhSB_N6thrust23THRUST_200600_302600_NS5minusIhEEEE10hipError_tPvRmT2_T3_mT4_P12ihipStream_tbEUlmE_hEESB_NS0_8identityIvEEEESG_SJ_SK_mSL_SN_bEUlT_E_NS1_11comp_targetILNS1_3genE4ELNS1_11target_archE910ELNS1_3gpuE8ELNS1_3repE0EEENS1_30default_config_static_selectorELNS0_4arch9wavefront6targetE1EEEvT1_
; %bb.0:
	s_load_dwordx4 s[0:3], s[4:5], 0x18
	s_load_dwordx2 s[8:9], s[4:5], 0x28
	s_waitcnt lgkmcnt(0)
	s_load_dword s3, s[4:5], 0x38
	s_load_dwordx4 s[36:39], s[4:5], 0x0
	s_load_dword s40, s[4:5], 0x10
	s_mov_b32 s41, 0
	s_add_u32 s33, s8, s0
	s_addc_u32 s42, s9, s1
	s_lshl_b32 s43, s6, 10
	s_waitcnt lgkmcnt(0)
	s_add_i32 s3, s3, -1
	s_add_u32 s4, s36, s43
	s_addc_u32 s5, s37, 0
	s_add_u32 s44, s4, s0
	s_addc_u32 s45, s5, s1
	s_cmp_lg_u32 s6, s3
	s_cbranch_scc0 .LBB273_2
; %bb.1:
	v_add_co_u32_e32 v4, vcc, s44, v0
	v_pk_mov_b32 v[2:3], s[38:39], s[38:39] op_sel:[0,1]
	v_mov_b32_e32 v1, s45
	v_mad_u64_u32 v[2:3], s[0:1], v4, s40, v[2:3]
	v_addc_co_u32_e32 v1, vcc, 0, v1, vcc
	v_mov_b32_e32 v4, v3
	v_mad_u64_u32 v[4:5], s[0:1], v1, s40, v[4:5]
	v_mov_b32_e32 v3, v4
	s_lshl_b64 s[0:1], s[40:41], 6
	global_load_ubyte v1, v[2:3], off
	v_mov_b32_e32 v10, s1
	v_add_co_u32_e32 v2, vcc, s0, v2
	v_addc_co_u32_e32 v3, vcc, v3, v10, vcc
	v_add_co_u32_e32 v4, vcc, s0, v2
	v_addc_co_u32_e32 v5, vcc, v3, v10, vcc
	;; [unrolled: 2-line block ×4, first 2 shown]
	global_load_ubyte v11, v[2:3], off
	global_load_ubyte v12, v[4:5], off
	global_load_ubyte v13, v[6:7], off
	global_load_ubyte v14, v[8:9], off
	v_add_co_u32_e32 v2, vcc, s0, v8
	v_addc_co_u32_e32 v3, vcc, v9, v10, vcc
	global_load_ubyte v5, v[2:3], off
	v_add_co_u32_e32 v2, vcc, s0, v2
	v_addc_co_u32_e32 v3, vcc, v3, v10, vcc
	global_load_ubyte v6, v[2:3], off
	;; [unrolled: 3-line block ×11, first 2 shown]
	s_add_u32 s0, s33, s43
	s_addc_u32 s1, s42, 0
	v_mov_b32_e32 v3, s1
	v_add_co_u32_e32 v2, vcc, s0, v0
	v_addc_co_u32_e32 v3, vcc, 0, v3, vcc
	s_mov_b64 s[34:35], -1
	s_waitcnt vmcnt(15)
	global_store_byte v0, v1, s[0:1]
	s_waitcnt vmcnt(15)
	global_store_byte v0, v11, s[0:1] offset:64
	s_waitcnt vmcnt(15)
	global_store_byte v0, v12, s[0:1] offset:128
	;; [unrolled: 2-line block ×14, first 2 shown]
	s_cbranch_execz .LBB273_3
	s_branch .LBB273_68
.LBB273_2:
	s_mov_b64 s[34:35], 0
                                        ; implicit-def: $vgpr4
                                        ; implicit-def: $vgpr2_vgpr3
.LBB273_3:
	s_sub_i32 s36, s2, s43
	v_cmp_gt_u32_e32 vcc, s36, v0
                                        ; implicit-def: $vgpr1
	s_and_saveexec_b64 s[2:3], vcc
	s_cbranch_execz .LBB273_5
; %bb.4:
	v_mov_b32_e32 v1, s45
	s_waitcnt vmcnt(15)
	v_add_co_u32_e64 v4, s[0:1], s44, v0
	v_pk_mov_b32 v[2:3], s[38:39], s[38:39] op_sel:[0,1]
	v_addc_co_u32_e64 v1, s[0:1], 0, v1, s[0:1]
	v_mad_u64_u32 v[2:3], s[0:1], v4, s40, v[2:3]
	v_mov_b32_e32 v4, v3
	v_mad_u64_u32 v[4:5], s[0:1], v1, s40, v[4:5]
	v_mov_b32_e32 v3, v4
	global_load_ubyte v1, v[2:3], off
.LBB273_5:
	s_or_b64 exec, exec, s[2:3]
	v_or_b32_e32 v3, 64, v0
	v_cmp_gt_u32_e64 s[0:1], s36, v3
                                        ; implicit-def: $vgpr2
	s_and_saveexec_b64 s[4:5], s[0:1]
	s_cbranch_execz .LBB273_7
; %bb.6:
	v_mov_b32_e32 v2, s45
	s_waitcnt vmcnt(15)
	v_add_co_u32_e64 v4, s[2:3], s44, v3
	v_addc_co_u32_e64 v5, s[2:3], 0, v2, s[2:3]
	v_pk_mov_b32 v[2:3], s[38:39], s[38:39] op_sel:[0,1]
	v_mad_u64_u32 v[2:3], s[2:3], v4, s40, v[2:3]
	v_mov_b32_e32 v4, v3
	v_mad_u64_u32 v[4:5], s[2:3], v5, s40, v[4:5]
	v_mov_b32_e32 v3, v4
	global_load_ubyte v2, v[2:3], off
.LBB273_7:
	s_or_b64 exec, exec, s[4:5]
	s_waitcnt vmcnt(15)
	v_or_b32_e32 v4, 0x80, v0
	v_cmp_gt_u32_e64 s[2:3], s36, v4
                                        ; implicit-def: $vgpr3
	s_and_saveexec_b64 s[6:7], s[2:3]
	s_cbranch_execz .LBB273_9
; %bb.8:
	v_mov_b32_e32 v3, s45
	v_add_co_u32_e64 v6, s[4:5], s44, v4
	v_pk_mov_b32 v[4:5], s[38:39], s[38:39] op_sel:[0,1]
	v_addc_co_u32_e64 v3, s[4:5], 0, v3, s[4:5]
	v_mad_u64_u32 v[4:5], s[4:5], v6, s40, v[4:5]
	v_mov_b32_e32 v6, v5
	v_mad_u64_u32 v[6:7], s[4:5], v3, s40, v[6:7]
	v_mov_b32_e32 v5, v6
	global_load_ubyte v3, v[4:5], off
.LBB273_9:
	s_or_b64 exec, exec, s[6:7]
	v_or_b32_e32 v5, 0xc0, v0
	v_cmp_gt_u32_e64 s[4:5], s36, v5
                                        ; implicit-def: $vgpr4
	s_and_saveexec_b64 s[8:9], s[4:5]
	s_cbranch_execz .LBB273_11
; %bb.10:
	v_mov_b32_e32 v4, s45
	v_add_co_u32_e64 v6, s[6:7], s44, v5
	v_addc_co_u32_e64 v7, s[6:7], 0, v4, s[6:7]
	v_pk_mov_b32 v[4:5], s[38:39], s[38:39] op_sel:[0,1]
	v_mad_u64_u32 v[4:5], s[6:7], v6, s40, v[4:5]
	v_mov_b32_e32 v6, v5
	v_mad_u64_u32 v[6:7], s[6:7], v7, s40, v[6:7]
	v_mov_b32_e32 v5, v6
	global_load_ubyte v4, v[4:5], off
.LBB273_11:
	s_or_b64 exec, exec, s[8:9]
	v_or_b32_e32 v6, 0x100, v0
	v_cmp_gt_u32_e64 s[6:7], s36, v6
                                        ; implicit-def: $vgpr5
	s_and_saveexec_b64 s[10:11], s[6:7]
	s_cbranch_execz .LBB273_13
; %bb.12:
	v_mov_b32_e32 v5, s45
	v_add_co_u32_e64 v8, s[8:9], s44, v6
	v_pk_mov_b32 v[6:7], s[38:39], s[38:39] op_sel:[0,1]
	v_addc_co_u32_e64 v5, s[8:9], 0, v5, s[8:9]
	v_mad_u64_u32 v[6:7], s[8:9], v8, s40, v[6:7]
	v_mov_b32_e32 v8, v7
	v_mad_u64_u32 v[8:9], s[8:9], v5, s40, v[8:9]
	v_mov_b32_e32 v7, v8
	global_load_ubyte v5, v[6:7], off
.LBB273_13:
	s_or_b64 exec, exec, s[10:11]
	v_or_b32_e32 v7, 0x140, v0
	v_cmp_gt_u32_e64 s[8:9], s36, v7
                                        ; implicit-def: $vgpr6
	s_and_saveexec_b64 s[12:13], s[8:9]
	s_cbranch_execz .LBB273_15
; %bb.14:
	v_mov_b32_e32 v6, s45
	v_add_co_u32_e64 v8, s[10:11], s44, v7
	v_addc_co_u32_e64 v9, s[10:11], 0, v6, s[10:11]
	v_pk_mov_b32 v[6:7], s[38:39], s[38:39] op_sel:[0,1]
	v_mad_u64_u32 v[6:7], s[10:11], v8, s40, v[6:7]
	v_mov_b32_e32 v8, v7
	v_mad_u64_u32 v[8:9], s[10:11], v9, s40, v[8:9]
	v_mov_b32_e32 v7, v8
	global_load_ubyte v6, v[6:7], off
.LBB273_15:
	s_or_b64 exec, exec, s[12:13]
	v_or_b32_e32 v8, 0x180, v0
	v_cmp_gt_u32_e64 s[10:11], s36, v8
                                        ; implicit-def: $vgpr7
	s_and_saveexec_b64 s[14:15], s[10:11]
	s_cbranch_execz .LBB273_17
; %bb.16:
	v_mov_b32_e32 v7, s45
	v_add_co_u32_e64 v10, s[12:13], s44, v8
	v_pk_mov_b32 v[8:9], s[38:39], s[38:39] op_sel:[0,1]
	v_addc_co_u32_e64 v7, s[12:13], 0, v7, s[12:13]
	v_mad_u64_u32 v[8:9], s[12:13], v10, s40, v[8:9]
	v_mov_b32_e32 v10, v9
	v_mad_u64_u32 v[10:11], s[12:13], v7, s40, v[10:11]
	v_mov_b32_e32 v9, v10
	global_load_ubyte v7, v[8:9], off
.LBB273_17:
	s_or_b64 exec, exec, s[14:15]
	v_or_b32_e32 v9, 0x1c0, v0
	v_cmp_gt_u32_e64 s[12:13], s36, v9
                                        ; implicit-def: $vgpr8
	s_and_saveexec_b64 s[16:17], s[12:13]
	s_cbranch_execz .LBB273_19
; %bb.18:
	v_mov_b32_e32 v8, s45
	v_add_co_u32_e64 v10, s[14:15], s44, v9
	v_addc_co_u32_e64 v11, s[14:15], 0, v8, s[14:15]
	v_pk_mov_b32 v[8:9], s[38:39], s[38:39] op_sel:[0,1]
	v_mad_u64_u32 v[8:9], s[14:15], v10, s40, v[8:9]
	v_mov_b32_e32 v10, v9
	v_mad_u64_u32 v[10:11], s[14:15], v11, s40, v[10:11]
	v_mov_b32_e32 v9, v10
	global_load_ubyte v8, v[8:9], off
.LBB273_19:
	s_or_b64 exec, exec, s[16:17]
	v_or_b32_e32 v10, 0x200, v0
	v_cmp_gt_u32_e64 s[14:15], s36, v10
                                        ; implicit-def: $vgpr9
	s_and_saveexec_b64 s[18:19], s[14:15]
	s_cbranch_execz .LBB273_21
; %bb.20:
	v_mov_b32_e32 v9, s45
	v_add_co_u32_e64 v12, s[16:17], s44, v10
	v_pk_mov_b32 v[10:11], s[38:39], s[38:39] op_sel:[0,1]
	v_addc_co_u32_e64 v9, s[16:17], 0, v9, s[16:17]
	v_mad_u64_u32 v[10:11], s[16:17], v12, s40, v[10:11]
	v_mov_b32_e32 v12, v11
	v_mad_u64_u32 v[12:13], s[16:17], v9, s40, v[12:13]
	v_mov_b32_e32 v11, v12
	global_load_ubyte v9, v[10:11], off
.LBB273_21:
	s_or_b64 exec, exec, s[18:19]
	v_or_b32_e32 v11, 0x240, v0
	v_cmp_gt_u32_e64 s[16:17], s36, v11
                                        ; implicit-def: $vgpr10
	s_and_saveexec_b64 s[20:21], s[16:17]
	s_cbranch_execz .LBB273_23
; %bb.22:
	v_mov_b32_e32 v10, s45
	v_add_co_u32_e64 v12, s[18:19], s44, v11
	v_addc_co_u32_e64 v13, s[18:19], 0, v10, s[18:19]
	v_pk_mov_b32 v[10:11], s[38:39], s[38:39] op_sel:[0,1]
	v_mad_u64_u32 v[10:11], s[18:19], v12, s40, v[10:11]
	v_mov_b32_e32 v12, v11
	v_mad_u64_u32 v[12:13], s[18:19], v13, s40, v[12:13]
	v_mov_b32_e32 v11, v12
	global_load_ubyte v10, v[10:11], off
.LBB273_23:
	s_or_b64 exec, exec, s[20:21]
	v_or_b32_e32 v12, 0x280, v0
	v_cmp_gt_u32_e64 s[18:19], s36, v12
                                        ; implicit-def: $vgpr11
	s_and_saveexec_b64 s[22:23], s[18:19]
	s_cbranch_execz .LBB273_25
; %bb.24:
	v_mov_b32_e32 v11, s45
	v_add_co_u32_e64 v14, s[20:21], s44, v12
	v_pk_mov_b32 v[12:13], s[38:39], s[38:39] op_sel:[0,1]
	v_addc_co_u32_e64 v11, s[20:21], 0, v11, s[20:21]
	v_mad_u64_u32 v[12:13], s[20:21], v14, s40, v[12:13]
	v_mov_b32_e32 v14, v13
	v_mad_u64_u32 v[14:15], s[20:21], v11, s40, v[14:15]
	v_mov_b32_e32 v13, v14
	global_load_ubyte v11, v[12:13], off
.LBB273_25:
	s_or_b64 exec, exec, s[22:23]
	v_or_b32_e32 v13, 0x2c0, v0
	v_cmp_gt_u32_e64 s[20:21], s36, v13
                                        ; implicit-def: $vgpr12
	s_and_saveexec_b64 s[24:25], s[20:21]
	s_cbranch_execz .LBB273_27
; %bb.26:
	v_mov_b32_e32 v12, s45
	v_add_co_u32_e64 v14, s[22:23], s44, v13
	v_addc_co_u32_e64 v15, s[22:23], 0, v12, s[22:23]
	v_pk_mov_b32 v[12:13], s[38:39], s[38:39] op_sel:[0,1]
	v_mad_u64_u32 v[12:13], s[22:23], v14, s40, v[12:13]
	v_mov_b32_e32 v14, v13
	v_mad_u64_u32 v[14:15], s[22:23], v15, s40, v[14:15]
	v_mov_b32_e32 v13, v14
	global_load_ubyte v12, v[12:13], off
.LBB273_27:
	s_or_b64 exec, exec, s[24:25]
	v_or_b32_e32 v14, 0x300, v0
	v_cmp_gt_u32_e64 s[22:23], s36, v14
                                        ; implicit-def: $vgpr13
	s_and_saveexec_b64 s[26:27], s[22:23]
	s_cbranch_execz .LBB273_29
; %bb.28:
	v_mov_b32_e32 v13, s45
	v_add_co_u32_e64 v16, s[24:25], s44, v14
	v_pk_mov_b32 v[14:15], s[38:39], s[38:39] op_sel:[0,1]
	v_addc_co_u32_e64 v13, s[24:25], 0, v13, s[24:25]
	v_mad_u64_u32 v[14:15], s[24:25], v16, s40, v[14:15]
	v_mov_b32_e32 v16, v15
	v_mad_u64_u32 v[16:17], s[24:25], v13, s40, v[16:17]
	v_mov_b32_e32 v15, v16
	global_load_ubyte v13, v[14:15], off
.LBB273_29:
	s_or_b64 exec, exec, s[26:27]
	v_or_b32_e32 v15, 0x340, v0
	v_cmp_gt_u32_e64 s[24:25], s36, v15
                                        ; implicit-def: $vgpr14
	s_and_saveexec_b64 s[28:29], s[24:25]
	s_cbranch_execz .LBB273_31
; %bb.30:
	v_mov_b32_e32 v14, s45
	v_add_co_u32_e64 v16, s[26:27], s44, v15
	v_addc_co_u32_e64 v17, s[26:27], 0, v14, s[26:27]
	v_pk_mov_b32 v[14:15], s[38:39], s[38:39] op_sel:[0,1]
	v_mad_u64_u32 v[14:15], s[26:27], v16, s40, v[14:15]
	v_mov_b32_e32 v16, v15
	v_mad_u64_u32 v[16:17], s[26:27], v17, s40, v[16:17]
	v_mov_b32_e32 v15, v16
	global_load_ubyte v14, v[14:15], off
.LBB273_31:
	s_or_b64 exec, exec, s[28:29]
	v_or_b32_e32 v16, 0x380, v0
	v_cmp_gt_u32_e64 s[26:27], s36, v16
                                        ; implicit-def: $vgpr15
	s_and_saveexec_b64 s[30:31], s[26:27]
	s_cbranch_execz .LBB273_33
; %bb.32:
	v_mov_b32_e32 v15, s45
	v_add_co_u32_e64 v18, s[28:29], s44, v16
	v_pk_mov_b32 v[16:17], s[38:39], s[38:39] op_sel:[0,1]
	v_addc_co_u32_e64 v15, s[28:29], 0, v15, s[28:29]
	v_mad_u64_u32 v[16:17], s[28:29], v18, s40, v[16:17]
	v_mov_b32_e32 v18, v17
	v_mad_u64_u32 v[18:19], s[28:29], v15, s40, v[18:19]
	v_mov_b32_e32 v17, v18
	global_load_ubyte v15, v[16:17], off
.LBB273_33:
	s_or_b64 exec, exec, s[30:31]
	v_or_b32_e32 v17, 0x3c0, v0
	v_cmp_gt_u32_e64 s[28:29], s36, v17
                                        ; implicit-def: $vgpr16
	s_and_saveexec_b64 s[36:37], s[28:29]
	s_cbranch_execz .LBB273_35
; %bb.34:
	v_mov_b32_e32 v16, s45
	v_add_co_u32_e64 v18, s[30:31], s44, v17
	v_addc_co_u32_e64 v19, s[30:31], 0, v16, s[30:31]
	v_pk_mov_b32 v[16:17], s[38:39], s[38:39] op_sel:[0,1]
	v_mad_u64_u32 v[16:17], s[30:31], v18, s40, v[16:17]
	v_mov_b32_e32 v18, v17
	v_mad_u64_u32 v[18:19], s[30:31], v19, s40, v[18:19]
	v_mov_b32_e32 v17, v18
	global_load_ubyte v16, v[16:17], off
.LBB273_35:
	s_or_b64 exec, exec, s[36:37]
	s_waitcnt vmcnt(0)
	v_lshlrev_b16_e32 v2, 8, v2
	v_or_b32_sdwa v1, v1, v2 dst_sel:DWORD dst_unused:UNUSED_PAD src0_sel:BYTE_0 src1_sel:DWORD
	v_lshlrev_b16_e32 v2, 8, v4
	v_or_b32_sdwa v2, v3, v2 dst_sel:WORD_1 dst_unused:UNUSED_PAD src0_sel:BYTE_0 src1_sel:DWORD
	v_or_b32_sdwa v17, v1, v2 dst_sel:DWORD dst_unused:UNUSED_PAD src0_sel:WORD_0 src1_sel:DWORD
	v_lshlrev_b16_e32 v1, 8, v6
	v_lshlrev_b16_e32 v2, 8, v8
	v_or_b32_sdwa v1, v5, v1 dst_sel:DWORD dst_unused:UNUSED_PAD src0_sel:BYTE_0 src1_sel:DWORD
	v_or_b32_sdwa v2, v7, v2 dst_sel:WORD_1 dst_unused:UNUSED_PAD src0_sel:BYTE_0 src1_sel:DWORD
	v_or_b32_sdwa v5, v1, v2 dst_sel:DWORD dst_unused:UNUSED_PAD src0_sel:WORD_0 src1_sel:DWORD
	v_lshlrev_b16_e32 v1, 8, v10
	v_lshlrev_b16_e32 v2, 8, v12
	v_or_b32_sdwa v1, v9, v1 dst_sel:DWORD dst_unused:UNUSED_PAD src0_sel:BYTE_0 src1_sel:DWORD
	v_or_b32_sdwa v2, v11, v2 dst_sel:WORD_1 dst_unused:UNUSED_PAD src0_sel:BYTE_0 src1_sel:DWORD
	v_or_b32_sdwa v4, v1, v2 dst_sel:DWORD dst_unused:UNUSED_PAD src0_sel:WORD_0 src1_sel:DWORD
	v_lshlrev_b16_e32 v1, 8, v14
	v_lshlrev_b16_e32 v2, 8, v16
	s_add_u32 s30, s33, s43
	v_or_b32_sdwa v1, v13, v1 dst_sel:DWORD dst_unused:UNUSED_PAD src0_sel:BYTE_0 src1_sel:DWORD
	v_or_b32_sdwa v2, v15, v2 dst_sel:WORD_1 dst_unused:UNUSED_PAD src0_sel:BYTE_0 src1_sel:DWORD
	s_addc_u32 s31, s42, 0
	v_or_b32_sdwa v1, v1, v2 dst_sel:DWORD dst_unused:UNUSED_PAD src0_sel:WORD_0 src1_sel:DWORD
	v_mov_b32_e32 v3, s31
	v_add_co_u32_e64 v2, s[30:31], s30, v0
	v_addc_co_u32_e64 v3, s[30:31], 0, v3, s[30:31]
	s_and_saveexec_b64 s[30:31], vcc
	s_cbranch_execz .LBB273_37
; %bb.36:
	global_store_byte v[2:3], v17, off
.LBB273_37:
	s_or_b64 exec, exec, s[30:31]
	s_and_saveexec_b64 s[30:31], s[0:1]
	s_cbranch_execz .LBB273_39
; %bb.38:
	v_lshrrev_b32_e32 v0, 8, v17
	global_store_byte v[2:3], v0, off offset:64
.LBB273_39:
	s_or_b64 exec, exec, s[30:31]
	s_mov_b32 s0, 0x7060104
	v_perm_b32 v0, v17, v17, s0
	v_cndmask_b32_e64 v6, v0, v17, s[2:3]
	s_and_saveexec_b64 s[0:1], s[2:3]
	s_cbranch_execz .LBB273_41
; %bb.40:
	global_store_byte_d16_hi v[2:3], v6, off offset:128
.LBB273_41:
	s_or_b64 exec, exec, s[0:1]
	s_mov_b32 s0, 0x7020504
	v_perm_b32 v0, v0, v6, s0
	v_cndmask_b32_e64 v0, v0, v17, s[4:5]
	s_and_saveexec_b64 s[0:1], s[4:5]
	s_cbranch_execz .LBB273_43
; %bb.42:
	v_lshrrev_b32_e32 v0, 24, v0
	global_store_byte v[2:3], v0, off offset:192
.LBB273_43:
	s_or_b64 exec, exec, s[0:1]
	s_and_saveexec_b64 s[0:1], s[6:7]
	s_cbranch_execz .LBB273_45
; %bb.44:
	global_store_byte v[2:3], v5, off offset:256
.LBB273_45:
	s_or_b64 exec, exec, s[0:1]
	s_mov_b32 s0, 0x3020104
	v_perm_b32 v0, v5, v5, s0
	v_cndmask_b32_e64 v6, v0, v5, s[8:9]
	s_and_saveexec_b64 s[0:1], s[8:9]
	s_cbranch_execz .LBB273_47
; %bb.46:
	v_lshrrev_b32_e32 v7, 8, v6
	global_store_byte v[2:3], v7, off offset:320
.LBB273_47:
	s_or_b64 exec, exec, s[0:1]
	s_mov_b32 s0, 0x7060104
	v_perm_b32 v0, v0, v6, s0
	v_cndmask_b32_e64 v6, v0, v5, s[10:11]
	s_and_saveexec_b64 s[0:1], s[10:11]
	s_cbranch_execz .LBB273_49
; %bb.48:
	global_store_byte_d16_hi v[2:3], v6, off offset:384
.LBB273_49:
	s_or_b64 exec, exec, s[0:1]
	s_mov_b32 s0, 0x7020504
	v_perm_b32 v0, v0, v6, s0
	v_cndmask_b32_e64 v0, v0, v5, s[12:13]
	s_and_saveexec_b64 s[0:1], s[12:13]
	s_cbranch_execz .LBB273_51
; %bb.50:
	v_lshrrev_b32_e32 v0, 24, v0
	global_store_byte v[2:3], v0, off offset:448
.LBB273_51:
	s_or_b64 exec, exec, s[0:1]
	s_and_saveexec_b64 s[0:1], s[14:15]
	s_cbranch_execz .LBB273_53
; %bb.52:
	global_store_byte v[2:3], v4, off offset:512
.LBB273_53:
	s_or_b64 exec, exec, s[0:1]
	s_mov_b32 s0, 0x3020104
	v_perm_b32 v0, v4, v4, s0
	v_cndmask_b32_e64 v5, v0, v4, s[16:17]
	;; [unrolled: 35-line block ×3, first 2 shown]
	s_and_saveexec_b64 s[0:1], s[24:25]
	s_cbranch_execz .LBB273_63
; %bb.62:
	v_lshrrev_b32_e32 v5, 8, v4
	global_store_byte v[2:3], v5, off offset:832
.LBB273_63:
	s_or_b64 exec, exec, s[0:1]
	s_mov_b32 s0, 0x7060104
	v_perm_b32 v0, v0, v4, s0
	s_and_saveexec_b64 s[0:1], s[26:27]
	s_cbranch_execz .LBB273_65
; %bb.64:
	v_cndmask_b32_e64 v4, v0, v1, s[26:27]
	global_store_byte_d16_hi v[2:3], v4, off offset:896
.LBB273_65:
	s_or_b64 exec, exec, s[0:1]
                                        ; implicit-def: $vgpr4
	s_and_saveexec_b64 s[0:1], s[28:29]
; %bb.66:
	v_cndmask_b32_e64 v0, v0, v1, s[28:29]
	v_lshrrev_b32_e32 v4, 24, v0
	s_or_b64 s[34:35], s[34:35], exec
; %bb.67:
	s_or_b64 exec, exec, s[0:1]
.LBB273_68:
	s_and_saveexec_b64 s[0:1], s[34:35]
	s_cbranch_execnz .LBB273_70
; %bb.69:
	s_endpgm
.LBB273_70:
	s_waitcnt vmcnt(15)
	global_store_byte v[2:3], v4, off offset:960
	s_endpgm
	.section	.rodata,"a",@progbits
	.p2align	6, 0x0
	.amdhsa_kernel _ZN7rocprim17ROCPRIM_400000_NS6detail17trampoline_kernelINS0_14default_configENS1_25transform_config_selectorIhLb0EEEZNS1_14transform_implILb0ES3_S5_NS0_18transform_iteratorINS0_17counting_iteratorImlEEZNS1_24adjacent_difference_implIS3_Lb1ELb0EPhSB_N6thrust23THRUST_200600_302600_NS5minusIhEEEE10hipError_tPvRmT2_T3_mT4_P12ihipStream_tbEUlmE_hEESB_NS0_8identityIvEEEESG_SJ_SK_mSL_SN_bEUlT_E_NS1_11comp_targetILNS1_3genE4ELNS1_11target_archE910ELNS1_3gpuE8ELNS1_3repE0EEENS1_30default_config_static_selectorELNS0_4arch9wavefront6targetE1EEEvT1_
		.amdhsa_group_segment_fixed_size 0
		.amdhsa_private_segment_fixed_size 0
		.amdhsa_kernarg_size 312
		.amdhsa_user_sgpr_count 6
		.amdhsa_user_sgpr_private_segment_buffer 1
		.amdhsa_user_sgpr_dispatch_ptr 0
		.amdhsa_user_sgpr_queue_ptr 0
		.amdhsa_user_sgpr_kernarg_segment_ptr 1
		.amdhsa_user_sgpr_dispatch_id 0
		.amdhsa_user_sgpr_flat_scratch_init 0
		.amdhsa_user_sgpr_kernarg_preload_length 0
		.amdhsa_user_sgpr_kernarg_preload_offset 0
		.amdhsa_user_sgpr_private_segment_size 0
		.amdhsa_uses_dynamic_stack 0
		.amdhsa_system_sgpr_private_segment_wavefront_offset 0
		.amdhsa_system_sgpr_workgroup_id_x 1
		.amdhsa_system_sgpr_workgroup_id_y 0
		.amdhsa_system_sgpr_workgroup_id_z 0
		.amdhsa_system_sgpr_workgroup_info 0
		.amdhsa_system_vgpr_workitem_id 0
		.amdhsa_next_free_vgpr 20
		.amdhsa_next_free_sgpr 46
		.amdhsa_accum_offset 20
		.amdhsa_reserve_vcc 1
		.amdhsa_reserve_flat_scratch 0
		.amdhsa_float_round_mode_32 0
		.amdhsa_float_round_mode_16_64 0
		.amdhsa_float_denorm_mode_32 3
		.amdhsa_float_denorm_mode_16_64 3
		.amdhsa_dx10_clamp 1
		.amdhsa_ieee_mode 1
		.amdhsa_fp16_overflow 0
		.amdhsa_tg_split 0
		.amdhsa_exception_fp_ieee_invalid_op 0
		.amdhsa_exception_fp_denorm_src 0
		.amdhsa_exception_fp_ieee_div_zero 0
		.amdhsa_exception_fp_ieee_overflow 0
		.amdhsa_exception_fp_ieee_underflow 0
		.amdhsa_exception_fp_ieee_inexact 0
		.amdhsa_exception_int_div_zero 0
	.end_amdhsa_kernel
	.section	.text._ZN7rocprim17ROCPRIM_400000_NS6detail17trampoline_kernelINS0_14default_configENS1_25transform_config_selectorIhLb0EEEZNS1_14transform_implILb0ES3_S5_NS0_18transform_iteratorINS0_17counting_iteratorImlEEZNS1_24adjacent_difference_implIS3_Lb1ELb0EPhSB_N6thrust23THRUST_200600_302600_NS5minusIhEEEE10hipError_tPvRmT2_T3_mT4_P12ihipStream_tbEUlmE_hEESB_NS0_8identityIvEEEESG_SJ_SK_mSL_SN_bEUlT_E_NS1_11comp_targetILNS1_3genE4ELNS1_11target_archE910ELNS1_3gpuE8ELNS1_3repE0EEENS1_30default_config_static_selectorELNS0_4arch9wavefront6targetE1EEEvT1_,"axG",@progbits,_ZN7rocprim17ROCPRIM_400000_NS6detail17trampoline_kernelINS0_14default_configENS1_25transform_config_selectorIhLb0EEEZNS1_14transform_implILb0ES3_S5_NS0_18transform_iteratorINS0_17counting_iteratorImlEEZNS1_24adjacent_difference_implIS3_Lb1ELb0EPhSB_N6thrust23THRUST_200600_302600_NS5minusIhEEEE10hipError_tPvRmT2_T3_mT4_P12ihipStream_tbEUlmE_hEESB_NS0_8identityIvEEEESG_SJ_SK_mSL_SN_bEUlT_E_NS1_11comp_targetILNS1_3genE4ELNS1_11target_archE910ELNS1_3gpuE8ELNS1_3repE0EEENS1_30default_config_static_selectorELNS0_4arch9wavefront6targetE1EEEvT1_,comdat
.Lfunc_end273:
	.size	_ZN7rocprim17ROCPRIM_400000_NS6detail17trampoline_kernelINS0_14default_configENS1_25transform_config_selectorIhLb0EEEZNS1_14transform_implILb0ES3_S5_NS0_18transform_iteratorINS0_17counting_iteratorImlEEZNS1_24adjacent_difference_implIS3_Lb1ELb0EPhSB_N6thrust23THRUST_200600_302600_NS5minusIhEEEE10hipError_tPvRmT2_T3_mT4_P12ihipStream_tbEUlmE_hEESB_NS0_8identityIvEEEESG_SJ_SK_mSL_SN_bEUlT_E_NS1_11comp_targetILNS1_3genE4ELNS1_11target_archE910ELNS1_3gpuE8ELNS1_3repE0EEENS1_30default_config_static_selectorELNS0_4arch9wavefront6targetE1EEEvT1_, .Lfunc_end273-_ZN7rocprim17ROCPRIM_400000_NS6detail17trampoline_kernelINS0_14default_configENS1_25transform_config_selectorIhLb0EEEZNS1_14transform_implILb0ES3_S5_NS0_18transform_iteratorINS0_17counting_iteratorImlEEZNS1_24adjacent_difference_implIS3_Lb1ELb0EPhSB_N6thrust23THRUST_200600_302600_NS5minusIhEEEE10hipError_tPvRmT2_T3_mT4_P12ihipStream_tbEUlmE_hEESB_NS0_8identityIvEEEESG_SJ_SK_mSL_SN_bEUlT_E_NS1_11comp_targetILNS1_3genE4ELNS1_11target_archE910ELNS1_3gpuE8ELNS1_3repE0EEENS1_30default_config_static_selectorELNS0_4arch9wavefront6targetE1EEEvT1_
                                        ; -- End function
	.section	.AMDGPU.csdata,"",@progbits
; Kernel info:
; codeLenInByte = 2796
; NumSgprs: 50
; NumVgprs: 20
; NumAgprs: 0
; TotalNumVgprs: 20
; ScratchSize: 0
; MemoryBound: 0
; FloatMode: 240
; IeeeMode: 1
; LDSByteSize: 0 bytes/workgroup (compile time only)
; SGPRBlocks: 6
; VGPRBlocks: 2
; NumSGPRsForWavesPerEU: 50
; NumVGPRsForWavesPerEU: 20
; AccumOffset: 20
; Occupancy: 8
; WaveLimiterHint : 0
; COMPUTE_PGM_RSRC2:SCRATCH_EN: 0
; COMPUTE_PGM_RSRC2:USER_SGPR: 6
; COMPUTE_PGM_RSRC2:TRAP_HANDLER: 0
; COMPUTE_PGM_RSRC2:TGID_X_EN: 1
; COMPUTE_PGM_RSRC2:TGID_Y_EN: 0
; COMPUTE_PGM_RSRC2:TGID_Z_EN: 0
; COMPUTE_PGM_RSRC2:TIDIG_COMP_CNT: 0
; COMPUTE_PGM_RSRC3_GFX90A:ACCUM_OFFSET: 4
; COMPUTE_PGM_RSRC3_GFX90A:TG_SPLIT: 0
	.section	.text._ZN7rocprim17ROCPRIM_400000_NS6detail17trampoline_kernelINS0_14default_configENS1_25transform_config_selectorIhLb0EEEZNS1_14transform_implILb0ES3_S5_NS0_18transform_iteratorINS0_17counting_iteratorImlEEZNS1_24adjacent_difference_implIS3_Lb1ELb0EPhSB_N6thrust23THRUST_200600_302600_NS5minusIhEEEE10hipError_tPvRmT2_T3_mT4_P12ihipStream_tbEUlmE_hEESB_NS0_8identityIvEEEESG_SJ_SK_mSL_SN_bEUlT_E_NS1_11comp_targetILNS1_3genE3ELNS1_11target_archE908ELNS1_3gpuE7ELNS1_3repE0EEENS1_30default_config_static_selectorELNS0_4arch9wavefront6targetE1EEEvT1_,"axG",@progbits,_ZN7rocprim17ROCPRIM_400000_NS6detail17trampoline_kernelINS0_14default_configENS1_25transform_config_selectorIhLb0EEEZNS1_14transform_implILb0ES3_S5_NS0_18transform_iteratorINS0_17counting_iteratorImlEEZNS1_24adjacent_difference_implIS3_Lb1ELb0EPhSB_N6thrust23THRUST_200600_302600_NS5minusIhEEEE10hipError_tPvRmT2_T3_mT4_P12ihipStream_tbEUlmE_hEESB_NS0_8identityIvEEEESG_SJ_SK_mSL_SN_bEUlT_E_NS1_11comp_targetILNS1_3genE3ELNS1_11target_archE908ELNS1_3gpuE7ELNS1_3repE0EEENS1_30default_config_static_selectorELNS0_4arch9wavefront6targetE1EEEvT1_,comdat
	.protected	_ZN7rocprim17ROCPRIM_400000_NS6detail17trampoline_kernelINS0_14default_configENS1_25transform_config_selectorIhLb0EEEZNS1_14transform_implILb0ES3_S5_NS0_18transform_iteratorINS0_17counting_iteratorImlEEZNS1_24adjacent_difference_implIS3_Lb1ELb0EPhSB_N6thrust23THRUST_200600_302600_NS5minusIhEEEE10hipError_tPvRmT2_T3_mT4_P12ihipStream_tbEUlmE_hEESB_NS0_8identityIvEEEESG_SJ_SK_mSL_SN_bEUlT_E_NS1_11comp_targetILNS1_3genE3ELNS1_11target_archE908ELNS1_3gpuE7ELNS1_3repE0EEENS1_30default_config_static_selectorELNS0_4arch9wavefront6targetE1EEEvT1_ ; -- Begin function _ZN7rocprim17ROCPRIM_400000_NS6detail17trampoline_kernelINS0_14default_configENS1_25transform_config_selectorIhLb0EEEZNS1_14transform_implILb0ES3_S5_NS0_18transform_iteratorINS0_17counting_iteratorImlEEZNS1_24adjacent_difference_implIS3_Lb1ELb0EPhSB_N6thrust23THRUST_200600_302600_NS5minusIhEEEE10hipError_tPvRmT2_T3_mT4_P12ihipStream_tbEUlmE_hEESB_NS0_8identityIvEEEESG_SJ_SK_mSL_SN_bEUlT_E_NS1_11comp_targetILNS1_3genE3ELNS1_11target_archE908ELNS1_3gpuE7ELNS1_3repE0EEENS1_30default_config_static_selectorELNS0_4arch9wavefront6targetE1EEEvT1_
	.globl	_ZN7rocprim17ROCPRIM_400000_NS6detail17trampoline_kernelINS0_14default_configENS1_25transform_config_selectorIhLb0EEEZNS1_14transform_implILb0ES3_S5_NS0_18transform_iteratorINS0_17counting_iteratorImlEEZNS1_24adjacent_difference_implIS3_Lb1ELb0EPhSB_N6thrust23THRUST_200600_302600_NS5minusIhEEEE10hipError_tPvRmT2_T3_mT4_P12ihipStream_tbEUlmE_hEESB_NS0_8identityIvEEEESG_SJ_SK_mSL_SN_bEUlT_E_NS1_11comp_targetILNS1_3genE3ELNS1_11target_archE908ELNS1_3gpuE7ELNS1_3repE0EEENS1_30default_config_static_selectorELNS0_4arch9wavefront6targetE1EEEvT1_
	.p2align	8
	.type	_ZN7rocprim17ROCPRIM_400000_NS6detail17trampoline_kernelINS0_14default_configENS1_25transform_config_selectorIhLb0EEEZNS1_14transform_implILb0ES3_S5_NS0_18transform_iteratorINS0_17counting_iteratorImlEEZNS1_24adjacent_difference_implIS3_Lb1ELb0EPhSB_N6thrust23THRUST_200600_302600_NS5minusIhEEEE10hipError_tPvRmT2_T3_mT4_P12ihipStream_tbEUlmE_hEESB_NS0_8identityIvEEEESG_SJ_SK_mSL_SN_bEUlT_E_NS1_11comp_targetILNS1_3genE3ELNS1_11target_archE908ELNS1_3gpuE7ELNS1_3repE0EEENS1_30default_config_static_selectorELNS0_4arch9wavefront6targetE1EEEvT1_,@function
_ZN7rocprim17ROCPRIM_400000_NS6detail17trampoline_kernelINS0_14default_configENS1_25transform_config_selectorIhLb0EEEZNS1_14transform_implILb0ES3_S5_NS0_18transform_iteratorINS0_17counting_iteratorImlEEZNS1_24adjacent_difference_implIS3_Lb1ELb0EPhSB_N6thrust23THRUST_200600_302600_NS5minusIhEEEE10hipError_tPvRmT2_T3_mT4_P12ihipStream_tbEUlmE_hEESB_NS0_8identityIvEEEESG_SJ_SK_mSL_SN_bEUlT_E_NS1_11comp_targetILNS1_3genE3ELNS1_11target_archE908ELNS1_3gpuE7ELNS1_3repE0EEENS1_30default_config_static_selectorELNS0_4arch9wavefront6targetE1EEEvT1_: ; @_ZN7rocprim17ROCPRIM_400000_NS6detail17trampoline_kernelINS0_14default_configENS1_25transform_config_selectorIhLb0EEEZNS1_14transform_implILb0ES3_S5_NS0_18transform_iteratorINS0_17counting_iteratorImlEEZNS1_24adjacent_difference_implIS3_Lb1ELb0EPhSB_N6thrust23THRUST_200600_302600_NS5minusIhEEEE10hipError_tPvRmT2_T3_mT4_P12ihipStream_tbEUlmE_hEESB_NS0_8identityIvEEEESG_SJ_SK_mSL_SN_bEUlT_E_NS1_11comp_targetILNS1_3genE3ELNS1_11target_archE908ELNS1_3gpuE7ELNS1_3repE0EEENS1_30default_config_static_selectorELNS0_4arch9wavefront6targetE1EEEvT1_
; %bb.0:
	.section	.rodata,"a",@progbits
	.p2align	6, 0x0
	.amdhsa_kernel _ZN7rocprim17ROCPRIM_400000_NS6detail17trampoline_kernelINS0_14default_configENS1_25transform_config_selectorIhLb0EEEZNS1_14transform_implILb0ES3_S5_NS0_18transform_iteratorINS0_17counting_iteratorImlEEZNS1_24adjacent_difference_implIS3_Lb1ELb0EPhSB_N6thrust23THRUST_200600_302600_NS5minusIhEEEE10hipError_tPvRmT2_T3_mT4_P12ihipStream_tbEUlmE_hEESB_NS0_8identityIvEEEESG_SJ_SK_mSL_SN_bEUlT_E_NS1_11comp_targetILNS1_3genE3ELNS1_11target_archE908ELNS1_3gpuE7ELNS1_3repE0EEENS1_30default_config_static_selectorELNS0_4arch9wavefront6targetE1EEEvT1_
		.amdhsa_group_segment_fixed_size 0
		.amdhsa_private_segment_fixed_size 0
		.amdhsa_kernarg_size 56
		.amdhsa_user_sgpr_count 6
		.amdhsa_user_sgpr_private_segment_buffer 1
		.amdhsa_user_sgpr_dispatch_ptr 0
		.amdhsa_user_sgpr_queue_ptr 0
		.amdhsa_user_sgpr_kernarg_segment_ptr 1
		.amdhsa_user_sgpr_dispatch_id 0
		.amdhsa_user_sgpr_flat_scratch_init 0
		.amdhsa_user_sgpr_kernarg_preload_length 0
		.amdhsa_user_sgpr_kernarg_preload_offset 0
		.amdhsa_user_sgpr_private_segment_size 0
		.amdhsa_uses_dynamic_stack 0
		.amdhsa_system_sgpr_private_segment_wavefront_offset 0
		.amdhsa_system_sgpr_workgroup_id_x 1
		.amdhsa_system_sgpr_workgroup_id_y 0
		.amdhsa_system_sgpr_workgroup_id_z 0
		.amdhsa_system_sgpr_workgroup_info 0
		.amdhsa_system_vgpr_workitem_id 0
		.amdhsa_next_free_vgpr 1
		.amdhsa_next_free_sgpr 0
		.amdhsa_accum_offset 4
		.amdhsa_reserve_vcc 0
		.amdhsa_reserve_flat_scratch 0
		.amdhsa_float_round_mode_32 0
		.amdhsa_float_round_mode_16_64 0
		.amdhsa_float_denorm_mode_32 3
		.amdhsa_float_denorm_mode_16_64 3
		.amdhsa_dx10_clamp 1
		.amdhsa_ieee_mode 1
		.amdhsa_fp16_overflow 0
		.amdhsa_tg_split 0
		.amdhsa_exception_fp_ieee_invalid_op 0
		.amdhsa_exception_fp_denorm_src 0
		.amdhsa_exception_fp_ieee_div_zero 0
		.amdhsa_exception_fp_ieee_overflow 0
		.amdhsa_exception_fp_ieee_underflow 0
		.amdhsa_exception_fp_ieee_inexact 0
		.amdhsa_exception_int_div_zero 0
	.end_amdhsa_kernel
	.section	.text._ZN7rocprim17ROCPRIM_400000_NS6detail17trampoline_kernelINS0_14default_configENS1_25transform_config_selectorIhLb0EEEZNS1_14transform_implILb0ES3_S5_NS0_18transform_iteratorINS0_17counting_iteratorImlEEZNS1_24adjacent_difference_implIS3_Lb1ELb0EPhSB_N6thrust23THRUST_200600_302600_NS5minusIhEEEE10hipError_tPvRmT2_T3_mT4_P12ihipStream_tbEUlmE_hEESB_NS0_8identityIvEEEESG_SJ_SK_mSL_SN_bEUlT_E_NS1_11comp_targetILNS1_3genE3ELNS1_11target_archE908ELNS1_3gpuE7ELNS1_3repE0EEENS1_30default_config_static_selectorELNS0_4arch9wavefront6targetE1EEEvT1_,"axG",@progbits,_ZN7rocprim17ROCPRIM_400000_NS6detail17trampoline_kernelINS0_14default_configENS1_25transform_config_selectorIhLb0EEEZNS1_14transform_implILb0ES3_S5_NS0_18transform_iteratorINS0_17counting_iteratorImlEEZNS1_24adjacent_difference_implIS3_Lb1ELb0EPhSB_N6thrust23THRUST_200600_302600_NS5minusIhEEEE10hipError_tPvRmT2_T3_mT4_P12ihipStream_tbEUlmE_hEESB_NS0_8identityIvEEEESG_SJ_SK_mSL_SN_bEUlT_E_NS1_11comp_targetILNS1_3genE3ELNS1_11target_archE908ELNS1_3gpuE7ELNS1_3repE0EEENS1_30default_config_static_selectorELNS0_4arch9wavefront6targetE1EEEvT1_,comdat
.Lfunc_end274:
	.size	_ZN7rocprim17ROCPRIM_400000_NS6detail17trampoline_kernelINS0_14default_configENS1_25transform_config_selectorIhLb0EEEZNS1_14transform_implILb0ES3_S5_NS0_18transform_iteratorINS0_17counting_iteratorImlEEZNS1_24adjacent_difference_implIS3_Lb1ELb0EPhSB_N6thrust23THRUST_200600_302600_NS5minusIhEEEE10hipError_tPvRmT2_T3_mT4_P12ihipStream_tbEUlmE_hEESB_NS0_8identityIvEEEESG_SJ_SK_mSL_SN_bEUlT_E_NS1_11comp_targetILNS1_3genE3ELNS1_11target_archE908ELNS1_3gpuE7ELNS1_3repE0EEENS1_30default_config_static_selectorELNS0_4arch9wavefront6targetE1EEEvT1_, .Lfunc_end274-_ZN7rocprim17ROCPRIM_400000_NS6detail17trampoline_kernelINS0_14default_configENS1_25transform_config_selectorIhLb0EEEZNS1_14transform_implILb0ES3_S5_NS0_18transform_iteratorINS0_17counting_iteratorImlEEZNS1_24adjacent_difference_implIS3_Lb1ELb0EPhSB_N6thrust23THRUST_200600_302600_NS5minusIhEEEE10hipError_tPvRmT2_T3_mT4_P12ihipStream_tbEUlmE_hEESB_NS0_8identityIvEEEESG_SJ_SK_mSL_SN_bEUlT_E_NS1_11comp_targetILNS1_3genE3ELNS1_11target_archE908ELNS1_3gpuE7ELNS1_3repE0EEENS1_30default_config_static_selectorELNS0_4arch9wavefront6targetE1EEEvT1_
                                        ; -- End function
	.section	.AMDGPU.csdata,"",@progbits
; Kernel info:
; codeLenInByte = 0
; NumSgprs: 4
; NumVgprs: 0
; NumAgprs: 0
; TotalNumVgprs: 0
; ScratchSize: 0
; MemoryBound: 0
; FloatMode: 240
; IeeeMode: 1
; LDSByteSize: 0 bytes/workgroup (compile time only)
; SGPRBlocks: 0
; VGPRBlocks: 0
; NumSGPRsForWavesPerEU: 4
; NumVGPRsForWavesPerEU: 1
; AccumOffset: 4
; Occupancy: 8
; WaveLimiterHint : 0
; COMPUTE_PGM_RSRC2:SCRATCH_EN: 0
; COMPUTE_PGM_RSRC2:USER_SGPR: 6
; COMPUTE_PGM_RSRC2:TRAP_HANDLER: 0
; COMPUTE_PGM_RSRC2:TGID_X_EN: 1
; COMPUTE_PGM_RSRC2:TGID_Y_EN: 0
; COMPUTE_PGM_RSRC2:TGID_Z_EN: 0
; COMPUTE_PGM_RSRC2:TIDIG_COMP_CNT: 0
; COMPUTE_PGM_RSRC3_GFX90A:ACCUM_OFFSET: 0
; COMPUTE_PGM_RSRC3_GFX90A:TG_SPLIT: 0
	.section	.text._ZN7rocprim17ROCPRIM_400000_NS6detail17trampoline_kernelINS0_14default_configENS1_25transform_config_selectorIhLb0EEEZNS1_14transform_implILb0ES3_S5_NS0_18transform_iteratorINS0_17counting_iteratorImlEEZNS1_24adjacent_difference_implIS3_Lb1ELb0EPhSB_N6thrust23THRUST_200600_302600_NS5minusIhEEEE10hipError_tPvRmT2_T3_mT4_P12ihipStream_tbEUlmE_hEESB_NS0_8identityIvEEEESG_SJ_SK_mSL_SN_bEUlT_E_NS1_11comp_targetILNS1_3genE2ELNS1_11target_archE906ELNS1_3gpuE6ELNS1_3repE0EEENS1_30default_config_static_selectorELNS0_4arch9wavefront6targetE1EEEvT1_,"axG",@progbits,_ZN7rocprim17ROCPRIM_400000_NS6detail17trampoline_kernelINS0_14default_configENS1_25transform_config_selectorIhLb0EEEZNS1_14transform_implILb0ES3_S5_NS0_18transform_iteratorINS0_17counting_iteratorImlEEZNS1_24adjacent_difference_implIS3_Lb1ELb0EPhSB_N6thrust23THRUST_200600_302600_NS5minusIhEEEE10hipError_tPvRmT2_T3_mT4_P12ihipStream_tbEUlmE_hEESB_NS0_8identityIvEEEESG_SJ_SK_mSL_SN_bEUlT_E_NS1_11comp_targetILNS1_3genE2ELNS1_11target_archE906ELNS1_3gpuE6ELNS1_3repE0EEENS1_30default_config_static_selectorELNS0_4arch9wavefront6targetE1EEEvT1_,comdat
	.protected	_ZN7rocprim17ROCPRIM_400000_NS6detail17trampoline_kernelINS0_14default_configENS1_25transform_config_selectorIhLb0EEEZNS1_14transform_implILb0ES3_S5_NS0_18transform_iteratorINS0_17counting_iteratorImlEEZNS1_24adjacent_difference_implIS3_Lb1ELb0EPhSB_N6thrust23THRUST_200600_302600_NS5minusIhEEEE10hipError_tPvRmT2_T3_mT4_P12ihipStream_tbEUlmE_hEESB_NS0_8identityIvEEEESG_SJ_SK_mSL_SN_bEUlT_E_NS1_11comp_targetILNS1_3genE2ELNS1_11target_archE906ELNS1_3gpuE6ELNS1_3repE0EEENS1_30default_config_static_selectorELNS0_4arch9wavefront6targetE1EEEvT1_ ; -- Begin function _ZN7rocprim17ROCPRIM_400000_NS6detail17trampoline_kernelINS0_14default_configENS1_25transform_config_selectorIhLb0EEEZNS1_14transform_implILb0ES3_S5_NS0_18transform_iteratorINS0_17counting_iteratorImlEEZNS1_24adjacent_difference_implIS3_Lb1ELb0EPhSB_N6thrust23THRUST_200600_302600_NS5minusIhEEEE10hipError_tPvRmT2_T3_mT4_P12ihipStream_tbEUlmE_hEESB_NS0_8identityIvEEEESG_SJ_SK_mSL_SN_bEUlT_E_NS1_11comp_targetILNS1_3genE2ELNS1_11target_archE906ELNS1_3gpuE6ELNS1_3repE0EEENS1_30default_config_static_selectorELNS0_4arch9wavefront6targetE1EEEvT1_
	.globl	_ZN7rocprim17ROCPRIM_400000_NS6detail17trampoline_kernelINS0_14default_configENS1_25transform_config_selectorIhLb0EEEZNS1_14transform_implILb0ES3_S5_NS0_18transform_iteratorINS0_17counting_iteratorImlEEZNS1_24adjacent_difference_implIS3_Lb1ELb0EPhSB_N6thrust23THRUST_200600_302600_NS5minusIhEEEE10hipError_tPvRmT2_T3_mT4_P12ihipStream_tbEUlmE_hEESB_NS0_8identityIvEEEESG_SJ_SK_mSL_SN_bEUlT_E_NS1_11comp_targetILNS1_3genE2ELNS1_11target_archE906ELNS1_3gpuE6ELNS1_3repE0EEENS1_30default_config_static_selectorELNS0_4arch9wavefront6targetE1EEEvT1_
	.p2align	8
	.type	_ZN7rocprim17ROCPRIM_400000_NS6detail17trampoline_kernelINS0_14default_configENS1_25transform_config_selectorIhLb0EEEZNS1_14transform_implILb0ES3_S5_NS0_18transform_iteratorINS0_17counting_iteratorImlEEZNS1_24adjacent_difference_implIS3_Lb1ELb0EPhSB_N6thrust23THRUST_200600_302600_NS5minusIhEEEE10hipError_tPvRmT2_T3_mT4_P12ihipStream_tbEUlmE_hEESB_NS0_8identityIvEEEESG_SJ_SK_mSL_SN_bEUlT_E_NS1_11comp_targetILNS1_3genE2ELNS1_11target_archE906ELNS1_3gpuE6ELNS1_3repE0EEENS1_30default_config_static_selectorELNS0_4arch9wavefront6targetE1EEEvT1_,@function
_ZN7rocprim17ROCPRIM_400000_NS6detail17trampoline_kernelINS0_14default_configENS1_25transform_config_selectorIhLb0EEEZNS1_14transform_implILb0ES3_S5_NS0_18transform_iteratorINS0_17counting_iteratorImlEEZNS1_24adjacent_difference_implIS3_Lb1ELb0EPhSB_N6thrust23THRUST_200600_302600_NS5minusIhEEEE10hipError_tPvRmT2_T3_mT4_P12ihipStream_tbEUlmE_hEESB_NS0_8identityIvEEEESG_SJ_SK_mSL_SN_bEUlT_E_NS1_11comp_targetILNS1_3genE2ELNS1_11target_archE906ELNS1_3gpuE6ELNS1_3repE0EEENS1_30default_config_static_selectorELNS0_4arch9wavefront6targetE1EEEvT1_: ; @_ZN7rocprim17ROCPRIM_400000_NS6detail17trampoline_kernelINS0_14default_configENS1_25transform_config_selectorIhLb0EEEZNS1_14transform_implILb0ES3_S5_NS0_18transform_iteratorINS0_17counting_iteratorImlEEZNS1_24adjacent_difference_implIS3_Lb1ELb0EPhSB_N6thrust23THRUST_200600_302600_NS5minusIhEEEE10hipError_tPvRmT2_T3_mT4_P12ihipStream_tbEUlmE_hEESB_NS0_8identityIvEEEESG_SJ_SK_mSL_SN_bEUlT_E_NS1_11comp_targetILNS1_3genE2ELNS1_11target_archE906ELNS1_3gpuE6ELNS1_3repE0EEENS1_30default_config_static_selectorELNS0_4arch9wavefront6targetE1EEEvT1_
; %bb.0:
	.section	.rodata,"a",@progbits
	.p2align	6, 0x0
	.amdhsa_kernel _ZN7rocprim17ROCPRIM_400000_NS6detail17trampoline_kernelINS0_14default_configENS1_25transform_config_selectorIhLb0EEEZNS1_14transform_implILb0ES3_S5_NS0_18transform_iteratorINS0_17counting_iteratorImlEEZNS1_24adjacent_difference_implIS3_Lb1ELb0EPhSB_N6thrust23THRUST_200600_302600_NS5minusIhEEEE10hipError_tPvRmT2_T3_mT4_P12ihipStream_tbEUlmE_hEESB_NS0_8identityIvEEEESG_SJ_SK_mSL_SN_bEUlT_E_NS1_11comp_targetILNS1_3genE2ELNS1_11target_archE906ELNS1_3gpuE6ELNS1_3repE0EEENS1_30default_config_static_selectorELNS0_4arch9wavefront6targetE1EEEvT1_
		.amdhsa_group_segment_fixed_size 0
		.amdhsa_private_segment_fixed_size 0
		.amdhsa_kernarg_size 56
		.amdhsa_user_sgpr_count 6
		.amdhsa_user_sgpr_private_segment_buffer 1
		.amdhsa_user_sgpr_dispatch_ptr 0
		.amdhsa_user_sgpr_queue_ptr 0
		.amdhsa_user_sgpr_kernarg_segment_ptr 1
		.amdhsa_user_sgpr_dispatch_id 0
		.amdhsa_user_sgpr_flat_scratch_init 0
		.amdhsa_user_sgpr_kernarg_preload_length 0
		.amdhsa_user_sgpr_kernarg_preload_offset 0
		.amdhsa_user_sgpr_private_segment_size 0
		.amdhsa_uses_dynamic_stack 0
		.amdhsa_system_sgpr_private_segment_wavefront_offset 0
		.amdhsa_system_sgpr_workgroup_id_x 1
		.amdhsa_system_sgpr_workgroup_id_y 0
		.amdhsa_system_sgpr_workgroup_id_z 0
		.amdhsa_system_sgpr_workgroup_info 0
		.amdhsa_system_vgpr_workitem_id 0
		.amdhsa_next_free_vgpr 1
		.amdhsa_next_free_sgpr 0
		.amdhsa_accum_offset 4
		.amdhsa_reserve_vcc 0
		.amdhsa_reserve_flat_scratch 0
		.amdhsa_float_round_mode_32 0
		.amdhsa_float_round_mode_16_64 0
		.amdhsa_float_denorm_mode_32 3
		.amdhsa_float_denorm_mode_16_64 3
		.amdhsa_dx10_clamp 1
		.amdhsa_ieee_mode 1
		.amdhsa_fp16_overflow 0
		.amdhsa_tg_split 0
		.amdhsa_exception_fp_ieee_invalid_op 0
		.amdhsa_exception_fp_denorm_src 0
		.amdhsa_exception_fp_ieee_div_zero 0
		.amdhsa_exception_fp_ieee_overflow 0
		.amdhsa_exception_fp_ieee_underflow 0
		.amdhsa_exception_fp_ieee_inexact 0
		.amdhsa_exception_int_div_zero 0
	.end_amdhsa_kernel
	.section	.text._ZN7rocprim17ROCPRIM_400000_NS6detail17trampoline_kernelINS0_14default_configENS1_25transform_config_selectorIhLb0EEEZNS1_14transform_implILb0ES3_S5_NS0_18transform_iteratorINS0_17counting_iteratorImlEEZNS1_24adjacent_difference_implIS3_Lb1ELb0EPhSB_N6thrust23THRUST_200600_302600_NS5minusIhEEEE10hipError_tPvRmT2_T3_mT4_P12ihipStream_tbEUlmE_hEESB_NS0_8identityIvEEEESG_SJ_SK_mSL_SN_bEUlT_E_NS1_11comp_targetILNS1_3genE2ELNS1_11target_archE906ELNS1_3gpuE6ELNS1_3repE0EEENS1_30default_config_static_selectorELNS0_4arch9wavefront6targetE1EEEvT1_,"axG",@progbits,_ZN7rocprim17ROCPRIM_400000_NS6detail17trampoline_kernelINS0_14default_configENS1_25transform_config_selectorIhLb0EEEZNS1_14transform_implILb0ES3_S5_NS0_18transform_iteratorINS0_17counting_iteratorImlEEZNS1_24adjacent_difference_implIS3_Lb1ELb0EPhSB_N6thrust23THRUST_200600_302600_NS5minusIhEEEE10hipError_tPvRmT2_T3_mT4_P12ihipStream_tbEUlmE_hEESB_NS0_8identityIvEEEESG_SJ_SK_mSL_SN_bEUlT_E_NS1_11comp_targetILNS1_3genE2ELNS1_11target_archE906ELNS1_3gpuE6ELNS1_3repE0EEENS1_30default_config_static_selectorELNS0_4arch9wavefront6targetE1EEEvT1_,comdat
.Lfunc_end275:
	.size	_ZN7rocprim17ROCPRIM_400000_NS6detail17trampoline_kernelINS0_14default_configENS1_25transform_config_selectorIhLb0EEEZNS1_14transform_implILb0ES3_S5_NS0_18transform_iteratorINS0_17counting_iteratorImlEEZNS1_24adjacent_difference_implIS3_Lb1ELb0EPhSB_N6thrust23THRUST_200600_302600_NS5minusIhEEEE10hipError_tPvRmT2_T3_mT4_P12ihipStream_tbEUlmE_hEESB_NS0_8identityIvEEEESG_SJ_SK_mSL_SN_bEUlT_E_NS1_11comp_targetILNS1_3genE2ELNS1_11target_archE906ELNS1_3gpuE6ELNS1_3repE0EEENS1_30default_config_static_selectorELNS0_4arch9wavefront6targetE1EEEvT1_, .Lfunc_end275-_ZN7rocprim17ROCPRIM_400000_NS6detail17trampoline_kernelINS0_14default_configENS1_25transform_config_selectorIhLb0EEEZNS1_14transform_implILb0ES3_S5_NS0_18transform_iteratorINS0_17counting_iteratorImlEEZNS1_24adjacent_difference_implIS3_Lb1ELb0EPhSB_N6thrust23THRUST_200600_302600_NS5minusIhEEEE10hipError_tPvRmT2_T3_mT4_P12ihipStream_tbEUlmE_hEESB_NS0_8identityIvEEEESG_SJ_SK_mSL_SN_bEUlT_E_NS1_11comp_targetILNS1_3genE2ELNS1_11target_archE906ELNS1_3gpuE6ELNS1_3repE0EEENS1_30default_config_static_selectorELNS0_4arch9wavefront6targetE1EEEvT1_
                                        ; -- End function
	.section	.AMDGPU.csdata,"",@progbits
; Kernel info:
; codeLenInByte = 0
; NumSgprs: 4
; NumVgprs: 0
; NumAgprs: 0
; TotalNumVgprs: 0
; ScratchSize: 0
; MemoryBound: 0
; FloatMode: 240
; IeeeMode: 1
; LDSByteSize: 0 bytes/workgroup (compile time only)
; SGPRBlocks: 0
; VGPRBlocks: 0
; NumSGPRsForWavesPerEU: 4
; NumVGPRsForWavesPerEU: 1
; AccumOffset: 4
; Occupancy: 8
; WaveLimiterHint : 0
; COMPUTE_PGM_RSRC2:SCRATCH_EN: 0
; COMPUTE_PGM_RSRC2:USER_SGPR: 6
; COMPUTE_PGM_RSRC2:TRAP_HANDLER: 0
; COMPUTE_PGM_RSRC2:TGID_X_EN: 1
; COMPUTE_PGM_RSRC2:TGID_Y_EN: 0
; COMPUTE_PGM_RSRC2:TGID_Z_EN: 0
; COMPUTE_PGM_RSRC2:TIDIG_COMP_CNT: 0
; COMPUTE_PGM_RSRC3_GFX90A:ACCUM_OFFSET: 0
; COMPUTE_PGM_RSRC3_GFX90A:TG_SPLIT: 0
	.section	.text._ZN7rocprim17ROCPRIM_400000_NS6detail17trampoline_kernelINS0_14default_configENS1_25transform_config_selectorIhLb0EEEZNS1_14transform_implILb0ES3_S5_NS0_18transform_iteratorINS0_17counting_iteratorImlEEZNS1_24adjacent_difference_implIS3_Lb1ELb0EPhSB_N6thrust23THRUST_200600_302600_NS5minusIhEEEE10hipError_tPvRmT2_T3_mT4_P12ihipStream_tbEUlmE_hEESB_NS0_8identityIvEEEESG_SJ_SK_mSL_SN_bEUlT_E_NS1_11comp_targetILNS1_3genE10ELNS1_11target_archE1201ELNS1_3gpuE5ELNS1_3repE0EEENS1_30default_config_static_selectorELNS0_4arch9wavefront6targetE1EEEvT1_,"axG",@progbits,_ZN7rocprim17ROCPRIM_400000_NS6detail17trampoline_kernelINS0_14default_configENS1_25transform_config_selectorIhLb0EEEZNS1_14transform_implILb0ES3_S5_NS0_18transform_iteratorINS0_17counting_iteratorImlEEZNS1_24adjacent_difference_implIS3_Lb1ELb0EPhSB_N6thrust23THRUST_200600_302600_NS5minusIhEEEE10hipError_tPvRmT2_T3_mT4_P12ihipStream_tbEUlmE_hEESB_NS0_8identityIvEEEESG_SJ_SK_mSL_SN_bEUlT_E_NS1_11comp_targetILNS1_3genE10ELNS1_11target_archE1201ELNS1_3gpuE5ELNS1_3repE0EEENS1_30default_config_static_selectorELNS0_4arch9wavefront6targetE1EEEvT1_,comdat
	.protected	_ZN7rocprim17ROCPRIM_400000_NS6detail17trampoline_kernelINS0_14default_configENS1_25transform_config_selectorIhLb0EEEZNS1_14transform_implILb0ES3_S5_NS0_18transform_iteratorINS0_17counting_iteratorImlEEZNS1_24adjacent_difference_implIS3_Lb1ELb0EPhSB_N6thrust23THRUST_200600_302600_NS5minusIhEEEE10hipError_tPvRmT2_T3_mT4_P12ihipStream_tbEUlmE_hEESB_NS0_8identityIvEEEESG_SJ_SK_mSL_SN_bEUlT_E_NS1_11comp_targetILNS1_3genE10ELNS1_11target_archE1201ELNS1_3gpuE5ELNS1_3repE0EEENS1_30default_config_static_selectorELNS0_4arch9wavefront6targetE1EEEvT1_ ; -- Begin function _ZN7rocprim17ROCPRIM_400000_NS6detail17trampoline_kernelINS0_14default_configENS1_25transform_config_selectorIhLb0EEEZNS1_14transform_implILb0ES3_S5_NS0_18transform_iteratorINS0_17counting_iteratorImlEEZNS1_24adjacent_difference_implIS3_Lb1ELb0EPhSB_N6thrust23THRUST_200600_302600_NS5minusIhEEEE10hipError_tPvRmT2_T3_mT4_P12ihipStream_tbEUlmE_hEESB_NS0_8identityIvEEEESG_SJ_SK_mSL_SN_bEUlT_E_NS1_11comp_targetILNS1_3genE10ELNS1_11target_archE1201ELNS1_3gpuE5ELNS1_3repE0EEENS1_30default_config_static_selectorELNS0_4arch9wavefront6targetE1EEEvT1_
	.globl	_ZN7rocprim17ROCPRIM_400000_NS6detail17trampoline_kernelINS0_14default_configENS1_25transform_config_selectorIhLb0EEEZNS1_14transform_implILb0ES3_S5_NS0_18transform_iteratorINS0_17counting_iteratorImlEEZNS1_24adjacent_difference_implIS3_Lb1ELb0EPhSB_N6thrust23THRUST_200600_302600_NS5minusIhEEEE10hipError_tPvRmT2_T3_mT4_P12ihipStream_tbEUlmE_hEESB_NS0_8identityIvEEEESG_SJ_SK_mSL_SN_bEUlT_E_NS1_11comp_targetILNS1_3genE10ELNS1_11target_archE1201ELNS1_3gpuE5ELNS1_3repE0EEENS1_30default_config_static_selectorELNS0_4arch9wavefront6targetE1EEEvT1_
	.p2align	8
	.type	_ZN7rocprim17ROCPRIM_400000_NS6detail17trampoline_kernelINS0_14default_configENS1_25transform_config_selectorIhLb0EEEZNS1_14transform_implILb0ES3_S5_NS0_18transform_iteratorINS0_17counting_iteratorImlEEZNS1_24adjacent_difference_implIS3_Lb1ELb0EPhSB_N6thrust23THRUST_200600_302600_NS5minusIhEEEE10hipError_tPvRmT2_T3_mT4_P12ihipStream_tbEUlmE_hEESB_NS0_8identityIvEEEESG_SJ_SK_mSL_SN_bEUlT_E_NS1_11comp_targetILNS1_3genE10ELNS1_11target_archE1201ELNS1_3gpuE5ELNS1_3repE0EEENS1_30default_config_static_selectorELNS0_4arch9wavefront6targetE1EEEvT1_,@function
_ZN7rocprim17ROCPRIM_400000_NS6detail17trampoline_kernelINS0_14default_configENS1_25transform_config_selectorIhLb0EEEZNS1_14transform_implILb0ES3_S5_NS0_18transform_iteratorINS0_17counting_iteratorImlEEZNS1_24adjacent_difference_implIS3_Lb1ELb0EPhSB_N6thrust23THRUST_200600_302600_NS5minusIhEEEE10hipError_tPvRmT2_T3_mT4_P12ihipStream_tbEUlmE_hEESB_NS0_8identityIvEEEESG_SJ_SK_mSL_SN_bEUlT_E_NS1_11comp_targetILNS1_3genE10ELNS1_11target_archE1201ELNS1_3gpuE5ELNS1_3repE0EEENS1_30default_config_static_selectorELNS0_4arch9wavefront6targetE1EEEvT1_: ; @_ZN7rocprim17ROCPRIM_400000_NS6detail17trampoline_kernelINS0_14default_configENS1_25transform_config_selectorIhLb0EEEZNS1_14transform_implILb0ES3_S5_NS0_18transform_iteratorINS0_17counting_iteratorImlEEZNS1_24adjacent_difference_implIS3_Lb1ELb0EPhSB_N6thrust23THRUST_200600_302600_NS5minusIhEEEE10hipError_tPvRmT2_T3_mT4_P12ihipStream_tbEUlmE_hEESB_NS0_8identityIvEEEESG_SJ_SK_mSL_SN_bEUlT_E_NS1_11comp_targetILNS1_3genE10ELNS1_11target_archE1201ELNS1_3gpuE5ELNS1_3repE0EEENS1_30default_config_static_selectorELNS0_4arch9wavefront6targetE1EEEvT1_
; %bb.0:
	.section	.rodata,"a",@progbits
	.p2align	6, 0x0
	.amdhsa_kernel _ZN7rocprim17ROCPRIM_400000_NS6detail17trampoline_kernelINS0_14default_configENS1_25transform_config_selectorIhLb0EEEZNS1_14transform_implILb0ES3_S5_NS0_18transform_iteratorINS0_17counting_iteratorImlEEZNS1_24adjacent_difference_implIS3_Lb1ELb0EPhSB_N6thrust23THRUST_200600_302600_NS5minusIhEEEE10hipError_tPvRmT2_T3_mT4_P12ihipStream_tbEUlmE_hEESB_NS0_8identityIvEEEESG_SJ_SK_mSL_SN_bEUlT_E_NS1_11comp_targetILNS1_3genE10ELNS1_11target_archE1201ELNS1_3gpuE5ELNS1_3repE0EEENS1_30default_config_static_selectorELNS0_4arch9wavefront6targetE1EEEvT1_
		.amdhsa_group_segment_fixed_size 0
		.amdhsa_private_segment_fixed_size 0
		.amdhsa_kernarg_size 56
		.amdhsa_user_sgpr_count 6
		.amdhsa_user_sgpr_private_segment_buffer 1
		.amdhsa_user_sgpr_dispatch_ptr 0
		.amdhsa_user_sgpr_queue_ptr 0
		.amdhsa_user_sgpr_kernarg_segment_ptr 1
		.amdhsa_user_sgpr_dispatch_id 0
		.amdhsa_user_sgpr_flat_scratch_init 0
		.amdhsa_user_sgpr_kernarg_preload_length 0
		.amdhsa_user_sgpr_kernarg_preload_offset 0
		.amdhsa_user_sgpr_private_segment_size 0
		.amdhsa_uses_dynamic_stack 0
		.amdhsa_system_sgpr_private_segment_wavefront_offset 0
		.amdhsa_system_sgpr_workgroup_id_x 1
		.amdhsa_system_sgpr_workgroup_id_y 0
		.amdhsa_system_sgpr_workgroup_id_z 0
		.amdhsa_system_sgpr_workgroup_info 0
		.amdhsa_system_vgpr_workitem_id 0
		.amdhsa_next_free_vgpr 1
		.amdhsa_next_free_sgpr 0
		.amdhsa_accum_offset 4
		.amdhsa_reserve_vcc 0
		.amdhsa_reserve_flat_scratch 0
		.amdhsa_float_round_mode_32 0
		.amdhsa_float_round_mode_16_64 0
		.amdhsa_float_denorm_mode_32 3
		.amdhsa_float_denorm_mode_16_64 3
		.amdhsa_dx10_clamp 1
		.amdhsa_ieee_mode 1
		.amdhsa_fp16_overflow 0
		.amdhsa_tg_split 0
		.amdhsa_exception_fp_ieee_invalid_op 0
		.amdhsa_exception_fp_denorm_src 0
		.amdhsa_exception_fp_ieee_div_zero 0
		.amdhsa_exception_fp_ieee_overflow 0
		.amdhsa_exception_fp_ieee_underflow 0
		.amdhsa_exception_fp_ieee_inexact 0
		.amdhsa_exception_int_div_zero 0
	.end_amdhsa_kernel
	.section	.text._ZN7rocprim17ROCPRIM_400000_NS6detail17trampoline_kernelINS0_14default_configENS1_25transform_config_selectorIhLb0EEEZNS1_14transform_implILb0ES3_S5_NS0_18transform_iteratorINS0_17counting_iteratorImlEEZNS1_24adjacent_difference_implIS3_Lb1ELb0EPhSB_N6thrust23THRUST_200600_302600_NS5minusIhEEEE10hipError_tPvRmT2_T3_mT4_P12ihipStream_tbEUlmE_hEESB_NS0_8identityIvEEEESG_SJ_SK_mSL_SN_bEUlT_E_NS1_11comp_targetILNS1_3genE10ELNS1_11target_archE1201ELNS1_3gpuE5ELNS1_3repE0EEENS1_30default_config_static_selectorELNS0_4arch9wavefront6targetE1EEEvT1_,"axG",@progbits,_ZN7rocprim17ROCPRIM_400000_NS6detail17trampoline_kernelINS0_14default_configENS1_25transform_config_selectorIhLb0EEEZNS1_14transform_implILb0ES3_S5_NS0_18transform_iteratorINS0_17counting_iteratorImlEEZNS1_24adjacent_difference_implIS3_Lb1ELb0EPhSB_N6thrust23THRUST_200600_302600_NS5minusIhEEEE10hipError_tPvRmT2_T3_mT4_P12ihipStream_tbEUlmE_hEESB_NS0_8identityIvEEEESG_SJ_SK_mSL_SN_bEUlT_E_NS1_11comp_targetILNS1_3genE10ELNS1_11target_archE1201ELNS1_3gpuE5ELNS1_3repE0EEENS1_30default_config_static_selectorELNS0_4arch9wavefront6targetE1EEEvT1_,comdat
.Lfunc_end276:
	.size	_ZN7rocprim17ROCPRIM_400000_NS6detail17trampoline_kernelINS0_14default_configENS1_25transform_config_selectorIhLb0EEEZNS1_14transform_implILb0ES3_S5_NS0_18transform_iteratorINS0_17counting_iteratorImlEEZNS1_24adjacent_difference_implIS3_Lb1ELb0EPhSB_N6thrust23THRUST_200600_302600_NS5minusIhEEEE10hipError_tPvRmT2_T3_mT4_P12ihipStream_tbEUlmE_hEESB_NS0_8identityIvEEEESG_SJ_SK_mSL_SN_bEUlT_E_NS1_11comp_targetILNS1_3genE10ELNS1_11target_archE1201ELNS1_3gpuE5ELNS1_3repE0EEENS1_30default_config_static_selectorELNS0_4arch9wavefront6targetE1EEEvT1_, .Lfunc_end276-_ZN7rocprim17ROCPRIM_400000_NS6detail17trampoline_kernelINS0_14default_configENS1_25transform_config_selectorIhLb0EEEZNS1_14transform_implILb0ES3_S5_NS0_18transform_iteratorINS0_17counting_iteratorImlEEZNS1_24adjacent_difference_implIS3_Lb1ELb0EPhSB_N6thrust23THRUST_200600_302600_NS5minusIhEEEE10hipError_tPvRmT2_T3_mT4_P12ihipStream_tbEUlmE_hEESB_NS0_8identityIvEEEESG_SJ_SK_mSL_SN_bEUlT_E_NS1_11comp_targetILNS1_3genE10ELNS1_11target_archE1201ELNS1_3gpuE5ELNS1_3repE0EEENS1_30default_config_static_selectorELNS0_4arch9wavefront6targetE1EEEvT1_
                                        ; -- End function
	.section	.AMDGPU.csdata,"",@progbits
; Kernel info:
; codeLenInByte = 0
; NumSgprs: 4
; NumVgprs: 0
; NumAgprs: 0
; TotalNumVgprs: 0
; ScratchSize: 0
; MemoryBound: 0
; FloatMode: 240
; IeeeMode: 1
; LDSByteSize: 0 bytes/workgroup (compile time only)
; SGPRBlocks: 0
; VGPRBlocks: 0
; NumSGPRsForWavesPerEU: 4
; NumVGPRsForWavesPerEU: 1
; AccumOffset: 4
; Occupancy: 8
; WaveLimiterHint : 0
; COMPUTE_PGM_RSRC2:SCRATCH_EN: 0
; COMPUTE_PGM_RSRC2:USER_SGPR: 6
; COMPUTE_PGM_RSRC2:TRAP_HANDLER: 0
; COMPUTE_PGM_RSRC2:TGID_X_EN: 1
; COMPUTE_PGM_RSRC2:TGID_Y_EN: 0
; COMPUTE_PGM_RSRC2:TGID_Z_EN: 0
; COMPUTE_PGM_RSRC2:TIDIG_COMP_CNT: 0
; COMPUTE_PGM_RSRC3_GFX90A:ACCUM_OFFSET: 0
; COMPUTE_PGM_RSRC3_GFX90A:TG_SPLIT: 0
	.section	.text._ZN7rocprim17ROCPRIM_400000_NS6detail17trampoline_kernelINS0_14default_configENS1_25transform_config_selectorIhLb0EEEZNS1_14transform_implILb0ES3_S5_NS0_18transform_iteratorINS0_17counting_iteratorImlEEZNS1_24adjacent_difference_implIS3_Lb1ELb0EPhSB_N6thrust23THRUST_200600_302600_NS5minusIhEEEE10hipError_tPvRmT2_T3_mT4_P12ihipStream_tbEUlmE_hEESB_NS0_8identityIvEEEESG_SJ_SK_mSL_SN_bEUlT_E_NS1_11comp_targetILNS1_3genE10ELNS1_11target_archE1200ELNS1_3gpuE4ELNS1_3repE0EEENS1_30default_config_static_selectorELNS0_4arch9wavefront6targetE1EEEvT1_,"axG",@progbits,_ZN7rocprim17ROCPRIM_400000_NS6detail17trampoline_kernelINS0_14default_configENS1_25transform_config_selectorIhLb0EEEZNS1_14transform_implILb0ES3_S5_NS0_18transform_iteratorINS0_17counting_iteratorImlEEZNS1_24adjacent_difference_implIS3_Lb1ELb0EPhSB_N6thrust23THRUST_200600_302600_NS5minusIhEEEE10hipError_tPvRmT2_T3_mT4_P12ihipStream_tbEUlmE_hEESB_NS0_8identityIvEEEESG_SJ_SK_mSL_SN_bEUlT_E_NS1_11comp_targetILNS1_3genE10ELNS1_11target_archE1200ELNS1_3gpuE4ELNS1_3repE0EEENS1_30default_config_static_selectorELNS0_4arch9wavefront6targetE1EEEvT1_,comdat
	.protected	_ZN7rocprim17ROCPRIM_400000_NS6detail17trampoline_kernelINS0_14default_configENS1_25transform_config_selectorIhLb0EEEZNS1_14transform_implILb0ES3_S5_NS0_18transform_iteratorINS0_17counting_iteratorImlEEZNS1_24adjacent_difference_implIS3_Lb1ELb0EPhSB_N6thrust23THRUST_200600_302600_NS5minusIhEEEE10hipError_tPvRmT2_T3_mT4_P12ihipStream_tbEUlmE_hEESB_NS0_8identityIvEEEESG_SJ_SK_mSL_SN_bEUlT_E_NS1_11comp_targetILNS1_3genE10ELNS1_11target_archE1200ELNS1_3gpuE4ELNS1_3repE0EEENS1_30default_config_static_selectorELNS0_4arch9wavefront6targetE1EEEvT1_ ; -- Begin function _ZN7rocprim17ROCPRIM_400000_NS6detail17trampoline_kernelINS0_14default_configENS1_25transform_config_selectorIhLb0EEEZNS1_14transform_implILb0ES3_S5_NS0_18transform_iteratorINS0_17counting_iteratorImlEEZNS1_24adjacent_difference_implIS3_Lb1ELb0EPhSB_N6thrust23THRUST_200600_302600_NS5minusIhEEEE10hipError_tPvRmT2_T3_mT4_P12ihipStream_tbEUlmE_hEESB_NS0_8identityIvEEEESG_SJ_SK_mSL_SN_bEUlT_E_NS1_11comp_targetILNS1_3genE10ELNS1_11target_archE1200ELNS1_3gpuE4ELNS1_3repE0EEENS1_30default_config_static_selectorELNS0_4arch9wavefront6targetE1EEEvT1_
	.globl	_ZN7rocprim17ROCPRIM_400000_NS6detail17trampoline_kernelINS0_14default_configENS1_25transform_config_selectorIhLb0EEEZNS1_14transform_implILb0ES3_S5_NS0_18transform_iteratorINS0_17counting_iteratorImlEEZNS1_24adjacent_difference_implIS3_Lb1ELb0EPhSB_N6thrust23THRUST_200600_302600_NS5minusIhEEEE10hipError_tPvRmT2_T3_mT4_P12ihipStream_tbEUlmE_hEESB_NS0_8identityIvEEEESG_SJ_SK_mSL_SN_bEUlT_E_NS1_11comp_targetILNS1_3genE10ELNS1_11target_archE1200ELNS1_3gpuE4ELNS1_3repE0EEENS1_30default_config_static_selectorELNS0_4arch9wavefront6targetE1EEEvT1_
	.p2align	8
	.type	_ZN7rocprim17ROCPRIM_400000_NS6detail17trampoline_kernelINS0_14default_configENS1_25transform_config_selectorIhLb0EEEZNS1_14transform_implILb0ES3_S5_NS0_18transform_iteratorINS0_17counting_iteratorImlEEZNS1_24adjacent_difference_implIS3_Lb1ELb0EPhSB_N6thrust23THRUST_200600_302600_NS5minusIhEEEE10hipError_tPvRmT2_T3_mT4_P12ihipStream_tbEUlmE_hEESB_NS0_8identityIvEEEESG_SJ_SK_mSL_SN_bEUlT_E_NS1_11comp_targetILNS1_3genE10ELNS1_11target_archE1200ELNS1_3gpuE4ELNS1_3repE0EEENS1_30default_config_static_selectorELNS0_4arch9wavefront6targetE1EEEvT1_,@function
_ZN7rocprim17ROCPRIM_400000_NS6detail17trampoline_kernelINS0_14default_configENS1_25transform_config_selectorIhLb0EEEZNS1_14transform_implILb0ES3_S5_NS0_18transform_iteratorINS0_17counting_iteratorImlEEZNS1_24adjacent_difference_implIS3_Lb1ELb0EPhSB_N6thrust23THRUST_200600_302600_NS5minusIhEEEE10hipError_tPvRmT2_T3_mT4_P12ihipStream_tbEUlmE_hEESB_NS0_8identityIvEEEESG_SJ_SK_mSL_SN_bEUlT_E_NS1_11comp_targetILNS1_3genE10ELNS1_11target_archE1200ELNS1_3gpuE4ELNS1_3repE0EEENS1_30default_config_static_selectorELNS0_4arch9wavefront6targetE1EEEvT1_: ; @_ZN7rocprim17ROCPRIM_400000_NS6detail17trampoline_kernelINS0_14default_configENS1_25transform_config_selectorIhLb0EEEZNS1_14transform_implILb0ES3_S5_NS0_18transform_iteratorINS0_17counting_iteratorImlEEZNS1_24adjacent_difference_implIS3_Lb1ELb0EPhSB_N6thrust23THRUST_200600_302600_NS5minusIhEEEE10hipError_tPvRmT2_T3_mT4_P12ihipStream_tbEUlmE_hEESB_NS0_8identityIvEEEESG_SJ_SK_mSL_SN_bEUlT_E_NS1_11comp_targetILNS1_3genE10ELNS1_11target_archE1200ELNS1_3gpuE4ELNS1_3repE0EEENS1_30default_config_static_selectorELNS0_4arch9wavefront6targetE1EEEvT1_
; %bb.0:
	.section	.rodata,"a",@progbits
	.p2align	6, 0x0
	.amdhsa_kernel _ZN7rocprim17ROCPRIM_400000_NS6detail17trampoline_kernelINS0_14default_configENS1_25transform_config_selectorIhLb0EEEZNS1_14transform_implILb0ES3_S5_NS0_18transform_iteratorINS0_17counting_iteratorImlEEZNS1_24adjacent_difference_implIS3_Lb1ELb0EPhSB_N6thrust23THRUST_200600_302600_NS5minusIhEEEE10hipError_tPvRmT2_T3_mT4_P12ihipStream_tbEUlmE_hEESB_NS0_8identityIvEEEESG_SJ_SK_mSL_SN_bEUlT_E_NS1_11comp_targetILNS1_3genE10ELNS1_11target_archE1200ELNS1_3gpuE4ELNS1_3repE0EEENS1_30default_config_static_selectorELNS0_4arch9wavefront6targetE1EEEvT1_
		.amdhsa_group_segment_fixed_size 0
		.amdhsa_private_segment_fixed_size 0
		.amdhsa_kernarg_size 56
		.amdhsa_user_sgpr_count 6
		.amdhsa_user_sgpr_private_segment_buffer 1
		.amdhsa_user_sgpr_dispatch_ptr 0
		.amdhsa_user_sgpr_queue_ptr 0
		.amdhsa_user_sgpr_kernarg_segment_ptr 1
		.amdhsa_user_sgpr_dispatch_id 0
		.amdhsa_user_sgpr_flat_scratch_init 0
		.amdhsa_user_sgpr_kernarg_preload_length 0
		.amdhsa_user_sgpr_kernarg_preload_offset 0
		.amdhsa_user_sgpr_private_segment_size 0
		.amdhsa_uses_dynamic_stack 0
		.amdhsa_system_sgpr_private_segment_wavefront_offset 0
		.amdhsa_system_sgpr_workgroup_id_x 1
		.amdhsa_system_sgpr_workgroup_id_y 0
		.amdhsa_system_sgpr_workgroup_id_z 0
		.amdhsa_system_sgpr_workgroup_info 0
		.amdhsa_system_vgpr_workitem_id 0
		.amdhsa_next_free_vgpr 1
		.amdhsa_next_free_sgpr 0
		.amdhsa_accum_offset 4
		.amdhsa_reserve_vcc 0
		.amdhsa_reserve_flat_scratch 0
		.amdhsa_float_round_mode_32 0
		.amdhsa_float_round_mode_16_64 0
		.amdhsa_float_denorm_mode_32 3
		.amdhsa_float_denorm_mode_16_64 3
		.amdhsa_dx10_clamp 1
		.amdhsa_ieee_mode 1
		.amdhsa_fp16_overflow 0
		.amdhsa_tg_split 0
		.amdhsa_exception_fp_ieee_invalid_op 0
		.amdhsa_exception_fp_denorm_src 0
		.amdhsa_exception_fp_ieee_div_zero 0
		.amdhsa_exception_fp_ieee_overflow 0
		.amdhsa_exception_fp_ieee_underflow 0
		.amdhsa_exception_fp_ieee_inexact 0
		.amdhsa_exception_int_div_zero 0
	.end_amdhsa_kernel
	.section	.text._ZN7rocprim17ROCPRIM_400000_NS6detail17trampoline_kernelINS0_14default_configENS1_25transform_config_selectorIhLb0EEEZNS1_14transform_implILb0ES3_S5_NS0_18transform_iteratorINS0_17counting_iteratorImlEEZNS1_24adjacent_difference_implIS3_Lb1ELb0EPhSB_N6thrust23THRUST_200600_302600_NS5minusIhEEEE10hipError_tPvRmT2_T3_mT4_P12ihipStream_tbEUlmE_hEESB_NS0_8identityIvEEEESG_SJ_SK_mSL_SN_bEUlT_E_NS1_11comp_targetILNS1_3genE10ELNS1_11target_archE1200ELNS1_3gpuE4ELNS1_3repE0EEENS1_30default_config_static_selectorELNS0_4arch9wavefront6targetE1EEEvT1_,"axG",@progbits,_ZN7rocprim17ROCPRIM_400000_NS6detail17trampoline_kernelINS0_14default_configENS1_25transform_config_selectorIhLb0EEEZNS1_14transform_implILb0ES3_S5_NS0_18transform_iteratorINS0_17counting_iteratorImlEEZNS1_24adjacent_difference_implIS3_Lb1ELb0EPhSB_N6thrust23THRUST_200600_302600_NS5minusIhEEEE10hipError_tPvRmT2_T3_mT4_P12ihipStream_tbEUlmE_hEESB_NS0_8identityIvEEEESG_SJ_SK_mSL_SN_bEUlT_E_NS1_11comp_targetILNS1_3genE10ELNS1_11target_archE1200ELNS1_3gpuE4ELNS1_3repE0EEENS1_30default_config_static_selectorELNS0_4arch9wavefront6targetE1EEEvT1_,comdat
.Lfunc_end277:
	.size	_ZN7rocprim17ROCPRIM_400000_NS6detail17trampoline_kernelINS0_14default_configENS1_25transform_config_selectorIhLb0EEEZNS1_14transform_implILb0ES3_S5_NS0_18transform_iteratorINS0_17counting_iteratorImlEEZNS1_24adjacent_difference_implIS3_Lb1ELb0EPhSB_N6thrust23THRUST_200600_302600_NS5minusIhEEEE10hipError_tPvRmT2_T3_mT4_P12ihipStream_tbEUlmE_hEESB_NS0_8identityIvEEEESG_SJ_SK_mSL_SN_bEUlT_E_NS1_11comp_targetILNS1_3genE10ELNS1_11target_archE1200ELNS1_3gpuE4ELNS1_3repE0EEENS1_30default_config_static_selectorELNS0_4arch9wavefront6targetE1EEEvT1_, .Lfunc_end277-_ZN7rocprim17ROCPRIM_400000_NS6detail17trampoline_kernelINS0_14default_configENS1_25transform_config_selectorIhLb0EEEZNS1_14transform_implILb0ES3_S5_NS0_18transform_iteratorINS0_17counting_iteratorImlEEZNS1_24adjacent_difference_implIS3_Lb1ELb0EPhSB_N6thrust23THRUST_200600_302600_NS5minusIhEEEE10hipError_tPvRmT2_T3_mT4_P12ihipStream_tbEUlmE_hEESB_NS0_8identityIvEEEESG_SJ_SK_mSL_SN_bEUlT_E_NS1_11comp_targetILNS1_3genE10ELNS1_11target_archE1200ELNS1_3gpuE4ELNS1_3repE0EEENS1_30default_config_static_selectorELNS0_4arch9wavefront6targetE1EEEvT1_
                                        ; -- End function
	.section	.AMDGPU.csdata,"",@progbits
; Kernel info:
; codeLenInByte = 0
; NumSgprs: 4
; NumVgprs: 0
; NumAgprs: 0
; TotalNumVgprs: 0
; ScratchSize: 0
; MemoryBound: 0
; FloatMode: 240
; IeeeMode: 1
; LDSByteSize: 0 bytes/workgroup (compile time only)
; SGPRBlocks: 0
; VGPRBlocks: 0
; NumSGPRsForWavesPerEU: 4
; NumVGPRsForWavesPerEU: 1
; AccumOffset: 4
; Occupancy: 8
; WaveLimiterHint : 0
; COMPUTE_PGM_RSRC2:SCRATCH_EN: 0
; COMPUTE_PGM_RSRC2:USER_SGPR: 6
; COMPUTE_PGM_RSRC2:TRAP_HANDLER: 0
; COMPUTE_PGM_RSRC2:TGID_X_EN: 1
; COMPUTE_PGM_RSRC2:TGID_Y_EN: 0
; COMPUTE_PGM_RSRC2:TGID_Z_EN: 0
; COMPUTE_PGM_RSRC2:TIDIG_COMP_CNT: 0
; COMPUTE_PGM_RSRC3_GFX90A:ACCUM_OFFSET: 0
; COMPUTE_PGM_RSRC3_GFX90A:TG_SPLIT: 0
	.section	.text._ZN7rocprim17ROCPRIM_400000_NS6detail17trampoline_kernelINS0_14default_configENS1_25transform_config_selectorIhLb0EEEZNS1_14transform_implILb0ES3_S5_NS0_18transform_iteratorINS0_17counting_iteratorImlEEZNS1_24adjacent_difference_implIS3_Lb1ELb0EPhSB_N6thrust23THRUST_200600_302600_NS5minusIhEEEE10hipError_tPvRmT2_T3_mT4_P12ihipStream_tbEUlmE_hEESB_NS0_8identityIvEEEESG_SJ_SK_mSL_SN_bEUlT_E_NS1_11comp_targetILNS1_3genE9ELNS1_11target_archE1100ELNS1_3gpuE3ELNS1_3repE0EEENS1_30default_config_static_selectorELNS0_4arch9wavefront6targetE1EEEvT1_,"axG",@progbits,_ZN7rocprim17ROCPRIM_400000_NS6detail17trampoline_kernelINS0_14default_configENS1_25transform_config_selectorIhLb0EEEZNS1_14transform_implILb0ES3_S5_NS0_18transform_iteratorINS0_17counting_iteratorImlEEZNS1_24adjacent_difference_implIS3_Lb1ELb0EPhSB_N6thrust23THRUST_200600_302600_NS5minusIhEEEE10hipError_tPvRmT2_T3_mT4_P12ihipStream_tbEUlmE_hEESB_NS0_8identityIvEEEESG_SJ_SK_mSL_SN_bEUlT_E_NS1_11comp_targetILNS1_3genE9ELNS1_11target_archE1100ELNS1_3gpuE3ELNS1_3repE0EEENS1_30default_config_static_selectorELNS0_4arch9wavefront6targetE1EEEvT1_,comdat
	.protected	_ZN7rocprim17ROCPRIM_400000_NS6detail17trampoline_kernelINS0_14default_configENS1_25transform_config_selectorIhLb0EEEZNS1_14transform_implILb0ES3_S5_NS0_18transform_iteratorINS0_17counting_iteratorImlEEZNS1_24adjacent_difference_implIS3_Lb1ELb0EPhSB_N6thrust23THRUST_200600_302600_NS5minusIhEEEE10hipError_tPvRmT2_T3_mT4_P12ihipStream_tbEUlmE_hEESB_NS0_8identityIvEEEESG_SJ_SK_mSL_SN_bEUlT_E_NS1_11comp_targetILNS1_3genE9ELNS1_11target_archE1100ELNS1_3gpuE3ELNS1_3repE0EEENS1_30default_config_static_selectorELNS0_4arch9wavefront6targetE1EEEvT1_ ; -- Begin function _ZN7rocprim17ROCPRIM_400000_NS6detail17trampoline_kernelINS0_14default_configENS1_25transform_config_selectorIhLb0EEEZNS1_14transform_implILb0ES3_S5_NS0_18transform_iteratorINS0_17counting_iteratorImlEEZNS1_24adjacent_difference_implIS3_Lb1ELb0EPhSB_N6thrust23THRUST_200600_302600_NS5minusIhEEEE10hipError_tPvRmT2_T3_mT4_P12ihipStream_tbEUlmE_hEESB_NS0_8identityIvEEEESG_SJ_SK_mSL_SN_bEUlT_E_NS1_11comp_targetILNS1_3genE9ELNS1_11target_archE1100ELNS1_3gpuE3ELNS1_3repE0EEENS1_30default_config_static_selectorELNS0_4arch9wavefront6targetE1EEEvT1_
	.globl	_ZN7rocprim17ROCPRIM_400000_NS6detail17trampoline_kernelINS0_14default_configENS1_25transform_config_selectorIhLb0EEEZNS1_14transform_implILb0ES3_S5_NS0_18transform_iteratorINS0_17counting_iteratorImlEEZNS1_24adjacent_difference_implIS3_Lb1ELb0EPhSB_N6thrust23THRUST_200600_302600_NS5minusIhEEEE10hipError_tPvRmT2_T3_mT4_P12ihipStream_tbEUlmE_hEESB_NS0_8identityIvEEEESG_SJ_SK_mSL_SN_bEUlT_E_NS1_11comp_targetILNS1_3genE9ELNS1_11target_archE1100ELNS1_3gpuE3ELNS1_3repE0EEENS1_30default_config_static_selectorELNS0_4arch9wavefront6targetE1EEEvT1_
	.p2align	8
	.type	_ZN7rocprim17ROCPRIM_400000_NS6detail17trampoline_kernelINS0_14default_configENS1_25transform_config_selectorIhLb0EEEZNS1_14transform_implILb0ES3_S5_NS0_18transform_iteratorINS0_17counting_iteratorImlEEZNS1_24adjacent_difference_implIS3_Lb1ELb0EPhSB_N6thrust23THRUST_200600_302600_NS5minusIhEEEE10hipError_tPvRmT2_T3_mT4_P12ihipStream_tbEUlmE_hEESB_NS0_8identityIvEEEESG_SJ_SK_mSL_SN_bEUlT_E_NS1_11comp_targetILNS1_3genE9ELNS1_11target_archE1100ELNS1_3gpuE3ELNS1_3repE0EEENS1_30default_config_static_selectorELNS0_4arch9wavefront6targetE1EEEvT1_,@function
_ZN7rocprim17ROCPRIM_400000_NS6detail17trampoline_kernelINS0_14default_configENS1_25transform_config_selectorIhLb0EEEZNS1_14transform_implILb0ES3_S5_NS0_18transform_iteratorINS0_17counting_iteratorImlEEZNS1_24adjacent_difference_implIS3_Lb1ELb0EPhSB_N6thrust23THRUST_200600_302600_NS5minusIhEEEE10hipError_tPvRmT2_T3_mT4_P12ihipStream_tbEUlmE_hEESB_NS0_8identityIvEEEESG_SJ_SK_mSL_SN_bEUlT_E_NS1_11comp_targetILNS1_3genE9ELNS1_11target_archE1100ELNS1_3gpuE3ELNS1_3repE0EEENS1_30default_config_static_selectorELNS0_4arch9wavefront6targetE1EEEvT1_: ; @_ZN7rocprim17ROCPRIM_400000_NS6detail17trampoline_kernelINS0_14default_configENS1_25transform_config_selectorIhLb0EEEZNS1_14transform_implILb0ES3_S5_NS0_18transform_iteratorINS0_17counting_iteratorImlEEZNS1_24adjacent_difference_implIS3_Lb1ELb0EPhSB_N6thrust23THRUST_200600_302600_NS5minusIhEEEE10hipError_tPvRmT2_T3_mT4_P12ihipStream_tbEUlmE_hEESB_NS0_8identityIvEEEESG_SJ_SK_mSL_SN_bEUlT_E_NS1_11comp_targetILNS1_3genE9ELNS1_11target_archE1100ELNS1_3gpuE3ELNS1_3repE0EEENS1_30default_config_static_selectorELNS0_4arch9wavefront6targetE1EEEvT1_
; %bb.0:
	.section	.rodata,"a",@progbits
	.p2align	6, 0x0
	.amdhsa_kernel _ZN7rocprim17ROCPRIM_400000_NS6detail17trampoline_kernelINS0_14default_configENS1_25transform_config_selectorIhLb0EEEZNS1_14transform_implILb0ES3_S5_NS0_18transform_iteratorINS0_17counting_iteratorImlEEZNS1_24adjacent_difference_implIS3_Lb1ELb0EPhSB_N6thrust23THRUST_200600_302600_NS5minusIhEEEE10hipError_tPvRmT2_T3_mT4_P12ihipStream_tbEUlmE_hEESB_NS0_8identityIvEEEESG_SJ_SK_mSL_SN_bEUlT_E_NS1_11comp_targetILNS1_3genE9ELNS1_11target_archE1100ELNS1_3gpuE3ELNS1_3repE0EEENS1_30default_config_static_selectorELNS0_4arch9wavefront6targetE1EEEvT1_
		.amdhsa_group_segment_fixed_size 0
		.amdhsa_private_segment_fixed_size 0
		.amdhsa_kernarg_size 56
		.amdhsa_user_sgpr_count 6
		.amdhsa_user_sgpr_private_segment_buffer 1
		.amdhsa_user_sgpr_dispatch_ptr 0
		.amdhsa_user_sgpr_queue_ptr 0
		.amdhsa_user_sgpr_kernarg_segment_ptr 1
		.amdhsa_user_sgpr_dispatch_id 0
		.amdhsa_user_sgpr_flat_scratch_init 0
		.amdhsa_user_sgpr_kernarg_preload_length 0
		.amdhsa_user_sgpr_kernarg_preload_offset 0
		.amdhsa_user_sgpr_private_segment_size 0
		.amdhsa_uses_dynamic_stack 0
		.amdhsa_system_sgpr_private_segment_wavefront_offset 0
		.amdhsa_system_sgpr_workgroup_id_x 1
		.amdhsa_system_sgpr_workgroup_id_y 0
		.amdhsa_system_sgpr_workgroup_id_z 0
		.amdhsa_system_sgpr_workgroup_info 0
		.amdhsa_system_vgpr_workitem_id 0
		.amdhsa_next_free_vgpr 1
		.amdhsa_next_free_sgpr 0
		.amdhsa_accum_offset 4
		.amdhsa_reserve_vcc 0
		.amdhsa_reserve_flat_scratch 0
		.amdhsa_float_round_mode_32 0
		.amdhsa_float_round_mode_16_64 0
		.amdhsa_float_denorm_mode_32 3
		.amdhsa_float_denorm_mode_16_64 3
		.amdhsa_dx10_clamp 1
		.amdhsa_ieee_mode 1
		.amdhsa_fp16_overflow 0
		.amdhsa_tg_split 0
		.amdhsa_exception_fp_ieee_invalid_op 0
		.amdhsa_exception_fp_denorm_src 0
		.amdhsa_exception_fp_ieee_div_zero 0
		.amdhsa_exception_fp_ieee_overflow 0
		.amdhsa_exception_fp_ieee_underflow 0
		.amdhsa_exception_fp_ieee_inexact 0
		.amdhsa_exception_int_div_zero 0
	.end_amdhsa_kernel
	.section	.text._ZN7rocprim17ROCPRIM_400000_NS6detail17trampoline_kernelINS0_14default_configENS1_25transform_config_selectorIhLb0EEEZNS1_14transform_implILb0ES3_S5_NS0_18transform_iteratorINS0_17counting_iteratorImlEEZNS1_24adjacent_difference_implIS3_Lb1ELb0EPhSB_N6thrust23THRUST_200600_302600_NS5minusIhEEEE10hipError_tPvRmT2_T3_mT4_P12ihipStream_tbEUlmE_hEESB_NS0_8identityIvEEEESG_SJ_SK_mSL_SN_bEUlT_E_NS1_11comp_targetILNS1_3genE9ELNS1_11target_archE1100ELNS1_3gpuE3ELNS1_3repE0EEENS1_30default_config_static_selectorELNS0_4arch9wavefront6targetE1EEEvT1_,"axG",@progbits,_ZN7rocprim17ROCPRIM_400000_NS6detail17trampoline_kernelINS0_14default_configENS1_25transform_config_selectorIhLb0EEEZNS1_14transform_implILb0ES3_S5_NS0_18transform_iteratorINS0_17counting_iteratorImlEEZNS1_24adjacent_difference_implIS3_Lb1ELb0EPhSB_N6thrust23THRUST_200600_302600_NS5minusIhEEEE10hipError_tPvRmT2_T3_mT4_P12ihipStream_tbEUlmE_hEESB_NS0_8identityIvEEEESG_SJ_SK_mSL_SN_bEUlT_E_NS1_11comp_targetILNS1_3genE9ELNS1_11target_archE1100ELNS1_3gpuE3ELNS1_3repE0EEENS1_30default_config_static_selectorELNS0_4arch9wavefront6targetE1EEEvT1_,comdat
.Lfunc_end278:
	.size	_ZN7rocprim17ROCPRIM_400000_NS6detail17trampoline_kernelINS0_14default_configENS1_25transform_config_selectorIhLb0EEEZNS1_14transform_implILb0ES3_S5_NS0_18transform_iteratorINS0_17counting_iteratorImlEEZNS1_24adjacent_difference_implIS3_Lb1ELb0EPhSB_N6thrust23THRUST_200600_302600_NS5minusIhEEEE10hipError_tPvRmT2_T3_mT4_P12ihipStream_tbEUlmE_hEESB_NS0_8identityIvEEEESG_SJ_SK_mSL_SN_bEUlT_E_NS1_11comp_targetILNS1_3genE9ELNS1_11target_archE1100ELNS1_3gpuE3ELNS1_3repE0EEENS1_30default_config_static_selectorELNS0_4arch9wavefront6targetE1EEEvT1_, .Lfunc_end278-_ZN7rocprim17ROCPRIM_400000_NS6detail17trampoline_kernelINS0_14default_configENS1_25transform_config_selectorIhLb0EEEZNS1_14transform_implILb0ES3_S5_NS0_18transform_iteratorINS0_17counting_iteratorImlEEZNS1_24adjacent_difference_implIS3_Lb1ELb0EPhSB_N6thrust23THRUST_200600_302600_NS5minusIhEEEE10hipError_tPvRmT2_T3_mT4_P12ihipStream_tbEUlmE_hEESB_NS0_8identityIvEEEESG_SJ_SK_mSL_SN_bEUlT_E_NS1_11comp_targetILNS1_3genE9ELNS1_11target_archE1100ELNS1_3gpuE3ELNS1_3repE0EEENS1_30default_config_static_selectorELNS0_4arch9wavefront6targetE1EEEvT1_
                                        ; -- End function
	.section	.AMDGPU.csdata,"",@progbits
; Kernel info:
; codeLenInByte = 0
; NumSgprs: 4
; NumVgprs: 0
; NumAgprs: 0
; TotalNumVgprs: 0
; ScratchSize: 0
; MemoryBound: 0
; FloatMode: 240
; IeeeMode: 1
; LDSByteSize: 0 bytes/workgroup (compile time only)
; SGPRBlocks: 0
; VGPRBlocks: 0
; NumSGPRsForWavesPerEU: 4
; NumVGPRsForWavesPerEU: 1
; AccumOffset: 4
; Occupancy: 8
; WaveLimiterHint : 0
; COMPUTE_PGM_RSRC2:SCRATCH_EN: 0
; COMPUTE_PGM_RSRC2:USER_SGPR: 6
; COMPUTE_PGM_RSRC2:TRAP_HANDLER: 0
; COMPUTE_PGM_RSRC2:TGID_X_EN: 1
; COMPUTE_PGM_RSRC2:TGID_Y_EN: 0
; COMPUTE_PGM_RSRC2:TGID_Z_EN: 0
; COMPUTE_PGM_RSRC2:TIDIG_COMP_CNT: 0
; COMPUTE_PGM_RSRC3_GFX90A:ACCUM_OFFSET: 0
; COMPUTE_PGM_RSRC3_GFX90A:TG_SPLIT: 0
	.section	.text._ZN7rocprim17ROCPRIM_400000_NS6detail17trampoline_kernelINS0_14default_configENS1_25transform_config_selectorIhLb0EEEZNS1_14transform_implILb0ES3_S5_NS0_18transform_iteratorINS0_17counting_iteratorImlEEZNS1_24adjacent_difference_implIS3_Lb1ELb0EPhSB_N6thrust23THRUST_200600_302600_NS5minusIhEEEE10hipError_tPvRmT2_T3_mT4_P12ihipStream_tbEUlmE_hEESB_NS0_8identityIvEEEESG_SJ_SK_mSL_SN_bEUlT_E_NS1_11comp_targetILNS1_3genE8ELNS1_11target_archE1030ELNS1_3gpuE2ELNS1_3repE0EEENS1_30default_config_static_selectorELNS0_4arch9wavefront6targetE1EEEvT1_,"axG",@progbits,_ZN7rocprim17ROCPRIM_400000_NS6detail17trampoline_kernelINS0_14default_configENS1_25transform_config_selectorIhLb0EEEZNS1_14transform_implILb0ES3_S5_NS0_18transform_iteratorINS0_17counting_iteratorImlEEZNS1_24adjacent_difference_implIS3_Lb1ELb0EPhSB_N6thrust23THRUST_200600_302600_NS5minusIhEEEE10hipError_tPvRmT2_T3_mT4_P12ihipStream_tbEUlmE_hEESB_NS0_8identityIvEEEESG_SJ_SK_mSL_SN_bEUlT_E_NS1_11comp_targetILNS1_3genE8ELNS1_11target_archE1030ELNS1_3gpuE2ELNS1_3repE0EEENS1_30default_config_static_selectorELNS0_4arch9wavefront6targetE1EEEvT1_,comdat
	.protected	_ZN7rocprim17ROCPRIM_400000_NS6detail17trampoline_kernelINS0_14default_configENS1_25transform_config_selectorIhLb0EEEZNS1_14transform_implILb0ES3_S5_NS0_18transform_iteratorINS0_17counting_iteratorImlEEZNS1_24adjacent_difference_implIS3_Lb1ELb0EPhSB_N6thrust23THRUST_200600_302600_NS5minusIhEEEE10hipError_tPvRmT2_T3_mT4_P12ihipStream_tbEUlmE_hEESB_NS0_8identityIvEEEESG_SJ_SK_mSL_SN_bEUlT_E_NS1_11comp_targetILNS1_3genE8ELNS1_11target_archE1030ELNS1_3gpuE2ELNS1_3repE0EEENS1_30default_config_static_selectorELNS0_4arch9wavefront6targetE1EEEvT1_ ; -- Begin function _ZN7rocprim17ROCPRIM_400000_NS6detail17trampoline_kernelINS0_14default_configENS1_25transform_config_selectorIhLb0EEEZNS1_14transform_implILb0ES3_S5_NS0_18transform_iteratorINS0_17counting_iteratorImlEEZNS1_24adjacent_difference_implIS3_Lb1ELb0EPhSB_N6thrust23THRUST_200600_302600_NS5minusIhEEEE10hipError_tPvRmT2_T3_mT4_P12ihipStream_tbEUlmE_hEESB_NS0_8identityIvEEEESG_SJ_SK_mSL_SN_bEUlT_E_NS1_11comp_targetILNS1_3genE8ELNS1_11target_archE1030ELNS1_3gpuE2ELNS1_3repE0EEENS1_30default_config_static_selectorELNS0_4arch9wavefront6targetE1EEEvT1_
	.globl	_ZN7rocprim17ROCPRIM_400000_NS6detail17trampoline_kernelINS0_14default_configENS1_25transform_config_selectorIhLb0EEEZNS1_14transform_implILb0ES3_S5_NS0_18transform_iteratorINS0_17counting_iteratorImlEEZNS1_24adjacent_difference_implIS3_Lb1ELb0EPhSB_N6thrust23THRUST_200600_302600_NS5minusIhEEEE10hipError_tPvRmT2_T3_mT4_P12ihipStream_tbEUlmE_hEESB_NS0_8identityIvEEEESG_SJ_SK_mSL_SN_bEUlT_E_NS1_11comp_targetILNS1_3genE8ELNS1_11target_archE1030ELNS1_3gpuE2ELNS1_3repE0EEENS1_30default_config_static_selectorELNS0_4arch9wavefront6targetE1EEEvT1_
	.p2align	8
	.type	_ZN7rocprim17ROCPRIM_400000_NS6detail17trampoline_kernelINS0_14default_configENS1_25transform_config_selectorIhLb0EEEZNS1_14transform_implILb0ES3_S5_NS0_18transform_iteratorINS0_17counting_iteratorImlEEZNS1_24adjacent_difference_implIS3_Lb1ELb0EPhSB_N6thrust23THRUST_200600_302600_NS5minusIhEEEE10hipError_tPvRmT2_T3_mT4_P12ihipStream_tbEUlmE_hEESB_NS0_8identityIvEEEESG_SJ_SK_mSL_SN_bEUlT_E_NS1_11comp_targetILNS1_3genE8ELNS1_11target_archE1030ELNS1_3gpuE2ELNS1_3repE0EEENS1_30default_config_static_selectorELNS0_4arch9wavefront6targetE1EEEvT1_,@function
_ZN7rocprim17ROCPRIM_400000_NS6detail17trampoline_kernelINS0_14default_configENS1_25transform_config_selectorIhLb0EEEZNS1_14transform_implILb0ES3_S5_NS0_18transform_iteratorINS0_17counting_iteratorImlEEZNS1_24adjacent_difference_implIS3_Lb1ELb0EPhSB_N6thrust23THRUST_200600_302600_NS5minusIhEEEE10hipError_tPvRmT2_T3_mT4_P12ihipStream_tbEUlmE_hEESB_NS0_8identityIvEEEESG_SJ_SK_mSL_SN_bEUlT_E_NS1_11comp_targetILNS1_3genE8ELNS1_11target_archE1030ELNS1_3gpuE2ELNS1_3repE0EEENS1_30default_config_static_selectorELNS0_4arch9wavefront6targetE1EEEvT1_: ; @_ZN7rocprim17ROCPRIM_400000_NS6detail17trampoline_kernelINS0_14default_configENS1_25transform_config_selectorIhLb0EEEZNS1_14transform_implILb0ES3_S5_NS0_18transform_iteratorINS0_17counting_iteratorImlEEZNS1_24adjacent_difference_implIS3_Lb1ELb0EPhSB_N6thrust23THRUST_200600_302600_NS5minusIhEEEE10hipError_tPvRmT2_T3_mT4_P12ihipStream_tbEUlmE_hEESB_NS0_8identityIvEEEESG_SJ_SK_mSL_SN_bEUlT_E_NS1_11comp_targetILNS1_3genE8ELNS1_11target_archE1030ELNS1_3gpuE2ELNS1_3repE0EEENS1_30default_config_static_selectorELNS0_4arch9wavefront6targetE1EEEvT1_
; %bb.0:
	.section	.rodata,"a",@progbits
	.p2align	6, 0x0
	.amdhsa_kernel _ZN7rocprim17ROCPRIM_400000_NS6detail17trampoline_kernelINS0_14default_configENS1_25transform_config_selectorIhLb0EEEZNS1_14transform_implILb0ES3_S5_NS0_18transform_iteratorINS0_17counting_iteratorImlEEZNS1_24adjacent_difference_implIS3_Lb1ELb0EPhSB_N6thrust23THRUST_200600_302600_NS5minusIhEEEE10hipError_tPvRmT2_T3_mT4_P12ihipStream_tbEUlmE_hEESB_NS0_8identityIvEEEESG_SJ_SK_mSL_SN_bEUlT_E_NS1_11comp_targetILNS1_3genE8ELNS1_11target_archE1030ELNS1_3gpuE2ELNS1_3repE0EEENS1_30default_config_static_selectorELNS0_4arch9wavefront6targetE1EEEvT1_
		.amdhsa_group_segment_fixed_size 0
		.amdhsa_private_segment_fixed_size 0
		.amdhsa_kernarg_size 56
		.amdhsa_user_sgpr_count 6
		.amdhsa_user_sgpr_private_segment_buffer 1
		.amdhsa_user_sgpr_dispatch_ptr 0
		.amdhsa_user_sgpr_queue_ptr 0
		.amdhsa_user_sgpr_kernarg_segment_ptr 1
		.amdhsa_user_sgpr_dispatch_id 0
		.amdhsa_user_sgpr_flat_scratch_init 0
		.amdhsa_user_sgpr_kernarg_preload_length 0
		.amdhsa_user_sgpr_kernarg_preload_offset 0
		.amdhsa_user_sgpr_private_segment_size 0
		.amdhsa_uses_dynamic_stack 0
		.amdhsa_system_sgpr_private_segment_wavefront_offset 0
		.amdhsa_system_sgpr_workgroup_id_x 1
		.amdhsa_system_sgpr_workgroup_id_y 0
		.amdhsa_system_sgpr_workgroup_id_z 0
		.amdhsa_system_sgpr_workgroup_info 0
		.amdhsa_system_vgpr_workitem_id 0
		.amdhsa_next_free_vgpr 1
		.amdhsa_next_free_sgpr 0
		.amdhsa_accum_offset 4
		.amdhsa_reserve_vcc 0
		.amdhsa_reserve_flat_scratch 0
		.amdhsa_float_round_mode_32 0
		.amdhsa_float_round_mode_16_64 0
		.amdhsa_float_denorm_mode_32 3
		.amdhsa_float_denorm_mode_16_64 3
		.amdhsa_dx10_clamp 1
		.amdhsa_ieee_mode 1
		.amdhsa_fp16_overflow 0
		.amdhsa_tg_split 0
		.amdhsa_exception_fp_ieee_invalid_op 0
		.amdhsa_exception_fp_denorm_src 0
		.amdhsa_exception_fp_ieee_div_zero 0
		.amdhsa_exception_fp_ieee_overflow 0
		.amdhsa_exception_fp_ieee_underflow 0
		.amdhsa_exception_fp_ieee_inexact 0
		.amdhsa_exception_int_div_zero 0
	.end_amdhsa_kernel
	.section	.text._ZN7rocprim17ROCPRIM_400000_NS6detail17trampoline_kernelINS0_14default_configENS1_25transform_config_selectorIhLb0EEEZNS1_14transform_implILb0ES3_S5_NS0_18transform_iteratorINS0_17counting_iteratorImlEEZNS1_24adjacent_difference_implIS3_Lb1ELb0EPhSB_N6thrust23THRUST_200600_302600_NS5minusIhEEEE10hipError_tPvRmT2_T3_mT4_P12ihipStream_tbEUlmE_hEESB_NS0_8identityIvEEEESG_SJ_SK_mSL_SN_bEUlT_E_NS1_11comp_targetILNS1_3genE8ELNS1_11target_archE1030ELNS1_3gpuE2ELNS1_3repE0EEENS1_30default_config_static_selectorELNS0_4arch9wavefront6targetE1EEEvT1_,"axG",@progbits,_ZN7rocprim17ROCPRIM_400000_NS6detail17trampoline_kernelINS0_14default_configENS1_25transform_config_selectorIhLb0EEEZNS1_14transform_implILb0ES3_S5_NS0_18transform_iteratorINS0_17counting_iteratorImlEEZNS1_24adjacent_difference_implIS3_Lb1ELb0EPhSB_N6thrust23THRUST_200600_302600_NS5minusIhEEEE10hipError_tPvRmT2_T3_mT4_P12ihipStream_tbEUlmE_hEESB_NS0_8identityIvEEEESG_SJ_SK_mSL_SN_bEUlT_E_NS1_11comp_targetILNS1_3genE8ELNS1_11target_archE1030ELNS1_3gpuE2ELNS1_3repE0EEENS1_30default_config_static_selectorELNS0_4arch9wavefront6targetE1EEEvT1_,comdat
.Lfunc_end279:
	.size	_ZN7rocprim17ROCPRIM_400000_NS6detail17trampoline_kernelINS0_14default_configENS1_25transform_config_selectorIhLb0EEEZNS1_14transform_implILb0ES3_S5_NS0_18transform_iteratorINS0_17counting_iteratorImlEEZNS1_24adjacent_difference_implIS3_Lb1ELb0EPhSB_N6thrust23THRUST_200600_302600_NS5minusIhEEEE10hipError_tPvRmT2_T3_mT4_P12ihipStream_tbEUlmE_hEESB_NS0_8identityIvEEEESG_SJ_SK_mSL_SN_bEUlT_E_NS1_11comp_targetILNS1_3genE8ELNS1_11target_archE1030ELNS1_3gpuE2ELNS1_3repE0EEENS1_30default_config_static_selectorELNS0_4arch9wavefront6targetE1EEEvT1_, .Lfunc_end279-_ZN7rocprim17ROCPRIM_400000_NS6detail17trampoline_kernelINS0_14default_configENS1_25transform_config_selectorIhLb0EEEZNS1_14transform_implILb0ES3_S5_NS0_18transform_iteratorINS0_17counting_iteratorImlEEZNS1_24adjacent_difference_implIS3_Lb1ELb0EPhSB_N6thrust23THRUST_200600_302600_NS5minusIhEEEE10hipError_tPvRmT2_T3_mT4_P12ihipStream_tbEUlmE_hEESB_NS0_8identityIvEEEESG_SJ_SK_mSL_SN_bEUlT_E_NS1_11comp_targetILNS1_3genE8ELNS1_11target_archE1030ELNS1_3gpuE2ELNS1_3repE0EEENS1_30default_config_static_selectorELNS0_4arch9wavefront6targetE1EEEvT1_
                                        ; -- End function
	.section	.AMDGPU.csdata,"",@progbits
; Kernel info:
; codeLenInByte = 0
; NumSgprs: 4
; NumVgprs: 0
; NumAgprs: 0
; TotalNumVgprs: 0
; ScratchSize: 0
; MemoryBound: 0
; FloatMode: 240
; IeeeMode: 1
; LDSByteSize: 0 bytes/workgroup (compile time only)
; SGPRBlocks: 0
; VGPRBlocks: 0
; NumSGPRsForWavesPerEU: 4
; NumVGPRsForWavesPerEU: 1
; AccumOffset: 4
; Occupancy: 8
; WaveLimiterHint : 0
; COMPUTE_PGM_RSRC2:SCRATCH_EN: 0
; COMPUTE_PGM_RSRC2:USER_SGPR: 6
; COMPUTE_PGM_RSRC2:TRAP_HANDLER: 0
; COMPUTE_PGM_RSRC2:TGID_X_EN: 1
; COMPUTE_PGM_RSRC2:TGID_Y_EN: 0
; COMPUTE_PGM_RSRC2:TGID_Z_EN: 0
; COMPUTE_PGM_RSRC2:TIDIG_COMP_CNT: 0
; COMPUTE_PGM_RSRC3_GFX90A:ACCUM_OFFSET: 0
; COMPUTE_PGM_RSRC3_GFX90A:TG_SPLIT: 0
	.section	.text._ZN7rocprim17ROCPRIM_400000_NS6detail17trampoline_kernelINS0_14default_configENS1_35adjacent_difference_config_selectorILb1EhEEZNS1_24adjacent_difference_implIS3_Lb1ELb0EPhS7_N6thrust23THRUST_200600_302600_NS5minusIhEEEE10hipError_tPvRmT2_T3_mT4_P12ihipStream_tbEUlT_E_NS1_11comp_targetILNS1_3genE0ELNS1_11target_archE4294967295ELNS1_3gpuE0ELNS1_3repE0EEENS1_30default_config_static_selectorELNS0_4arch9wavefront6targetE1EEEvT1_,"axG",@progbits,_ZN7rocprim17ROCPRIM_400000_NS6detail17trampoline_kernelINS0_14default_configENS1_35adjacent_difference_config_selectorILb1EhEEZNS1_24adjacent_difference_implIS3_Lb1ELb0EPhS7_N6thrust23THRUST_200600_302600_NS5minusIhEEEE10hipError_tPvRmT2_T3_mT4_P12ihipStream_tbEUlT_E_NS1_11comp_targetILNS1_3genE0ELNS1_11target_archE4294967295ELNS1_3gpuE0ELNS1_3repE0EEENS1_30default_config_static_selectorELNS0_4arch9wavefront6targetE1EEEvT1_,comdat
	.protected	_ZN7rocprim17ROCPRIM_400000_NS6detail17trampoline_kernelINS0_14default_configENS1_35adjacent_difference_config_selectorILb1EhEEZNS1_24adjacent_difference_implIS3_Lb1ELb0EPhS7_N6thrust23THRUST_200600_302600_NS5minusIhEEEE10hipError_tPvRmT2_T3_mT4_P12ihipStream_tbEUlT_E_NS1_11comp_targetILNS1_3genE0ELNS1_11target_archE4294967295ELNS1_3gpuE0ELNS1_3repE0EEENS1_30default_config_static_selectorELNS0_4arch9wavefront6targetE1EEEvT1_ ; -- Begin function _ZN7rocprim17ROCPRIM_400000_NS6detail17trampoline_kernelINS0_14default_configENS1_35adjacent_difference_config_selectorILb1EhEEZNS1_24adjacent_difference_implIS3_Lb1ELb0EPhS7_N6thrust23THRUST_200600_302600_NS5minusIhEEEE10hipError_tPvRmT2_T3_mT4_P12ihipStream_tbEUlT_E_NS1_11comp_targetILNS1_3genE0ELNS1_11target_archE4294967295ELNS1_3gpuE0ELNS1_3repE0EEENS1_30default_config_static_selectorELNS0_4arch9wavefront6targetE1EEEvT1_
	.globl	_ZN7rocprim17ROCPRIM_400000_NS6detail17trampoline_kernelINS0_14default_configENS1_35adjacent_difference_config_selectorILb1EhEEZNS1_24adjacent_difference_implIS3_Lb1ELb0EPhS7_N6thrust23THRUST_200600_302600_NS5minusIhEEEE10hipError_tPvRmT2_T3_mT4_P12ihipStream_tbEUlT_E_NS1_11comp_targetILNS1_3genE0ELNS1_11target_archE4294967295ELNS1_3gpuE0ELNS1_3repE0EEENS1_30default_config_static_selectorELNS0_4arch9wavefront6targetE1EEEvT1_
	.p2align	8
	.type	_ZN7rocprim17ROCPRIM_400000_NS6detail17trampoline_kernelINS0_14default_configENS1_35adjacent_difference_config_selectorILb1EhEEZNS1_24adjacent_difference_implIS3_Lb1ELb0EPhS7_N6thrust23THRUST_200600_302600_NS5minusIhEEEE10hipError_tPvRmT2_T3_mT4_P12ihipStream_tbEUlT_E_NS1_11comp_targetILNS1_3genE0ELNS1_11target_archE4294967295ELNS1_3gpuE0ELNS1_3repE0EEENS1_30default_config_static_selectorELNS0_4arch9wavefront6targetE1EEEvT1_,@function
_ZN7rocprim17ROCPRIM_400000_NS6detail17trampoline_kernelINS0_14default_configENS1_35adjacent_difference_config_selectorILb1EhEEZNS1_24adjacent_difference_implIS3_Lb1ELb0EPhS7_N6thrust23THRUST_200600_302600_NS5minusIhEEEE10hipError_tPvRmT2_T3_mT4_P12ihipStream_tbEUlT_E_NS1_11comp_targetILNS1_3genE0ELNS1_11target_archE4294967295ELNS1_3gpuE0ELNS1_3repE0EEENS1_30default_config_static_selectorELNS0_4arch9wavefront6targetE1EEEvT1_: ; @_ZN7rocprim17ROCPRIM_400000_NS6detail17trampoline_kernelINS0_14default_configENS1_35adjacent_difference_config_selectorILb1EhEEZNS1_24adjacent_difference_implIS3_Lb1ELb0EPhS7_N6thrust23THRUST_200600_302600_NS5minusIhEEEE10hipError_tPvRmT2_T3_mT4_P12ihipStream_tbEUlT_E_NS1_11comp_targetILNS1_3genE0ELNS1_11target_archE4294967295ELNS1_3gpuE0ELNS1_3repE0EEENS1_30default_config_static_selectorELNS0_4arch9wavefront6targetE1EEEvT1_
; %bb.0:
	.section	.rodata,"a",@progbits
	.p2align	6, 0x0
	.amdhsa_kernel _ZN7rocprim17ROCPRIM_400000_NS6detail17trampoline_kernelINS0_14default_configENS1_35adjacent_difference_config_selectorILb1EhEEZNS1_24adjacent_difference_implIS3_Lb1ELb0EPhS7_N6thrust23THRUST_200600_302600_NS5minusIhEEEE10hipError_tPvRmT2_T3_mT4_P12ihipStream_tbEUlT_E_NS1_11comp_targetILNS1_3genE0ELNS1_11target_archE4294967295ELNS1_3gpuE0ELNS1_3repE0EEENS1_30default_config_static_selectorELNS0_4arch9wavefront6targetE1EEEvT1_
		.amdhsa_group_segment_fixed_size 0
		.amdhsa_private_segment_fixed_size 0
		.amdhsa_kernarg_size 56
		.amdhsa_user_sgpr_count 6
		.amdhsa_user_sgpr_private_segment_buffer 1
		.amdhsa_user_sgpr_dispatch_ptr 0
		.amdhsa_user_sgpr_queue_ptr 0
		.amdhsa_user_sgpr_kernarg_segment_ptr 1
		.amdhsa_user_sgpr_dispatch_id 0
		.amdhsa_user_sgpr_flat_scratch_init 0
		.amdhsa_user_sgpr_kernarg_preload_length 0
		.amdhsa_user_sgpr_kernarg_preload_offset 0
		.amdhsa_user_sgpr_private_segment_size 0
		.amdhsa_uses_dynamic_stack 0
		.amdhsa_system_sgpr_private_segment_wavefront_offset 0
		.amdhsa_system_sgpr_workgroup_id_x 1
		.amdhsa_system_sgpr_workgroup_id_y 0
		.amdhsa_system_sgpr_workgroup_id_z 0
		.amdhsa_system_sgpr_workgroup_info 0
		.amdhsa_system_vgpr_workitem_id 0
		.amdhsa_next_free_vgpr 1
		.amdhsa_next_free_sgpr 0
		.amdhsa_accum_offset 4
		.amdhsa_reserve_vcc 0
		.amdhsa_reserve_flat_scratch 0
		.amdhsa_float_round_mode_32 0
		.amdhsa_float_round_mode_16_64 0
		.amdhsa_float_denorm_mode_32 3
		.amdhsa_float_denorm_mode_16_64 3
		.amdhsa_dx10_clamp 1
		.amdhsa_ieee_mode 1
		.amdhsa_fp16_overflow 0
		.amdhsa_tg_split 0
		.amdhsa_exception_fp_ieee_invalid_op 0
		.amdhsa_exception_fp_denorm_src 0
		.amdhsa_exception_fp_ieee_div_zero 0
		.amdhsa_exception_fp_ieee_overflow 0
		.amdhsa_exception_fp_ieee_underflow 0
		.amdhsa_exception_fp_ieee_inexact 0
		.amdhsa_exception_int_div_zero 0
	.end_amdhsa_kernel
	.section	.text._ZN7rocprim17ROCPRIM_400000_NS6detail17trampoline_kernelINS0_14default_configENS1_35adjacent_difference_config_selectorILb1EhEEZNS1_24adjacent_difference_implIS3_Lb1ELb0EPhS7_N6thrust23THRUST_200600_302600_NS5minusIhEEEE10hipError_tPvRmT2_T3_mT4_P12ihipStream_tbEUlT_E_NS1_11comp_targetILNS1_3genE0ELNS1_11target_archE4294967295ELNS1_3gpuE0ELNS1_3repE0EEENS1_30default_config_static_selectorELNS0_4arch9wavefront6targetE1EEEvT1_,"axG",@progbits,_ZN7rocprim17ROCPRIM_400000_NS6detail17trampoline_kernelINS0_14default_configENS1_35adjacent_difference_config_selectorILb1EhEEZNS1_24adjacent_difference_implIS3_Lb1ELb0EPhS7_N6thrust23THRUST_200600_302600_NS5minusIhEEEE10hipError_tPvRmT2_T3_mT4_P12ihipStream_tbEUlT_E_NS1_11comp_targetILNS1_3genE0ELNS1_11target_archE4294967295ELNS1_3gpuE0ELNS1_3repE0EEENS1_30default_config_static_selectorELNS0_4arch9wavefront6targetE1EEEvT1_,comdat
.Lfunc_end280:
	.size	_ZN7rocprim17ROCPRIM_400000_NS6detail17trampoline_kernelINS0_14default_configENS1_35adjacent_difference_config_selectorILb1EhEEZNS1_24adjacent_difference_implIS3_Lb1ELb0EPhS7_N6thrust23THRUST_200600_302600_NS5minusIhEEEE10hipError_tPvRmT2_T3_mT4_P12ihipStream_tbEUlT_E_NS1_11comp_targetILNS1_3genE0ELNS1_11target_archE4294967295ELNS1_3gpuE0ELNS1_3repE0EEENS1_30default_config_static_selectorELNS0_4arch9wavefront6targetE1EEEvT1_, .Lfunc_end280-_ZN7rocprim17ROCPRIM_400000_NS6detail17trampoline_kernelINS0_14default_configENS1_35adjacent_difference_config_selectorILb1EhEEZNS1_24adjacent_difference_implIS3_Lb1ELb0EPhS7_N6thrust23THRUST_200600_302600_NS5minusIhEEEE10hipError_tPvRmT2_T3_mT4_P12ihipStream_tbEUlT_E_NS1_11comp_targetILNS1_3genE0ELNS1_11target_archE4294967295ELNS1_3gpuE0ELNS1_3repE0EEENS1_30default_config_static_selectorELNS0_4arch9wavefront6targetE1EEEvT1_
                                        ; -- End function
	.section	.AMDGPU.csdata,"",@progbits
; Kernel info:
; codeLenInByte = 0
; NumSgprs: 4
; NumVgprs: 0
; NumAgprs: 0
; TotalNumVgprs: 0
; ScratchSize: 0
; MemoryBound: 0
; FloatMode: 240
; IeeeMode: 1
; LDSByteSize: 0 bytes/workgroup (compile time only)
; SGPRBlocks: 0
; VGPRBlocks: 0
; NumSGPRsForWavesPerEU: 4
; NumVGPRsForWavesPerEU: 1
; AccumOffset: 4
; Occupancy: 8
; WaveLimiterHint : 0
; COMPUTE_PGM_RSRC2:SCRATCH_EN: 0
; COMPUTE_PGM_RSRC2:USER_SGPR: 6
; COMPUTE_PGM_RSRC2:TRAP_HANDLER: 0
; COMPUTE_PGM_RSRC2:TGID_X_EN: 1
; COMPUTE_PGM_RSRC2:TGID_Y_EN: 0
; COMPUTE_PGM_RSRC2:TGID_Z_EN: 0
; COMPUTE_PGM_RSRC2:TIDIG_COMP_CNT: 0
; COMPUTE_PGM_RSRC3_GFX90A:ACCUM_OFFSET: 0
; COMPUTE_PGM_RSRC3_GFX90A:TG_SPLIT: 0
	.section	.text._ZN7rocprim17ROCPRIM_400000_NS6detail17trampoline_kernelINS0_14default_configENS1_35adjacent_difference_config_selectorILb1EhEEZNS1_24adjacent_difference_implIS3_Lb1ELb0EPhS7_N6thrust23THRUST_200600_302600_NS5minusIhEEEE10hipError_tPvRmT2_T3_mT4_P12ihipStream_tbEUlT_E_NS1_11comp_targetILNS1_3genE10ELNS1_11target_archE1201ELNS1_3gpuE5ELNS1_3repE0EEENS1_30default_config_static_selectorELNS0_4arch9wavefront6targetE1EEEvT1_,"axG",@progbits,_ZN7rocprim17ROCPRIM_400000_NS6detail17trampoline_kernelINS0_14default_configENS1_35adjacent_difference_config_selectorILb1EhEEZNS1_24adjacent_difference_implIS3_Lb1ELb0EPhS7_N6thrust23THRUST_200600_302600_NS5minusIhEEEE10hipError_tPvRmT2_T3_mT4_P12ihipStream_tbEUlT_E_NS1_11comp_targetILNS1_3genE10ELNS1_11target_archE1201ELNS1_3gpuE5ELNS1_3repE0EEENS1_30default_config_static_selectorELNS0_4arch9wavefront6targetE1EEEvT1_,comdat
	.protected	_ZN7rocprim17ROCPRIM_400000_NS6detail17trampoline_kernelINS0_14default_configENS1_35adjacent_difference_config_selectorILb1EhEEZNS1_24adjacent_difference_implIS3_Lb1ELb0EPhS7_N6thrust23THRUST_200600_302600_NS5minusIhEEEE10hipError_tPvRmT2_T3_mT4_P12ihipStream_tbEUlT_E_NS1_11comp_targetILNS1_3genE10ELNS1_11target_archE1201ELNS1_3gpuE5ELNS1_3repE0EEENS1_30default_config_static_selectorELNS0_4arch9wavefront6targetE1EEEvT1_ ; -- Begin function _ZN7rocprim17ROCPRIM_400000_NS6detail17trampoline_kernelINS0_14default_configENS1_35adjacent_difference_config_selectorILb1EhEEZNS1_24adjacent_difference_implIS3_Lb1ELb0EPhS7_N6thrust23THRUST_200600_302600_NS5minusIhEEEE10hipError_tPvRmT2_T3_mT4_P12ihipStream_tbEUlT_E_NS1_11comp_targetILNS1_3genE10ELNS1_11target_archE1201ELNS1_3gpuE5ELNS1_3repE0EEENS1_30default_config_static_selectorELNS0_4arch9wavefront6targetE1EEEvT1_
	.globl	_ZN7rocprim17ROCPRIM_400000_NS6detail17trampoline_kernelINS0_14default_configENS1_35adjacent_difference_config_selectorILb1EhEEZNS1_24adjacent_difference_implIS3_Lb1ELb0EPhS7_N6thrust23THRUST_200600_302600_NS5minusIhEEEE10hipError_tPvRmT2_T3_mT4_P12ihipStream_tbEUlT_E_NS1_11comp_targetILNS1_3genE10ELNS1_11target_archE1201ELNS1_3gpuE5ELNS1_3repE0EEENS1_30default_config_static_selectorELNS0_4arch9wavefront6targetE1EEEvT1_
	.p2align	8
	.type	_ZN7rocprim17ROCPRIM_400000_NS6detail17trampoline_kernelINS0_14default_configENS1_35adjacent_difference_config_selectorILb1EhEEZNS1_24adjacent_difference_implIS3_Lb1ELb0EPhS7_N6thrust23THRUST_200600_302600_NS5minusIhEEEE10hipError_tPvRmT2_T3_mT4_P12ihipStream_tbEUlT_E_NS1_11comp_targetILNS1_3genE10ELNS1_11target_archE1201ELNS1_3gpuE5ELNS1_3repE0EEENS1_30default_config_static_selectorELNS0_4arch9wavefront6targetE1EEEvT1_,@function
_ZN7rocprim17ROCPRIM_400000_NS6detail17trampoline_kernelINS0_14default_configENS1_35adjacent_difference_config_selectorILb1EhEEZNS1_24adjacent_difference_implIS3_Lb1ELb0EPhS7_N6thrust23THRUST_200600_302600_NS5minusIhEEEE10hipError_tPvRmT2_T3_mT4_P12ihipStream_tbEUlT_E_NS1_11comp_targetILNS1_3genE10ELNS1_11target_archE1201ELNS1_3gpuE5ELNS1_3repE0EEENS1_30default_config_static_selectorELNS0_4arch9wavefront6targetE1EEEvT1_: ; @_ZN7rocprim17ROCPRIM_400000_NS6detail17trampoline_kernelINS0_14default_configENS1_35adjacent_difference_config_selectorILb1EhEEZNS1_24adjacent_difference_implIS3_Lb1ELb0EPhS7_N6thrust23THRUST_200600_302600_NS5minusIhEEEE10hipError_tPvRmT2_T3_mT4_P12ihipStream_tbEUlT_E_NS1_11comp_targetILNS1_3genE10ELNS1_11target_archE1201ELNS1_3gpuE5ELNS1_3repE0EEENS1_30default_config_static_selectorELNS0_4arch9wavefront6targetE1EEEvT1_
; %bb.0:
	.section	.rodata,"a",@progbits
	.p2align	6, 0x0
	.amdhsa_kernel _ZN7rocprim17ROCPRIM_400000_NS6detail17trampoline_kernelINS0_14default_configENS1_35adjacent_difference_config_selectorILb1EhEEZNS1_24adjacent_difference_implIS3_Lb1ELb0EPhS7_N6thrust23THRUST_200600_302600_NS5minusIhEEEE10hipError_tPvRmT2_T3_mT4_P12ihipStream_tbEUlT_E_NS1_11comp_targetILNS1_3genE10ELNS1_11target_archE1201ELNS1_3gpuE5ELNS1_3repE0EEENS1_30default_config_static_selectorELNS0_4arch9wavefront6targetE1EEEvT1_
		.amdhsa_group_segment_fixed_size 0
		.amdhsa_private_segment_fixed_size 0
		.amdhsa_kernarg_size 56
		.amdhsa_user_sgpr_count 6
		.amdhsa_user_sgpr_private_segment_buffer 1
		.amdhsa_user_sgpr_dispatch_ptr 0
		.amdhsa_user_sgpr_queue_ptr 0
		.amdhsa_user_sgpr_kernarg_segment_ptr 1
		.amdhsa_user_sgpr_dispatch_id 0
		.amdhsa_user_sgpr_flat_scratch_init 0
		.amdhsa_user_sgpr_kernarg_preload_length 0
		.amdhsa_user_sgpr_kernarg_preload_offset 0
		.amdhsa_user_sgpr_private_segment_size 0
		.amdhsa_uses_dynamic_stack 0
		.amdhsa_system_sgpr_private_segment_wavefront_offset 0
		.amdhsa_system_sgpr_workgroup_id_x 1
		.amdhsa_system_sgpr_workgroup_id_y 0
		.amdhsa_system_sgpr_workgroup_id_z 0
		.amdhsa_system_sgpr_workgroup_info 0
		.amdhsa_system_vgpr_workitem_id 0
		.amdhsa_next_free_vgpr 1
		.amdhsa_next_free_sgpr 0
		.amdhsa_accum_offset 4
		.amdhsa_reserve_vcc 0
		.amdhsa_reserve_flat_scratch 0
		.amdhsa_float_round_mode_32 0
		.amdhsa_float_round_mode_16_64 0
		.amdhsa_float_denorm_mode_32 3
		.amdhsa_float_denorm_mode_16_64 3
		.amdhsa_dx10_clamp 1
		.amdhsa_ieee_mode 1
		.amdhsa_fp16_overflow 0
		.amdhsa_tg_split 0
		.amdhsa_exception_fp_ieee_invalid_op 0
		.amdhsa_exception_fp_denorm_src 0
		.amdhsa_exception_fp_ieee_div_zero 0
		.amdhsa_exception_fp_ieee_overflow 0
		.amdhsa_exception_fp_ieee_underflow 0
		.amdhsa_exception_fp_ieee_inexact 0
		.amdhsa_exception_int_div_zero 0
	.end_amdhsa_kernel
	.section	.text._ZN7rocprim17ROCPRIM_400000_NS6detail17trampoline_kernelINS0_14default_configENS1_35adjacent_difference_config_selectorILb1EhEEZNS1_24adjacent_difference_implIS3_Lb1ELb0EPhS7_N6thrust23THRUST_200600_302600_NS5minusIhEEEE10hipError_tPvRmT2_T3_mT4_P12ihipStream_tbEUlT_E_NS1_11comp_targetILNS1_3genE10ELNS1_11target_archE1201ELNS1_3gpuE5ELNS1_3repE0EEENS1_30default_config_static_selectorELNS0_4arch9wavefront6targetE1EEEvT1_,"axG",@progbits,_ZN7rocprim17ROCPRIM_400000_NS6detail17trampoline_kernelINS0_14default_configENS1_35adjacent_difference_config_selectorILb1EhEEZNS1_24adjacent_difference_implIS3_Lb1ELb0EPhS7_N6thrust23THRUST_200600_302600_NS5minusIhEEEE10hipError_tPvRmT2_T3_mT4_P12ihipStream_tbEUlT_E_NS1_11comp_targetILNS1_3genE10ELNS1_11target_archE1201ELNS1_3gpuE5ELNS1_3repE0EEENS1_30default_config_static_selectorELNS0_4arch9wavefront6targetE1EEEvT1_,comdat
.Lfunc_end281:
	.size	_ZN7rocprim17ROCPRIM_400000_NS6detail17trampoline_kernelINS0_14default_configENS1_35adjacent_difference_config_selectorILb1EhEEZNS1_24adjacent_difference_implIS3_Lb1ELb0EPhS7_N6thrust23THRUST_200600_302600_NS5minusIhEEEE10hipError_tPvRmT2_T3_mT4_P12ihipStream_tbEUlT_E_NS1_11comp_targetILNS1_3genE10ELNS1_11target_archE1201ELNS1_3gpuE5ELNS1_3repE0EEENS1_30default_config_static_selectorELNS0_4arch9wavefront6targetE1EEEvT1_, .Lfunc_end281-_ZN7rocprim17ROCPRIM_400000_NS6detail17trampoline_kernelINS0_14default_configENS1_35adjacent_difference_config_selectorILb1EhEEZNS1_24adjacent_difference_implIS3_Lb1ELb0EPhS7_N6thrust23THRUST_200600_302600_NS5minusIhEEEE10hipError_tPvRmT2_T3_mT4_P12ihipStream_tbEUlT_E_NS1_11comp_targetILNS1_3genE10ELNS1_11target_archE1201ELNS1_3gpuE5ELNS1_3repE0EEENS1_30default_config_static_selectorELNS0_4arch9wavefront6targetE1EEEvT1_
                                        ; -- End function
	.section	.AMDGPU.csdata,"",@progbits
; Kernel info:
; codeLenInByte = 0
; NumSgprs: 4
; NumVgprs: 0
; NumAgprs: 0
; TotalNumVgprs: 0
; ScratchSize: 0
; MemoryBound: 0
; FloatMode: 240
; IeeeMode: 1
; LDSByteSize: 0 bytes/workgroup (compile time only)
; SGPRBlocks: 0
; VGPRBlocks: 0
; NumSGPRsForWavesPerEU: 4
; NumVGPRsForWavesPerEU: 1
; AccumOffset: 4
; Occupancy: 8
; WaveLimiterHint : 0
; COMPUTE_PGM_RSRC2:SCRATCH_EN: 0
; COMPUTE_PGM_RSRC2:USER_SGPR: 6
; COMPUTE_PGM_RSRC2:TRAP_HANDLER: 0
; COMPUTE_PGM_RSRC2:TGID_X_EN: 1
; COMPUTE_PGM_RSRC2:TGID_Y_EN: 0
; COMPUTE_PGM_RSRC2:TGID_Z_EN: 0
; COMPUTE_PGM_RSRC2:TIDIG_COMP_CNT: 0
; COMPUTE_PGM_RSRC3_GFX90A:ACCUM_OFFSET: 0
; COMPUTE_PGM_RSRC3_GFX90A:TG_SPLIT: 0
	.section	.text._ZN7rocprim17ROCPRIM_400000_NS6detail17trampoline_kernelINS0_14default_configENS1_35adjacent_difference_config_selectorILb1EhEEZNS1_24adjacent_difference_implIS3_Lb1ELb0EPhS7_N6thrust23THRUST_200600_302600_NS5minusIhEEEE10hipError_tPvRmT2_T3_mT4_P12ihipStream_tbEUlT_E_NS1_11comp_targetILNS1_3genE5ELNS1_11target_archE942ELNS1_3gpuE9ELNS1_3repE0EEENS1_30default_config_static_selectorELNS0_4arch9wavefront6targetE1EEEvT1_,"axG",@progbits,_ZN7rocprim17ROCPRIM_400000_NS6detail17trampoline_kernelINS0_14default_configENS1_35adjacent_difference_config_selectorILb1EhEEZNS1_24adjacent_difference_implIS3_Lb1ELb0EPhS7_N6thrust23THRUST_200600_302600_NS5minusIhEEEE10hipError_tPvRmT2_T3_mT4_P12ihipStream_tbEUlT_E_NS1_11comp_targetILNS1_3genE5ELNS1_11target_archE942ELNS1_3gpuE9ELNS1_3repE0EEENS1_30default_config_static_selectorELNS0_4arch9wavefront6targetE1EEEvT1_,comdat
	.protected	_ZN7rocprim17ROCPRIM_400000_NS6detail17trampoline_kernelINS0_14default_configENS1_35adjacent_difference_config_selectorILb1EhEEZNS1_24adjacent_difference_implIS3_Lb1ELb0EPhS7_N6thrust23THRUST_200600_302600_NS5minusIhEEEE10hipError_tPvRmT2_T3_mT4_P12ihipStream_tbEUlT_E_NS1_11comp_targetILNS1_3genE5ELNS1_11target_archE942ELNS1_3gpuE9ELNS1_3repE0EEENS1_30default_config_static_selectorELNS0_4arch9wavefront6targetE1EEEvT1_ ; -- Begin function _ZN7rocprim17ROCPRIM_400000_NS6detail17trampoline_kernelINS0_14default_configENS1_35adjacent_difference_config_selectorILb1EhEEZNS1_24adjacent_difference_implIS3_Lb1ELb0EPhS7_N6thrust23THRUST_200600_302600_NS5minusIhEEEE10hipError_tPvRmT2_T3_mT4_P12ihipStream_tbEUlT_E_NS1_11comp_targetILNS1_3genE5ELNS1_11target_archE942ELNS1_3gpuE9ELNS1_3repE0EEENS1_30default_config_static_selectorELNS0_4arch9wavefront6targetE1EEEvT1_
	.globl	_ZN7rocprim17ROCPRIM_400000_NS6detail17trampoline_kernelINS0_14default_configENS1_35adjacent_difference_config_selectorILb1EhEEZNS1_24adjacent_difference_implIS3_Lb1ELb0EPhS7_N6thrust23THRUST_200600_302600_NS5minusIhEEEE10hipError_tPvRmT2_T3_mT4_P12ihipStream_tbEUlT_E_NS1_11comp_targetILNS1_3genE5ELNS1_11target_archE942ELNS1_3gpuE9ELNS1_3repE0EEENS1_30default_config_static_selectorELNS0_4arch9wavefront6targetE1EEEvT1_
	.p2align	8
	.type	_ZN7rocprim17ROCPRIM_400000_NS6detail17trampoline_kernelINS0_14default_configENS1_35adjacent_difference_config_selectorILb1EhEEZNS1_24adjacent_difference_implIS3_Lb1ELb0EPhS7_N6thrust23THRUST_200600_302600_NS5minusIhEEEE10hipError_tPvRmT2_T3_mT4_P12ihipStream_tbEUlT_E_NS1_11comp_targetILNS1_3genE5ELNS1_11target_archE942ELNS1_3gpuE9ELNS1_3repE0EEENS1_30default_config_static_selectorELNS0_4arch9wavefront6targetE1EEEvT1_,@function
_ZN7rocprim17ROCPRIM_400000_NS6detail17trampoline_kernelINS0_14default_configENS1_35adjacent_difference_config_selectorILb1EhEEZNS1_24adjacent_difference_implIS3_Lb1ELb0EPhS7_N6thrust23THRUST_200600_302600_NS5minusIhEEEE10hipError_tPvRmT2_T3_mT4_P12ihipStream_tbEUlT_E_NS1_11comp_targetILNS1_3genE5ELNS1_11target_archE942ELNS1_3gpuE9ELNS1_3repE0EEENS1_30default_config_static_selectorELNS0_4arch9wavefront6targetE1EEEvT1_: ; @_ZN7rocprim17ROCPRIM_400000_NS6detail17trampoline_kernelINS0_14default_configENS1_35adjacent_difference_config_selectorILb1EhEEZNS1_24adjacent_difference_implIS3_Lb1ELb0EPhS7_N6thrust23THRUST_200600_302600_NS5minusIhEEEE10hipError_tPvRmT2_T3_mT4_P12ihipStream_tbEUlT_E_NS1_11comp_targetILNS1_3genE5ELNS1_11target_archE942ELNS1_3gpuE9ELNS1_3repE0EEENS1_30default_config_static_selectorELNS0_4arch9wavefront6targetE1EEEvT1_
; %bb.0:
	.section	.rodata,"a",@progbits
	.p2align	6, 0x0
	.amdhsa_kernel _ZN7rocprim17ROCPRIM_400000_NS6detail17trampoline_kernelINS0_14default_configENS1_35adjacent_difference_config_selectorILb1EhEEZNS1_24adjacent_difference_implIS3_Lb1ELb0EPhS7_N6thrust23THRUST_200600_302600_NS5minusIhEEEE10hipError_tPvRmT2_T3_mT4_P12ihipStream_tbEUlT_E_NS1_11comp_targetILNS1_3genE5ELNS1_11target_archE942ELNS1_3gpuE9ELNS1_3repE0EEENS1_30default_config_static_selectorELNS0_4arch9wavefront6targetE1EEEvT1_
		.amdhsa_group_segment_fixed_size 0
		.amdhsa_private_segment_fixed_size 0
		.amdhsa_kernarg_size 56
		.amdhsa_user_sgpr_count 6
		.amdhsa_user_sgpr_private_segment_buffer 1
		.amdhsa_user_sgpr_dispatch_ptr 0
		.amdhsa_user_sgpr_queue_ptr 0
		.amdhsa_user_sgpr_kernarg_segment_ptr 1
		.amdhsa_user_sgpr_dispatch_id 0
		.amdhsa_user_sgpr_flat_scratch_init 0
		.amdhsa_user_sgpr_kernarg_preload_length 0
		.amdhsa_user_sgpr_kernarg_preload_offset 0
		.amdhsa_user_sgpr_private_segment_size 0
		.amdhsa_uses_dynamic_stack 0
		.amdhsa_system_sgpr_private_segment_wavefront_offset 0
		.amdhsa_system_sgpr_workgroup_id_x 1
		.amdhsa_system_sgpr_workgroup_id_y 0
		.amdhsa_system_sgpr_workgroup_id_z 0
		.amdhsa_system_sgpr_workgroup_info 0
		.amdhsa_system_vgpr_workitem_id 0
		.amdhsa_next_free_vgpr 1
		.amdhsa_next_free_sgpr 0
		.amdhsa_accum_offset 4
		.amdhsa_reserve_vcc 0
		.amdhsa_reserve_flat_scratch 0
		.amdhsa_float_round_mode_32 0
		.amdhsa_float_round_mode_16_64 0
		.amdhsa_float_denorm_mode_32 3
		.amdhsa_float_denorm_mode_16_64 3
		.amdhsa_dx10_clamp 1
		.amdhsa_ieee_mode 1
		.amdhsa_fp16_overflow 0
		.amdhsa_tg_split 0
		.amdhsa_exception_fp_ieee_invalid_op 0
		.amdhsa_exception_fp_denorm_src 0
		.amdhsa_exception_fp_ieee_div_zero 0
		.amdhsa_exception_fp_ieee_overflow 0
		.amdhsa_exception_fp_ieee_underflow 0
		.amdhsa_exception_fp_ieee_inexact 0
		.amdhsa_exception_int_div_zero 0
	.end_amdhsa_kernel
	.section	.text._ZN7rocprim17ROCPRIM_400000_NS6detail17trampoline_kernelINS0_14default_configENS1_35adjacent_difference_config_selectorILb1EhEEZNS1_24adjacent_difference_implIS3_Lb1ELb0EPhS7_N6thrust23THRUST_200600_302600_NS5minusIhEEEE10hipError_tPvRmT2_T3_mT4_P12ihipStream_tbEUlT_E_NS1_11comp_targetILNS1_3genE5ELNS1_11target_archE942ELNS1_3gpuE9ELNS1_3repE0EEENS1_30default_config_static_selectorELNS0_4arch9wavefront6targetE1EEEvT1_,"axG",@progbits,_ZN7rocprim17ROCPRIM_400000_NS6detail17trampoline_kernelINS0_14default_configENS1_35adjacent_difference_config_selectorILb1EhEEZNS1_24adjacent_difference_implIS3_Lb1ELb0EPhS7_N6thrust23THRUST_200600_302600_NS5minusIhEEEE10hipError_tPvRmT2_T3_mT4_P12ihipStream_tbEUlT_E_NS1_11comp_targetILNS1_3genE5ELNS1_11target_archE942ELNS1_3gpuE9ELNS1_3repE0EEENS1_30default_config_static_selectorELNS0_4arch9wavefront6targetE1EEEvT1_,comdat
.Lfunc_end282:
	.size	_ZN7rocprim17ROCPRIM_400000_NS6detail17trampoline_kernelINS0_14default_configENS1_35adjacent_difference_config_selectorILb1EhEEZNS1_24adjacent_difference_implIS3_Lb1ELb0EPhS7_N6thrust23THRUST_200600_302600_NS5minusIhEEEE10hipError_tPvRmT2_T3_mT4_P12ihipStream_tbEUlT_E_NS1_11comp_targetILNS1_3genE5ELNS1_11target_archE942ELNS1_3gpuE9ELNS1_3repE0EEENS1_30default_config_static_selectorELNS0_4arch9wavefront6targetE1EEEvT1_, .Lfunc_end282-_ZN7rocprim17ROCPRIM_400000_NS6detail17trampoline_kernelINS0_14default_configENS1_35adjacent_difference_config_selectorILb1EhEEZNS1_24adjacent_difference_implIS3_Lb1ELb0EPhS7_N6thrust23THRUST_200600_302600_NS5minusIhEEEE10hipError_tPvRmT2_T3_mT4_P12ihipStream_tbEUlT_E_NS1_11comp_targetILNS1_3genE5ELNS1_11target_archE942ELNS1_3gpuE9ELNS1_3repE0EEENS1_30default_config_static_selectorELNS0_4arch9wavefront6targetE1EEEvT1_
                                        ; -- End function
	.section	.AMDGPU.csdata,"",@progbits
; Kernel info:
; codeLenInByte = 0
; NumSgprs: 4
; NumVgprs: 0
; NumAgprs: 0
; TotalNumVgprs: 0
; ScratchSize: 0
; MemoryBound: 0
; FloatMode: 240
; IeeeMode: 1
; LDSByteSize: 0 bytes/workgroup (compile time only)
; SGPRBlocks: 0
; VGPRBlocks: 0
; NumSGPRsForWavesPerEU: 4
; NumVGPRsForWavesPerEU: 1
; AccumOffset: 4
; Occupancy: 8
; WaveLimiterHint : 0
; COMPUTE_PGM_RSRC2:SCRATCH_EN: 0
; COMPUTE_PGM_RSRC2:USER_SGPR: 6
; COMPUTE_PGM_RSRC2:TRAP_HANDLER: 0
; COMPUTE_PGM_RSRC2:TGID_X_EN: 1
; COMPUTE_PGM_RSRC2:TGID_Y_EN: 0
; COMPUTE_PGM_RSRC2:TGID_Z_EN: 0
; COMPUTE_PGM_RSRC2:TIDIG_COMP_CNT: 0
; COMPUTE_PGM_RSRC3_GFX90A:ACCUM_OFFSET: 0
; COMPUTE_PGM_RSRC3_GFX90A:TG_SPLIT: 0
	.section	.text._ZN7rocprim17ROCPRIM_400000_NS6detail17trampoline_kernelINS0_14default_configENS1_35adjacent_difference_config_selectorILb1EhEEZNS1_24adjacent_difference_implIS3_Lb1ELb0EPhS7_N6thrust23THRUST_200600_302600_NS5minusIhEEEE10hipError_tPvRmT2_T3_mT4_P12ihipStream_tbEUlT_E_NS1_11comp_targetILNS1_3genE4ELNS1_11target_archE910ELNS1_3gpuE8ELNS1_3repE0EEENS1_30default_config_static_selectorELNS0_4arch9wavefront6targetE1EEEvT1_,"axG",@progbits,_ZN7rocprim17ROCPRIM_400000_NS6detail17trampoline_kernelINS0_14default_configENS1_35adjacent_difference_config_selectorILb1EhEEZNS1_24adjacent_difference_implIS3_Lb1ELb0EPhS7_N6thrust23THRUST_200600_302600_NS5minusIhEEEE10hipError_tPvRmT2_T3_mT4_P12ihipStream_tbEUlT_E_NS1_11comp_targetILNS1_3genE4ELNS1_11target_archE910ELNS1_3gpuE8ELNS1_3repE0EEENS1_30default_config_static_selectorELNS0_4arch9wavefront6targetE1EEEvT1_,comdat
	.protected	_ZN7rocprim17ROCPRIM_400000_NS6detail17trampoline_kernelINS0_14default_configENS1_35adjacent_difference_config_selectorILb1EhEEZNS1_24adjacent_difference_implIS3_Lb1ELb0EPhS7_N6thrust23THRUST_200600_302600_NS5minusIhEEEE10hipError_tPvRmT2_T3_mT4_P12ihipStream_tbEUlT_E_NS1_11comp_targetILNS1_3genE4ELNS1_11target_archE910ELNS1_3gpuE8ELNS1_3repE0EEENS1_30default_config_static_selectorELNS0_4arch9wavefront6targetE1EEEvT1_ ; -- Begin function _ZN7rocprim17ROCPRIM_400000_NS6detail17trampoline_kernelINS0_14default_configENS1_35adjacent_difference_config_selectorILb1EhEEZNS1_24adjacent_difference_implIS3_Lb1ELb0EPhS7_N6thrust23THRUST_200600_302600_NS5minusIhEEEE10hipError_tPvRmT2_T3_mT4_P12ihipStream_tbEUlT_E_NS1_11comp_targetILNS1_3genE4ELNS1_11target_archE910ELNS1_3gpuE8ELNS1_3repE0EEENS1_30default_config_static_selectorELNS0_4arch9wavefront6targetE1EEEvT1_
	.globl	_ZN7rocprim17ROCPRIM_400000_NS6detail17trampoline_kernelINS0_14default_configENS1_35adjacent_difference_config_selectorILb1EhEEZNS1_24adjacent_difference_implIS3_Lb1ELb0EPhS7_N6thrust23THRUST_200600_302600_NS5minusIhEEEE10hipError_tPvRmT2_T3_mT4_P12ihipStream_tbEUlT_E_NS1_11comp_targetILNS1_3genE4ELNS1_11target_archE910ELNS1_3gpuE8ELNS1_3repE0EEENS1_30default_config_static_selectorELNS0_4arch9wavefront6targetE1EEEvT1_
	.p2align	8
	.type	_ZN7rocprim17ROCPRIM_400000_NS6detail17trampoline_kernelINS0_14default_configENS1_35adjacent_difference_config_selectorILb1EhEEZNS1_24adjacent_difference_implIS3_Lb1ELb0EPhS7_N6thrust23THRUST_200600_302600_NS5minusIhEEEE10hipError_tPvRmT2_T3_mT4_P12ihipStream_tbEUlT_E_NS1_11comp_targetILNS1_3genE4ELNS1_11target_archE910ELNS1_3gpuE8ELNS1_3repE0EEENS1_30default_config_static_selectorELNS0_4arch9wavefront6targetE1EEEvT1_,@function
_ZN7rocprim17ROCPRIM_400000_NS6detail17trampoline_kernelINS0_14default_configENS1_35adjacent_difference_config_selectorILb1EhEEZNS1_24adjacent_difference_implIS3_Lb1ELb0EPhS7_N6thrust23THRUST_200600_302600_NS5minusIhEEEE10hipError_tPvRmT2_T3_mT4_P12ihipStream_tbEUlT_E_NS1_11comp_targetILNS1_3genE4ELNS1_11target_archE910ELNS1_3gpuE8ELNS1_3repE0EEENS1_30default_config_static_selectorELNS0_4arch9wavefront6targetE1EEEvT1_: ; @_ZN7rocprim17ROCPRIM_400000_NS6detail17trampoline_kernelINS0_14default_configENS1_35adjacent_difference_config_selectorILb1EhEEZNS1_24adjacent_difference_implIS3_Lb1ELb0EPhS7_N6thrust23THRUST_200600_302600_NS5minusIhEEEE10hipError_tPvRmT2_T3_mT4_P12ihipStream_tbEUlT_E_NS1_11comp_targetILNS1_3genE4ELNS1_11target_archE910ELNS1_3gpuE8ELNS1_3repE0EEENS1_30default_config_static_selectorELNS0_4arch9wavefront6targetE1EEEvT1_
; %bb.0:
	s_load_dwordx8 s[8:15], s[4:5], 0x0
	s_mov_b32 s1, 0x5ca1aca0
	v_bfrev_b32_e32 v1, 6
	s_load_dwordx4 s[16:19], s[4:5], 0x28
	s_movk_i32 s0, 0x980
	s_waitcnt lgkmcnt(0)
	s_add_u32 s7, s8, s10
	s_addc_u32 s25, s9, s11
	s_add_u32 s1, 0x14a, s1
	s_addc_u32 s2, 0, 0
	v_add_co_u32_e32 v1, vcc, s1, v1
	s_cmp_lg_u64 vcc, 0
	v_readfirstlane_b32 s3, v1
	s_addc_u32 s1, s2, 0x1af286
	s_mul_hi_u32 s4, s3, 0xfffff680
	s_mul_i32 s2, s1, 0xfffff680
	s_sub_i32 s4, s4, s3
	s_add_i32 s4, s4, s2
	s_mul_i32 s8, s3, 0xfffff680
	s_mul_hi_u32 s2, s3, s4
	s_mul_i32 s5, s3, s4
	s_mul_hi_u32 s3, s3, s8
	s_add_u32 s3, s3, s5
	s_addc_u32 s2, 0, s2
	s_mul_hi_u32 s9, s1, s8
	s_mul_i32 s8, s1, s8
	s_add_u32 s3, s3, s8
	s_mul_hi_u32 s5, s1, s4
	s_addc_u32 s2, s2, s9
	s_addc_u32 s3, s5, 0
	s_mul_i32 s4, s1, s4
	s_add_u32 s2, s2, s4
	s_addc_u32 s3, 0, s3
	v_add_co_u32_e32 v1, vcc, s2, v1
	s_cmp_lg_u64 vcc, 0
	s_addc_u32 s1, s1, s3
	v_readfirstlane_b32 s4, v1
	s_mul_i32 s3, s14, s1
	s_mul_hi_u32 s5, s14, s4
	s_mul_hi_u32 s2, s14, s1
	s_add_u32 s3, s5, s3
	s_addc_u32 s2, 0, s2
	s_mul_hi_u32 s8, s15, s4
	s_mul_i32 s4, s15, s4
	s_add_u32 s3, s3, s4
	s_mul_hi_u32 s5, s15, s1
	s_addc_u32 s2, s2, s8
	s_addc_u32 s3, s5, 0
	s_mul_i32 s1, s15, s1
	s_add_u32 s1, s2, s1
	s_addc_u32 s2, 0, s3
	s_add_u32 s3, s1, 1
	s_addc_u32 s4, s2, 0
	s_add_u32 s5, s1, 2
	s_mul_i32 s9, s2, 0x980
	s_mul_hi_u32 s20, s1, 0x980
	s_addc_u32 s8, s2, 0
	s_add_i32 s20, s20, s9
	s_mul_i32 s9, s1, 0x980
	v_mov_b32_e32 v1, s9
	v_sub_co_u32_e32 v1, vcc, s14, v1
	s_cmp_lg_u64 vcc, 0
	s_subb_u32 s9, s15, s20
	v_subrev_co_u32_e32 v2, vcc, s0, v1
	s_cmp_lg_u64 vcc, 0
	s_subb_u32 s0, s9, 0
	v_readfirstlane_b32 s20, v2
	s_cmpk_gt_u32 s20, 0x97f
	s_cselect_b32 s20, -1, 0
	s_cmp_eq_u32 s0, 0
	s_cselect_b32 s0, s20, -1
	s_cmp_lg_u32 s0, 0
	s_cselect_b32 s0, s5, s3
	s_cselect_b32 s3, s8, s4
	v_readfirstlane_b32 s4, v1
	s_cmpk_gt_u32 s4, 0x97f
	s_cselect_b32 s4, -1, 0
	s_cmp_eq_u32 s9, 0
	s_cselect_b32 s4, s4, -1
	s_cmp_lg_u32 s4, 0
	s_cselect_b32 s3, s3, s2
	s_cselect_b32 s2, s0, s1
	s_mul_i32 s0, s3, 0x980
	s_mul_hi_u32 s1, s2, 0x980
	s_add_i32 s1, s1, s0
	s_mul_i32 s0, s2, 0x980
	s_sub_u32 s0, s14, s0
	s_subb_u32 s1, s15, s1
	s_cmp_lg_u64 s[0:1], 0
	s_cselect_b64 s[0:1], -1, 0
	v_cndmask_b32_e64 v1, 0, 1, s[0:1]
	v_readfirstlane_b32 s0, v1
	s_add_u32 s2, s2, s0
	s_addc_u32 s3, s3, 0
	s_add_u32 s4, s18, s6
	s_addc_u32 s5, s19, 0
	s_add_u32 s8, s2, -1
	s_addc_u32 s9, s3, -1
	v_pk_mov_b32 v[2:3], s[8:9], s[8:9] op_sel:[0,1]
	v_cmp_ge_u64_e64 s[0:1], s[4:5], v[2:3]
	s_mul_i32 s24, s6, 0x980
	s_mov_b64 s[20:21], -1
	s_and_b64 vcc, exec, s[0:1]
	s_mul_i32 s15, s8, 0xfffff680
	s_cbranch_vccz .LBB283_40
; %bb.1:
	s_add_i32 s26, s15, s14
	s_add_u32 s20, s7, s24
	s_addc_u32 s21, s25, 0
	v_cmp_gt_u32_e32 vcc, s26, v0
                                        ; implicit-def: $vgpr1
	s_and_saveexec_b64 s[22:23], vcc
	s_cbranch_execz .LBB283_3
; %bb.2:
	global_load_ubyte v1, v0, s[20:21]
.LBB283_3:
	s_or_b64 exec, exec, s[22:23]
	v_or_b32_e32 v2, 0x80, v0
	v_cmp_gt_u32_e32 vcc, s26, v2
                                        ; implicit-def: $vgpr2
	s_and_saveexec_b64 s[22:23], vcc
	s_cbranch_execz .LBB283_5
; %bb.4:
	global_load_ubyte v2, v0, s[20:21] offset:128
.LBB283_5:
	s_or_b64 exec, exec, s[22:23]
	v_or_b32_e32 v3, 0x100, v0
	v_cmp_gt_u32_e32 vcc, s26, v3
                                        ; implicit-def: $vgpr3
	s_and_saveexec_b64 s[22:23], vcc
	s_cbranch_execz .LBB283_7
; %bb.6:
	global_load_ubyte v3, v0, s[20:21] offset:256
.LBB283_7:
	s_or_b64 exec, exec, s[22:23]
	v_or_b32_e32 v4, 0x180, v0
	v_cmp_gt_u32_e32 vcc, s26, v4
                                        ; implicit-def: $vgpr4
	s_and_saveexec_b64 s[22:23], vcc
	s_cbranch_execz .LBB283_9
; %bb.8:
	global_load_ubyte v4, v0, s[20:21] offset:384
.LBB283_9:
	s_or_b64 exec, exec, s[22:23]
	v_or_b32_e32 v5, 0x200, v0
	v_cmp_gt_u32_e32 vcc, s26, v5
                                        ; implicit-def: $vgpr5
	s_and_saveexec_b64 s[22:23], vcc
	s_cbranch_execz .LBB283_11
; %bb.10:
	global_load_ubyte v5, v0, s[20:21] offset:512
.LBB283_11:
	s_or_b64 exec, exec, s[22:23]
	v_or_b32_e32 v6, 0x280, v0
	v_cmp_gt_u32_e32 vcc, s26, v6
                                        ; implicit-def: $vgpr6
	s_and_saveexec_b64 s[22:23], vcc
	s_cbranch_execz .LBB283_13
; %bb.12:
	global_load_ubyte v6, v0, s[20:21] offset:640
.LBB283_13:
	s_or_b64 exec, exec, s[22:23]
	v_or_b32_e32 v7, 0x300, v0
	v_cmp_gt_u32_e32 vcc, s26, v7
                                        ; implicit-def: $vgpr7
	s_and_saveexec_b64 s[22:23], vcc
	s_cbranch_execz .LBB283_15
; %bb.14:
	global_load_ubyte v7, v0, s[20:21] offset:768
.LBB283_15:
	s_or_b64 exec, exec, s[22:23]
	v_or_b32_e32 v8, 0x380, v0
	v_cmp_gt_u32_e32 vcc, s26, v8
                                        ; implicit-def: $vgpr8
	s_and_saveexec_b64 s[22:23], vcc
	s_cbranch_execz .LBB283_17
; %bb.16:
	global_load_ubyte v8, v0, s[20:21] offset:896
.LBB283_17:
	s_or_b64 exec, exec, s[22:23]
	v_or_b32_e32 v9, 0x400, v0
	v_cmp_gt_u32_e32 vcc, s26, v9
                                        ; implicit-def: $vgpr9
	s_and_saveexec_b64 s[22:23], vcc
	s_cbranch_execz .LBB283_19
; %bb.18:
	global_load_ubyte v9, v0, s[20:21] offset:1024
.LBB283_19:
	s_or_b64 exec, exec, s[22:23]
	v_or_b32_e32 v10, 0x480, v0
	v_cmp_gt_u32_e32 vcc, s26, v10
                                        ; implicit-def: $vgpr10
	s_and_saveexec_b64 s[22:23], vcc
	s_cbranch_execz .LBB283_21
; %bb.20:
	global_load_ubyte v10, v0, s[20:21] offset:1152
.LBB283_21:
	s_or_b64 exec, exec, s[22:23]
	v_or_b32_e32 v11, 0x500, v0
	v_cmp_gt_u32_e32 vcc, s26, v11
                                        ; implicit-def: $vgpr11
	s_and_saveexec_b64 s[22:23], vcc
	s_cbranch_execz .LBB283_23
; %bb.22:
	global_load_ubyte v11, v0, s[20:21] offset:1280
.LBB283_23:
	s_or_b64 exec, exec, s[22:23]
	v_or_b32_e32 v12, 0x580, v0
	v_cmp_gt_u32_e32 vcc, s26, v12
                                        ; implicit-def: $vgpr12
	s_and_saveexec_b64 s[22:23], vcc
	s_cbranch_execz .LBB283_25
; %bb.24:
	global_load_ubyte v12, v0, s[20:21] offset:1408
.LBB283_25:
	s_or_b64 exec, exec, s[22:23]
	v_or_b32_e32 v13, 0x600, v0
	v_cmp_gt_u32_e32 vcc, s26, v13
                                        ; implicit-def: $vgpr13
	s_and_saveexec_b64 s[22:23], vcc
	s_cbranch_execz .LBB283_27
; %bb.26:
	global_load_ubyte v13, v0, s[20:21] offset:1536
.LBB283_27:
	s_or_b64 exec, exec, s[22:23]
	v_or_b32_e32 v14, 0x680, v0
	v_cmp_gt_u32_e32 vcc, s26, v14
                                        ; implicit-def: $vgpr14
	s_and_saveexec_b64 s[22:23], vcc
	s_cbranch_execz .LBB283_29
; %bb.28:
	global_load_ubyte v14, v0, s[20:21] offset:1664
.LBB283_29:
	s_or_b64 exec, exec, s[22:23]
	v_or_b32_e32 v15, 0x700, v0
	v_cmp_gt_u32_e32 vcc, s26, v15
                                        ; implicit-def: $vgpr15
	s_and_saveexec_b64 s[22:23], vcc
	s_cbranch_execz .LBB283_31
; %bb.30:
	global_load_ubyte v15, v0, s[20:21] offset:1792
.LBB283_31:
	s_or_b64 exec, exec, s[22:23]
	v_or_b32_e32 v16, 0x780, v0
	v_cmp_gt_u32_e32 vcc, s26, v16
                                        ; implicit-def: $vgpr16
	s_and_saveexec_b64 s[22:23], vcc
	s_cbranch_execz .LBB283_33
; %bb.32:
	global_load_ubyte v16, v0, s[20:21] offset:1920
.LBB283_33:
	s_or_b64 exec, exec, s[22:23]
	v_or_b32_e32 v17, 0x800, v0
	v_cmp_gt_u32_e32 vcc, s26, v17
                                        ; implicit-def: $vgpr17
	s_and_saveexec_b64 s[22:23], vcc
	s_cbranch_execz .LBB283_35
; %bb.34:
	global_load_ubyte v17, v0, s[20:21] offset:2048
.LBB283_35:
	s_or_b64 exec, exec, s[22:23]
	v_or_b32_e32 v18, 0x880, v0
	v_cmp_gt_u32_e32 vcc, s26, v18
                                        ; implicit-def: $vgpr18
	s_and_saveexec_b64 s[22:23], vcc
	s_cbranch_execz .LBB283_37
; %bb.36:
	global_load_ubyte v18, v0, s[20:21] offset:2176
.LBB283_37:
	s_or_b64 exec, exec, s[22:23]
	v_or_b32_e32 v19, 0x900, v0
	v_cmp_gt_u32_e32 vcc, s26, v19
                                        ; implicit-def: $vgpr19
	s_and_saveexec_b64 s[22:23], vcc
	s_cbranch_execz .LBB283_39
; %bb.38:
	global_load_ubyte v19, v0, s[20:21] offset:2304
.LBB283_39:
	s_or_b64 exec, exec, s[22:23]
	s_mov_b64 s[20:21], 0
	s_waitcnt vmcnt(0)
	ds_write_b8 v0, v1
	ds_write_b8 v0, v2 offset:128
	ds_write_b8 v0, v3 offset:256
	;; [unrolled: 1-line block ×18, first 2 shown]
	s_waitcnt lgkmcnt(0)
	s_barrier
.LBB283_40:
	s_and_b64 vcc, exec, s[20:21]
	s_cbranch_vccz .LBB283_42
; %bb.41:
	s_add_u32 s20, s7, s24
	s_addc_u32 s21, s25, 0
	global_load_ubyte v1, v0, s[20:21]
	global_load_ubyte v2, v0, s[20:21] offset:128
	global_load_ubyte v3, v0, s[20:21] offset:256
	global_load_ubyte v4, v0, s[20:21] offset:384
	global_load_ubyte v5, v0, s[20:21] offset:512
	global_load_ubyte v6, v0, s[20:21] offset:640
	global_load_ubyte v7, v0, s[20:21] offset:768
	global_load_ubyte v8, v0, s[20:21] offset:896
	global_load_ubyte v9, v0, s[20:21] offset:1024
	global_load_ubyte v10, v0, s[20:21] offset:1152
	global_load_ubyte v11, v0, s[20:21] offset:1280
	global_load_ubyte v12, v0, s[20:21] offset:1408
	global_load_ubyte v13, v0, s[20:21] offset:1536
	global_load_ubyte v14, v0, s[20:21] offset:1664
	global_load_ubyte v15, v0, s[20:21] offset:1792
	global_load_ubyte v16, v0, s[20:21] offset:1920
	global_load_ubyte v17, v0, s[20:21] offset:2048
	global_load_ubyte v18, v0, s[20:21] offset:2176
	global_load_ubyte v19, v0, s[20:21] offset:2304
	s_waitcnt vmcnt(18)
	ds_write_b8 v0, v1
	s_waitcnt vmcnt(17)
	ds_write_b8 v0, v2 offset:128
	s_waitcnt vmcnt(16)
	ds_write_b8 v0, v3 offset:256
	;; [unrolled: 2-line block ×18, first 2 shown]
	s_waitcnt lgkmcnt(0)
	s_barrier
.LBB283_42:
	v_mul_u32_u24_e32 v1, 19, v0
	ds_read_u8 v7, v1
	ds_read_b64 v[4:5], v1 offset:1
	ds_read_u8 v6, v1 offset:9
	ds_read_b64 v[2:3], v1 offset:10
	ds_read_u8 v1, v1 offset:18
	s_cmp_eq_u64 s[4:5], 0
	s_waitcnt lgkmcnt(0)
	s_barrier
	s_cbranch_scc1 .LBB283_47
; %bb.43:
	s_add_u32 s7, s16, s18
	s_addc_u32 s16, s17, s19
	s_add_u32 s6, s7, s6
	s_addc_u32 s7, s16, 0
	v_mov_b32_e32 v8, 0
	global_load_ubyte v12, v8, s[6:7] offset:-1
	s_cmp_eq_u64 s[4:5], s[8:9]
	s_cbranch_scc1 .LBB283_48
; %bb.44:
	v_cmp_ne_u32_e32 vcc, 0, v0
	s_waitcnt vmcnt(0)
	v_mov_b32_e32 v8, v12
	ds_write_b8 v0, v1
	s_waitcnt lgkmcnt(0)
	s_barrier
	s_and_saveexec_b64 s[6:7], vcc
	s_cbranch_execz .LBB283_46
; %bb.45:
	v_add_u32_e32 v8, -1, v0
	ds_read_u8 v8, v8
.LBB283_46:
	s_or_b64 exec, exec, s[6:7]
	v_lshrrev_b32_e32 v9, 16, v4
	v_lshlrev_b16_e32 v13, 8, v4
	v_lshlrev_b16_e32 v15, 8, v9
	v_mov_b32_e32 v18, 8
	v_lshrrev_b32_e32 v9, 16, v2
	v_lshrrev_b32_sdwa v13, v18, v13 dst_sel:BYTE_1 dst_unused:UNUSED_PAD src0_sel:DWORD src1_sel:DWORD
	v_lshrrev_b32_sdwa v15, v18, v15 dst_sel:BYTE_1 dst_unused:UNUSED_PAD src0_sel:DWORD src1_sel:DWORD
	v_lshlrev_b16_e32 v16, 8, v2
	v_lshlrev_b16_e32 v17, 8, v9
	v_or_b32_sdwa v13, v7, v13 dst_sel:DWORD dst_unused:UNUSED_PAD src0_sel:BYTE_0 src1_sel:DWORD
	v_or_b32_sdwa v15, v4, v15 dst_sel:WORD_1 dst_unused:UNUSED_PAD src0_sel:BYTE_1 src1_sel:DWORD
	v_or_b32_sdwa v15, v13, v15 dst_sel:DWORD dst_unused:UNUSED_PAD src0_sel:WORD_0 src1_sel:DWORD
	v_lshrrev_b32_sdwa v13, v18, v16 dst_sel:BYTE_1 dst_unused:UNUSED_PAD src0_sel:DWORD src1_sel:DWORD
	v_lshrrev_b32_sdwa v16, v18, v17 dst_sel:BYTE_1 dst_unused:UNUSED_PAD src0_sel:DWORD src1_sel:DWORD
	s_mov_b32 s5, 0x2010007
	v_or_b32_sdwa v13, v6, v13 dst_sel:DWORD dst_unused:UNUSED_PAD src0_sel:BYTE_0 src1_sel:DWORD
	v_or_b32_sdwa v16, v2, v16 dst_sel:WORD_1 dst_unused:UNUSED_PAD src0_sel:BYTE_1 src1_sel:DWORD
	s_waitcnt lgkmcnt(0)
	v_sub_u16_e32 v8, v7, v8
	v_perm_b32 v14, v4, v5, s5
	v_lshrrev_b32_e32 v10, 24, v5
	v_perm_b32 v11, v2, v3, s5
	v_lshrrev_b32_e32 v9, 24, v3
	v_or_b32_sdwa v13, v13, v16 dst_sel:DWORD dst_unused:UNUSED_PAD src0_sel:WORD_0 src1_sel:DWORD
	s_branch .LBB283_52
.LBB283_47:
                                        ; implicit-def: $vgpr11
                                        ; implicit-def: $vgpr13
                                        ; implicit-def: $vgpr14
                                        ; implicit-def: $vgpr15
                                        ; implicit-def: $vgpr8
                                        ; implicit-def: $vgpr10
                                        ; implicit-def: $vgpr9
	s_branch .LBB283_53
.LBB283_48:
                                        ; implicit-def: $vgpr11
                                        ; implicit-def: $vgpr13
                                        ; implicit-def: $vgpr14
                                        ; implicit-def: $vgpr15
                                        ; implicit-def: $vgpr8
                                        ; implicit-def: $vgpr10
                                        ; implicit-def: $vgpr9
	s_cbranch_execz .LBB283_52
; %bb.49:
	v_mul_u32_u24_e32 v8, 19, v0
	v_cmp_ne_u32_e32 vcc, 0, v0
	ds_write_b8 v0, v1
	s_waitcnt lgkmcnt(0)
	s_barrier
	s_and_saveexec_b64 s[6:7], vcc
	s_cbranch_execz .LBB283_51
; %bb.50:
	v_add_u32_e32 v9, -1, v0
	s_waitcnt vmcnt(0)
	ds_read_u8 v12, v9
.LBB283_51:
	s_or_b64 exec, exec, s[6:7]
	s_mulk_i32 s4, 0xf680
	s_add_i32 s4, s4, s14
	v_add_u32_e32 v9, 18, v8
	v_lshrrev_b32_e32 v21, 24, v3
	v_cmp_gt_u32_e32 vcc, s4, v9
	v_cndmask_b32_e32 v9, 0, v21, vcc
	v_add_u32_e32 v21, 16, v8
	v_lshrrev_b16_e32 v20, 8, v3
	v_add_u32_e32 v22, 17, v8
	v_cmp_gt_u32_e32 vcc, s4, v21
	v_lshrrev_b32_e32 v19, 16, v3
	v_add_u32_e32 v23, 14, v8
	v_cndmask_b32_e32 v20, 0, v20, vcc
	v_cmp_gt_u32_e32 vcc, s4, v22
	v_lshrrev_b32_e32 v18, 24, v2
	v_add_u32_e32 v24, 15, v8
	v_cndmask_b32_e32 v19, 0, v19, vcc
	v_cmp_gt_u32_e32 vcc, s4, v23
	v_add_u32_e32 v25, 12, v8
	v_cndmask_b32_e32 v18, 0, v18, vcc
	v_cmp_gt_u32_e32 vcc, s4, v24
	v_lshrrev_b16_e32 v17, 8, v2
	v_add_u32_e32 v26, 13, v8
	v_cndmask_b32_e32 v22, 0, v3, vcc
	v_cmp_gt_u32_e32 vcc, s4, v25
	v_lshrrev_b32_e32 v10, 16, v2
	v_add_u32_e32 v27, 11, v8
	v_cndmask_b32_e32 v17, 0, v17, vcc
	v_cmp_gt_u32_e32 vcc, s4, v26
	v_cndmask_b32_e32 v10, 0, v10, vcc
	v_cmp_gt_u32_e32 vcc, s4, v27
	v_add_u32_e32 v28, 10, v8
	v_lshlrev_b16_e32 v23, 8, v10
	v_cndmask_b32_e32 v10, 0, v2, vcc
	v_lshlrev_b16_e32 v24, 8, v10
	v_cmp_gt_u32_e32 vcc, s4, v28
	v_add_u32_e32 v10, 9, v8
	v_cndmask_b32_e32 v25, 0, v6, vcc
	v_lshrrev_b32_e32 v26, 24, v5
	v_cmp_gt_u32_e32 vcc, s4, v10
	v_cndmask_b32_e32 v10, 0, v26, vcc
	v_add_u32_e32 v26, 7, v8
	v_lshrrev_b16_e32 v16, 8, v5
	v_add_u32_e32 v27, 8, v8
	v_cmp_gt_u32_e32 vcc, s4, v26
	v_lshrrev_b32_e32 v15, 16, v5
	v_add_u32_e32 v28, 5, v8
	v_cndmask_b32_e32 v16, 0, v16, vcc
	v_cmp_gt_u32_e32 vcc, s4, v27
	v_lshrrev_b32_e32 v14, 24, v4
	v_add_u32_e32 v29, 6, v8
	v_cndmask_b32_e32 v15, 0, v15, vcc
	v_cmp_gt_u32_e32 vcc, s4, v28
	v_mov_b32_e32 v21, 8
	v_add_u32_e32 v30, 3, v8
	v_lshlrev_b16_e32 v15, 8, v15
	v_cndmask_b32_e32 v14, 0, v14, vcc
	v_cmp_gt_u32_e32 vcc, s4, v29
	v_lshrrev_b16_e32 v13, 8, v4
	v_add_u32_e32 v31, 4, v8
	v_lshrrev_b32_sdwa v26, v21, v15 dst_sel:BYTE_1 dst_unused:UNUSED_PAD src0_sel:DWORD src1_sel:DWORD
	v_cndmask_b32_e32 v15, 0, v5, vcc
	v_cmp_gt_u32_e32 vcc, s4, v30
	v_lshrrev_b32_e32 v11, 16, v4
	v_add_u32_e32 v32, 2, v8
	v_cndmask_b32_e32 v13, 0, v13, vcc
	v_cmp_gt_u32_e32 vcc, s4, v31
	v_add_u32_e32 v33, 1, v8
	v_lshlrev_b16_e32 v15, 8, v15
	v_cndmask_b32_e32 v11, 0, v11, vcc
	v_cmp_gt_u32_e32 vcc, s4, v32
	v_lshrrev_b32_sdwa v27, v21, v15 dst_sel:BYTE_1 dst_unused:UNUSED_PAD src0_sel:DWORD src1_sel:DWORD
	v_cndmask_b32_e32 v15, 0, v4, vcc
	v_cmp_gt_u32_e32 vcc, s4, v33
	v_lshlrev_b16_e32 v11, 8, v11
	v_lshlrev_b16_e32 v15, 8, v15
	v_cndmask_b32_e32 v28, 0, v7, vcc
	v_cmp_gt_u32_e32 vcc, s4, v8
	s_waitcnt vmcnt(0) lgkmcnt(0)
	v_cndmask_b32_e32 v8, 0, v12, vcc
	v_lshrrev_b32_sdwa v12, v21, v15 dst_sel:BYTE_1 dst_unused:UNUSED_PAD src0_sel:DWORD src1_sel:DWORD
	v_lshrrev_b32_sdwa v11, v21, v11 dst_sel:BYTE_1 dst_unused:UNUSED_PAD src0_sel:DWORD src1_sel:DWORD
	v_or_b32_sdwa v12, v28, v12 dst_sel:DWORD dst_unused:UNUSED_PAD src0_sel:BYTE_0 src1_sel:DWORD
	v_or_b32_sdwa v11, v13, v11 dst_sel:WORD_1 dst_unused:UNUSED_PAD src0_sel:DWORD src1_sel:DWORD
	v_or_b32_sdwa v15, v12, v11 dst_sel:DWORD dst_unused:UNUSED_PAD src0_sel:WORD_0 src1_sel:DWORD
	v_or_b32_e32 v11, v14, v27
	v_or_b32_sdwa v12, v16, v26 dst_sel:WORD_1 dst_unused:UNUSED_PAD src0_sel:DWORD src1_sel:DWORD
	v_lshlrev_b16_e32 v19, 8, v19
	v_lshlrev_b16_e32 v22, 8, v22
	v_or_b32_sdwa v14, v11, v12 dst_sel:DWORD dst_unused:UNUSED_PAD src0_sel:WORD_0 src1_sel:DWORD
	v_lshrrev_b32_sdwa v11, v21, v24 dst_sel:BYTE_1 dst_unused:UNUSED_PAD src0_sel:DWORD src1_sel:DWORD
	v_lshrrev_b32_sdwa v12, v21, v23 dst_sel:BYTE_1 dst_unused:UNUSED_PAD src0_sel:DWORD src1_sel:DWORD
	;; [unrolled: 1-line block ×4, first 2 shown]
	v_or_b32_sdwa v11, v25, v11 dst_sel:DWORD dst_unused:UNUSED_PAD src0_sel:BYTE_0 src1_sel:DWORD
	v_or_b32_sdwa v12, v17, v12 dst_sel:WORD_1 dst_unused:UNUSED_PAD src0_sel:DWORD src1_sel:DWORD
	v_or_b32_sdwa v13, v11, v12 dst_sel:DWORD dst_unused:UNUSED_PAD src0_sel:WORD_0 src1_sel:DWORD
	v_or_b32_e32 v11, v18, v22
	v_or_b32_sdwa v12, v20, v19 dst_sel:WORD_1 dst_unused:UNUSED_PAD src0_sel:DWORD src1_sel:DWORD
	v_sub_u16_e32 v8, v7, v8
	v_or_b32_sdwa v11, v11, v12 dst_sel:DWORD dst_unused:UNUSED_PAD src0_sel:WORD_0 src1_sel:DWORD
.LBB283_52:
	s_cbranch_execnz .LBB283_61
.LBB283_53:
	s_cmp_eq_u64 s[2:3], 1
	v_cmp_ne_u32_e32 vcc, 0, v0
	s_cbranch_scc1 .LBB283_57
; %bb.54:
	v_lshlrev_b16_e32 v8, 8, v4
	v_lshrrev_b32_e32 v9, 16, v4
	v_mov_b32_e32 v14, 8
	v_lshlrev_b16_e32 v9, 8, v9
	v_lshrrev_b32_sdwa v8, v14, v8 dst_sel:BYTE_1 dst_unused:UNUSED_PAD src0_sel:DWORD src1_sel:DWORD
	v_lshlrev_b16_e32 v10, 8, v2
	v_lshrrev_b32_e32 v11, 16, v2
	s_waitcnt vmcnt(0)
	v_or_b32_sdwa v12, v7, v8 dst_sel:DWORD dst_unused:UNUSED_PAD src0_sel:BYTE_0 src1_sel:DWORD
	v_lshrrev_b32_sdwa v8, v14, v9 dst_sel:BYTE_1 dst_unused:UNUSED_PAD src0_sel:DWORD src1_sel:DWORD
	v_lshlrev_b16_e32 v11, 8, v11
	v_or_b32_sdwa v13, v4, v8 dst_sel:WORD_1 dst_unused:UNUSED_PAD src0_sel:BYTE_1 src1_sel:DWORD
	v_lshrrev_b32_sdwa v8, v14, v10 dst_sel:BYTE_1 dst_unused:UNUSED_PAD src0_sel:DWORD src1_sel:DWORD
	v_or_b32_sdwa v16, v6, v8 dst_sel:DWORD dst_unused:UNUSED_PAD src0_sel:BYTE_0 src1_sel:DWORD
	v_lshrrev_b32_sdwa v8, v14, v11 dst_sel:BYTE_1 dst_unused:UNUSED_PAD src0_sel:DWORD src1_sel:DWORD
	s_mov_b32 s4, 0x2010007
	v_or_b32_sdwa v17, v2, v8 dst_sel:WORD_1 dst_unused:UNUSED_PAD src0_sel:BYTE_1 src1_sel:DWORD
	v_mov_b32_e32 v8, v7
	ds_write_b8 v0, v1
	s_waitcnt lgkmcnt(0)
	s_barrier
	s_and_saveexec_b64 s[2:3], vcc
	s_cbranch_execz .LBB283_56
; %bb.55:
	v_add_u32_e32 v8, -1, v0
	ds_read_u8 v8, v8
	s_waitcnt lgkmcnt(0)
	v_sub_u16_e32 v8, v7, v8
.LBB283_56:
	s_or_b64 exec, exec, s[2:3]
	v_perm_b32 v14, v4, v5, s4
	v_lshrrev_b32_e32 v10, 24, v5
	v_perm_b32 v11, v2, v3, s4
	v_lshrrev_b32_e32 v9, 24, v3
	v_or_b32_sdwa v15, v12, v13 dst_sel:DWORD dst_unused:UNUSED_PAD src0_sel:WORD_0 src1_sel:DWORD
	v_or_b32_sdwa v13, v16, v17 dst_sel:DWORD dst_unused:UNUSED_PAD src0_sel:WORD_0 src1_sel:DWORD
	s_cbranch_execz .LBB283_58
	s_branch .LBB283_61
.LBB283_57:
                                        ; implicit-def: $vgpr11
                                        ; implicit-def: $vgpr13
                                        ; implicit-def: $vgpr14
                                        ; implicit-def: $vgpr15
                                        ; implicit-def: $vgpr8
                                        ; implicit-def: $vgpr10
                                        ; implicit-def: $vgpr9
.LBB283_58:
	v_mad_u32_u24 v20, v0, 19, 16
	v_lshrrev_b16_e32 v18, 8, v3
	v_mad_u32_u24 v21, v0, 19, 17
	v_cmp_gt_u32_e64 s[2:3], s14, v20
	v_lshrrev_b32_e32 v17, 16, v3
	v_mad_u32_u24 v22, v0, 19, 14
	v_cndmask_b32_e64 v20, 0, v18, s[2:3]
	v_cmp_gt_u32_e64 s[2:3], s14, v21
	v_lshrrev_b32_e32 v16, 24, v2
	v_mad_u32_u24 v23, v0, 19, 15
	v_cndmask_b32_e64 v17, 0, v17, s[2:3]
	v_cmp_gt_u32_e64 s[2:3], s14, v22
	v_mad_u32_u24 v24, v0, 19, 12
	v_cndmask_b32_e64 v22, 0, v16, s[2:3]
	v_cmp_gt_u32_e64 s[2:3], s14, v23
	v_lshrrev_b16_e32 v15, 8, v2
	v_mad_u32_u24 v25, v0, 19, 13
	v_cndmask_b32_e64 v16, 0, v3, s[2:3]
	v_cmp_gt_u32_e64 s[2:3], s14, v24
	v_lshrrev_b32_e32 v10, 16, v2
	v_mad_u32_u24 v26, v0, 19, 11
	v_cndmask_b32_e64 v15, 0, v15, s[2:3]
	v_cmp_gt_u32_e64 s[2:3], s14, v25
	v_mad_u32_u24 v25, v0, 19, 7
	v_lshrrev_b16_e32 v14, 8, v5
	v_cndmask_b32_e64 v10, 0, v10, s[2:3]
	v_cmp_gt_u32_e64 s[2:3], s14, v26
	v_mad_u32_u24 v26, v0, 19, 8
	v_cmp_gt_u32_e64 s[4:5], s14, v25
	v_lshrrev_b32_e32 v13, 16, v5
	v_mad_u32_u24 v27, v0, 19, 10
	v_lshlrev_b16_e32 v17, 8, v17
	v_mov_b32_e32 v18, 8
	v_cndmask_b32_e64 v14, 0, v14, s[4:5]
	v_cmp_gt_u32_e64 s[4:5], s14, v26
	v_lshrrev_b32_sdwa v21, v18, v17 dst_sel:BYTE_1 dst_unused:UNUSED_PAD src0_sel:DWORD src1_sel:DWORD
	v_lshlrev_b16_e32 v17, 8, v10
	v_cndmask_b32_e64 v10, 0, v2, s[2:3]
	v_cmp_gt_u32_e64 s[2:3], s14, v27
	v_mad_u32_u24 v27, v0, 19, 5
	v_cndmask_b32_e64 v13, 0, v13, s[4:5]
	s_waitcnt vmcnt(0)
	v_lshrrev_b32_e32 v12, 24, v4
	v_mad_u32_u24 v28, v0, 19, 6
	v_lshlrev_b16_e32 v13, 8, v13
	v_cmp_gt_u32_e64 s[4:5], s14, v27
	v_lshrrev_b32_sdwa v25, v18, v13 dst_sel:BYTE_1 dst_unused:UNUSED_PAD src0_sel:DWORD src1_sel:DWORD
	v_cndmask_b32_e64 v13, 0, v12, s[4:5]
	v_cmp_gt_u32_e64 s[4:5], s14, v28
	v_mad_u32_u24 v29, v0, 19, 3
	v_cndmask_b32_e64 v12, 0, v5, s[4:5]
	v_lshrrev_b16_e32 v11, 8, v4
	v_mad_u32_u24 v30, v0, 19, 4
	v_lshlrev_b16_e32 v12, 8, v12
	v_cmp_gt_u32_e64 s[4:5], s14, v29
	v_lshrrev_b32_e32 v9, 16, v4
	v_lshrrev_b32_sdwa v26, v18, v12 dst_sel:BYTE_1 dst_unused:UNUSED_PAD src0_sel:DWORD src1_sel:DWORD
	v_cndmask_b32_e64 v12, 0, v11, s[4:5]
	v_cmp_gt_u32_e64 s[4:5], s14, v30
	v_mad_u32_u24 v31, v0, 19, 2
	v_cndmask_b32_e64 v9, 0, v9, s[4:5]
	v_lshlrev_b16_e32 v16, 8, v16
	v_lshlrev_b16_e32 v9, 8, v9
	v_cmp_gt_u32_e64 s[4:5], s14, v31
	v_lshrrev_b32_sdwa v23, v18, v16 dst_sel:BYTE_1 dst_unused:UNUSED_PAD src0_sel:DWORD src1_sel:DWORD
	v_lshlrev_b16_e32 v16, 8, v10
	v_mad_u32_u24 v32, v0, 19, 1
	v_cndmask_b32_e64 v11, 0, v4, s[4:5]
	v_lshrrev_b32_sdwa v9, v18, v9 dst_sel:BYTE_1 dst_unused:UNUSED_PAD src0_sel:DWORD src1_sel:DWORD
	v_mul_u32_u24_e32 v19, 19, v0
	v_cndmask_b32_e64 v24, 0, v6, s[2:3]
	v_lshlrev_b16_e32 v11, 8, v11
	v_cmp_gt_u32_e64 s[4:5], s14, v32
	v_or_b32_sdwa v12, v12, v9 dst_sel:WORD_1 dst_unused:UNUSED_PAD src0_sel:DWORD src1_sel:DWORD
	v_lshrrev_b32_sdwa v9, v18, v16 dst_sel:BYTE_1 dst_unused:UNUSED_PAD src0_sel:DWORD src1_sel:DWORD
	v_mad_u32_u24 v8, v0, 19, 18
	v_mad_u32_u24 v10, v0, 19, 9
	v_cndmask_b32_e64 v27, 0, v7, s[4:5]
	v_cmp_ne_u32_e64 s[4:5], 0, v0
	v_cmp_gt_u32_e64 s[6:7], s14, v19
	v_lshrrev_b32_sdwa v11, v18, v11 dst_sel:BYTE_1 dst_unused:UNUSED_PAD src0_sel:DWORD src1_sel:DWORD
	v_or_b32_sdwa v16, v24, v9 dst_sel:DWORD dst_unused:UNUSED_PAD src0_sel:BYTE_0 src1_sel:DWORD
	v_lshrrev_b32_sdwa v9, v18, v17 dst_sel:BYTE_1 dst_unused:UNUSED_PAD src0_sel:DWORD src1_sel:DWORD
	v_cmp_gt_u32_e32 vcc, s14, v8
	v_lshrrev_b32_e32 v8, 24, v3
	v_cmp_gt_u32_e64 s[2:3], s14, v10
	v_lshrrev_b32_e32 v10, 24, v5
	s_and_b64 s[6:7], s[4:5], s[6:7]
	v_or_b32_sdwa v11, v27, v11 dst_sel:DWORD dst_unused:UNUSED_PAD src0_sel:BYTE_0 src1_sel:DWORD
	v_or_b32_e32 v13, v13, v26
	v_or_b32_sdwa v14, v14, v25 dst_sel:WORD_1 dst_unused:UNUSED_PAD src0_sel:DWORD src1_sel:DWORD
	v_or_b32_sdwa v17, v15, v9 dst_sel:WORD_1 dst_unused:UNUSED_PAD src0_sel:DWORD src1_sel:DWORD
	v_or_b32_e32 v18, v22, v23
	v_or_b32_sdwa v19, v20, v21 dst_sel:WORD_1 dst_unused:UNUSED_PAD src0_sel:DWORD src1_sel:DWORD
	ds_write_b8 v0, v1
	s_waitcnt lgkmcnt(0)
	s_barrier
	s_and_saveexec_b64 s[4:5], s[6:7]
	s_cbranch_execz .LBB283_60
; %bb.59:
	v_add_u32_e32 v9, -1, v0
	ds_read_u8 v9, v9
	s_waitcnt lgkmcnt(0)
	v_sub_u16_e32 v7, v7, v9
.LBB283_60:
	s_or_b64 exec, exec, s[4:5]
	v_cndmask_b32_e32 v9, 0, v8, vcc
	v_cndmask_b32_e64 v10, 0, v10, s[2:3]
	v_or_b32_sdwa v15, v11, v12 dst_sel:DWORD dst_unused:UNUSED_PAD src0_sel:WORD_0 src1_sel:DWORD
	v_or_b32_sdwa v14, v13, v14 dst_sel:DWORD dst_unused:UNUSED_PAD src0_sel:WORD_0 src1_sel:DWORD
	;; [unrolled: 1-line block ×4, first 2 shown]
	v_mov_b32_e32 v8, v7
.LBB283_61:
	v_sub_u16_sdwa v7, v5, v14 dst_sel:BYTE_1 dst_unused:UNUSED_PAD src0_sel:BYTE_3 src1_sel:BYTE_3
	s_waitcnt vmcnt(0)
	v_sub_u16_sdwa v12, v5, v14 dst_sel:DWORD dst_unused:UNUSED_PAD src0_sel:WORD_1 src1_sel:WORD_1
	v_or_b32_sdwa v7, v12, v7 dst_sel:WORD_1 dst_unused:UNUSED_PAD src0_sel:BYTE_0 src1_sel:DWORD
	v_sub_u16_sdwa v12, v5, v14 dst_sel:BYTE_1 dst_unused:UNUSED_PAD src0_sel:BYTE_1 src1_sel:BYTE_1
	v_sub_u16_e32 v5, v5, v14
	v_or_b32_sdwa v5, v5, v12 dst_sel:DWORD dst_unused:UNUSED_PAD src0_sel:BYTE_0 src1_sel:DWORD
	v_or_b32_sdwa v5, v5, v7 dst_sel:DWORD dst_unused:UNUSED_PAD src0_sel:WORD_0 src1_sel:DWORD
	v_sub_u16_sdwa v7, v4, v15 dst_sel:BYTE_1 dst_unused:UNUSED_PAD src0_sel:BYTE_3 src1_sel:BYTE_3
	v_sub_u16_sdwa v12, v4, v15 dst_sel:DWORD dst_unused:UNUSED_PAD src0_sel:WORD_1 src1_sel:WORD_1
	v_or_b32_sdwa v7, v12, v7 dst_sel:WORD_1 dst_unused:UNUSED_PAD src0_sel:BYTE_0 src1_sel:DWORD
	v_sub_u16_sdwa v12, v4, v15 dst_sel:BYTE_1 dst_unused:UNUSED_PAD src0_sel:BYTE_1 src1_sel:BYTE_1
	v_sub_u16_e32 v4, v4, v15
	v_or_b32_sdwa v4, v4, v12 dst_sel:DWORD dst_unused:UNUSED_PAD src0_sel:BYTE_0 src1_sel:DWORD
	v_or_b32_sdwa v4, v4, v7 dst_sel:DWORD dst_unused:UNUSED_PAD src0_sel:WORD_0 src1_sel:DWORD
	v_sub_u16_e32 v10, v6, v10
	v_sub_u16_sdwa v6, v3, v11 dst_sel:BYTE_1 dst_unused:UNUSED_PAD src0_sel:BYTE_3 src1_sel:BYTE_3
	v_sub_u16_sdwa v7, v3, v11 dst_sel:DWORD dst_unused:UNUSED_PAD src0_sel:WORD_1 src1_sel:WORD_1
	v_or_b32_sdwa v6, v7, v6 dst_sel:WORD_1 dst_unused:UNUSED_PAD src0_sel:BYTE_0 src1_sel:DWORD
	v_sub_u16_sdwa v7, v3, v11 dst_sel:BYTE_1 dst_unused:UNUSED_PAD src0_sel:BYTE_1 src1_sel:BYTE_1
	v_sub_u16_e32 v3, v3, v11
	v_or_b32_sdwa v3, v3, v7 dst_sel:DWORD dst_unused:UNUSED_PAD src0_sel:BYTE_0 src1_sel:DWORD
	v_or_b32_sdwa v3, v3, v6 dst_sel:DWORD dst_unused:UNUSED_PAD src0_sel:WORD_0 src1_sel:DWORD
	v_sub_u16_sdwa v6, v2, v13 dst_sel:BYTE_1 dst_unused:UNUSED_PAD src0_sel:BYTE_3 src1_sel:BYTE_3
	v_sub_u16_sdwa v7, v2, v13 dst_sel:DWORD dst_unused:UNUSED_PAD src0_sel:WORD_1 src1_sel:WORD_1
	v_or_b32_sdwa v6, v7, v6 dst_sel:WORD_1 dst_unused:UNUSED_PAD src0_sel:BYTE_0 src1_sel:DWORD
	v_sub_u16_sdwa v7, v2, v13 dst_sel:BYTE_1 dst_unused:UNUSED_PAD src0_sel:BYTE_1 src1_sel:BYTE_1
	v_sub_u16_e32 v2, v2, v13
	s_add_u32 s4, s12, s10
	v_or_b32_sdwa v2, v2, v7 dst_sel:DWORD dst_unused:UNUSED_PAD src0_sel:BYTE_0 src1_sel:DWORD
	s_addc_u32 s5, s13, s11
	v_or_b32_sdwa v2, v2, v6 dst_sel:DWORD dst_unused:UNUSED_PAD src0_sel:WORD_0 src1_sel:DWORD
	v_sub_u16_e32 v1, v1, v9
	s_and_b64 vcc, exec, s[0:1]
	v_mul_u32_u24_e32 v9, 19, v0
	s_barrier
	s_cbranch_vccz .LBB283_99
; %bb.62:
	ds_write_b8 v9, v8
	ds_write_b64 v9, v[4:5] offset:1
	ds_write_b8 v9, v10 offset:9
	ds_write_b64 v9, v[2:3] offset:10
	ds_write_b8 v9, v1 offset:18
	s_waitcnt lgkmcnt(0)
	s_barrier
	ds_read_u8 v28, v0 offset:128
	ds_read_u8 v27, v0 offset:256
	;; [unrolled: 1-line block ×18, first 2 shown]
	s_add_i32 s15, s15, s14
	s_add_u32 s0, s4, s24
	s_addc_u32 s1, s5, 0
	v_mov_b32_e32 v7, s1
	v_add_co_u32_e32 v6, vcc, s0, v0
	v_addc_co_u32_e32 v7, vcc, 0, v7, vcc
	v_cmp_gt_u32_e32 vcc, s15, v0
	s_and_saveexec_b64 s[0:1], vcc
	s_cbranch_execz .LBB283_64
; %bb.63:
	ds_read_u8 v29, v0
	s_waitcnt lgkmcnt(0)
	global_store_byte v[6:7], v29, off
.LBB283_64:
	s_or_b64 exec, exec, s[0:1]
	v_or_b32_e32 v29, 0x80, v0
	v_cmp_gt_u32_e32 vcc, s15, v29
	s_and_saveexec_b64 s[0:1], vcc
	s_cbranch_execz .LBB283_66
; %bb.65:
	s_waitcnt lgkmcnt(14)
	global_store_byte v[6:7], v28, off offset:128
.LBB283_66:
	s_or_b64 exec, exec, s[0:1]
	s_waitcnt lgkmcnt(14)
	v_or_b32_e32 v28, 0x100, v0
	v_cmp_gt_u32_e32 vcc, s15, v28
	s_and_saveexec_b64 s[0:1], vcc
	s_cbranch_execz .LBB283_68
; %bb.67:
	global_store_byte v[6:7], v27, off offset:256
.LBB283_68:
	s_or_b64 exec, exec, s[0:1]
	v_or_b32_e32 v27, 0x180, v0
	v_cmp_gt_u32_e32 vcc, s15, v27
	s_and_saveexec_b64 s[0:1], vcc
	s_cbranch_execz .LBB283_70
; %bb.69:
	global_store_byte v[6:7], v26, off offset:384
.LBB283_70:
	s_or_b64 exec, exec, s[0:1]
	;; [unrolled: 8-line block ×3, first 2 shown]
	v_or_b32_e32 v25, 0x280, v0
	v_cmp_gt_u32_e32 vcc, s15, v25
	s_and_saveexec_b64 s[0:1], vcc
	s_cbranch_execz .LBB283_74
; %bb.73:
	s_waitcnt lgkmcnt(13)
	global_store_byte v[6:7], v24, off offset:640
.LBB283_74:
	s_or_b64 exec, exec, s[0:1]
	s_waitcnt lgkmcnt(13)
	v_or_b32_e32 v24, 0x300, v0
	v_cmp_gt_u32_e32 vcc, s15, v24
	s_and_saveexec_b64 s[0:1], vcc
	s_cbranch_execz .LBB283_76
; %bb.75:
	s_waitcnt lgkmcnt(12)
	global_store_byte v[6:7], v23, off offset:768
.LBB283_76:
	s_or_b64 exec, exec, s[0:1]
	s_waitcnt lgkmcnt(12)
	;; [unrolled: 10-line block ×13, first 2 shown]
	v_or_b32_e32 v12, 0x900, v0
	v_cmp_gt_u32_e64 s[0:1], s15, v12
	s_branch .LBB283_101
.LBB283_99:
	s_mov_b64 s[0:1], 0
                                        ; implicit-def: $vgpr11
                                        ; implicit-def: $vgpr6_vgpr7
	s_cbranch_execz .LBB283_101
; %bb.100:
	s_add_u32 s2, s4, s24
	ds_write_b8 v9, v8
	ds_write_b64 v9, v[4:5] offset:1
	ds_write_b8 v9, v10 offset:9
	ds_write_b64 v9, v[2:3] offset:10
	ds_write_b8 v9, v1 offset:18
	s_waitcnt lgkmcnt(0)
	s_barrier
	ds_read_u8 v1, v0
	ds_read_u8 v2, v0 offset:128
	ds_read_u8 v3, v0 offset:256
	;; [unrolled: 1-line block ×18, first 2 shown]
	s_addc_u32 s3, s5, 0
	v_mov_b32_e32 v7, s3
	v_add_co_u32_e32 v6, vcc, s2, v0
	v_addc_co_u32_e32 v7, vcc, 0, v7, vcc
	s_or_b64 s[0:1], s[0:1], exec
	s_waitcnt lgkmcnt(14)
	global_store_byte v0, v1, s[2:3]
	global_store_byte v0, v2, s[2:3] offset:128
	global_store_byte v0, v3, s[2:3] offset:256
	;; [unrolled: 1-line block ×4, first 2 shown]
	s_waitcnt lgkmcnt(13)
	global_store_byte v0, v8, s[2:3] offset:640
	s_waitcnt lgkmcnt(12)
	global_store_byte v0, v9, s[2:3] offset:768
	;; [unrolled: 2-line block ×13, first 2 shown]
.LBB283_101:
	s_and_saveexec_b64 s[2:3], s[0:1]
	s_cbranch_execnz .LBB283_103
; %bb.102:
	s_endpgm
.LBB283_103:
	s_waitcnt lgkmcnt(0)
	global_store_byte v[6:7], v11, off offset:2304
	s_endpgm
	.section	.rodata,"a",@progbits
	.p2align	6, 0x0
	.amdhsa_kernel _ZN7rocprim17ROCPRIM_400000_NS6detail17trampoline_kernelINS0_14default_configENS1_35adjacent_difference_config_selectorILb1EhEEZNS1_24adjacent_difference_implIS3_Lb1ELb0EPhS7_N6thrust23THRUST_200600_302600_NS5minusIhEEEE10hipError_tPvRmT2_T3_mT4_P12ihipStream_tbEUlT_E_NS1_11comp_targetILNS1_3genE4ELNS1_11target_archE910ELNS1_3gpuE8ELNS1_3repE0EEENS1_30default_config_static_selectorELNS0_4arch9wavefront6targetE1EEEvT1_
		.amdhsa_group_segment_fixed_size 2432
		.amdhsa_private_segment_fixed_size 0
		.amdhsa_kernarg_size 56
		.amdhsa_user_sgpr_count 6
		.amdhsa_user_sgpr_private_segment_buffer 1
		.amdhsa_user_sgpr_dispatch_ptr 0
		.amdhsa_user_sgpr_queue_ptr 0
		.amdhsa_user_sgpr_kernarg_segment_ptr 1
		.amdhsa_user_sgpr_dispatch_id 0
		.amdhsa_user_sgpr_flat_scratch_init 0
		.amdhsa_user_sgpr_kernarg_preload_length 0
		.amdhsa_user_sgpr_kernarg_preload_offset 0
		.amdhsa_user_sgpr_private_segment_size 0
		.amdhsa_uses_dynamic_stack 0
		.amdhsa_system_sgpr_private_segment_wavefront_offset 0
		.amdhsa_system_sgpr_workgroup_id_x 1
		.amdhsa_system_sgpr_workgroup_id_y 0
		.amdhsa_system_sgpr_workgroup_id_z 0
		.amdhsa_system_sgpr_workgroup_info 0
		.amdhsa_system_vgpr_workitem_id 0
		.amdhsa_next_free_vgpr 34
		.amdhsa_next_free_sgpr 27
		.amdhsa_accum_offset 36
		.amdhsa_reserve_vcc 1
		.amdhsa_reserve_flat_scratch 0
		.amdhsa_float_round_mode_32 0
		.amdhsa_float_round_mode_16_64 0
		.amdhsa_float_denorm_mode_32 3
		.amdhsa_float_denorm_mode_16_64 3
		.amdhsa_dx10_clamp 1
		.amdhsa_ieee_mode 1
		.amdhsa_fp16_overflow 0
		.amdhsa_tg_split 0
		.amdhsa_exception_fp_ieee_invalid_op 0
		.amdhsa_exception_fp_denorm_src 0
		.amdhsa_exception_fp_ieee_div_zero 0
		.amdhsa_exception_fp_ieee_overflow 0
		.amdhsa_exception_fp_ieee_underflow 0
		.amdhsa_exception_fp_ieee_inexact 0
		.amdhsa_exception_int_div_zero 0
	.end_amdhsa_kernel
	.section	.text._ZN7rocprim17ROCPRIM_400000_NS6detail17trampoline_kernelINS0_14default_configENS1_35adjacent_difference_config_selectorILb1EhEEZNS1_24adjacent_difference_implIS3_Lb1ELb0EPhS7_N6thrust23THRUST_200600_302600_NS5minusIhEEEE10hipError_tPvRmT2_T3_mT4_P12ihipStream_tbEUlT_E_NS1_11comp_targetILNS1_3genE4ELNS1_11target_archE910ELNS1_3gpuE8ELNS1_3repE0EEENS1_30default_config_static_selectorELNS0_4arch9wavefront6targetE1EEEvT1_,"axG",@progbits,_ZN7rocprim17ROCPRIM_400000_NS6detail17trampoline_kernelINS0_14default_configENS1_35adjacent_difference_config_selectorILb1EhEEZNS1_24adjacent_difference_implIS3_Lb1ELb0EPhS7_N6thrust23THRUST_200600_302600_NS5minusIhEEEE10hipError_tPvRmT2_T3_mT4_P12ihipStream_tbEUlT_E_NS1_11comp_targetILNS1_3genE4ELNS1_11target_archE910ELNS1_3gpuE8ELNS1_3repE0EEENS1_30default_config_static_selectorELNS0_4arch9wavefront6targetE1EEEvT1_,comdat
.Lfunc_end283:
	.size	_ZN7rocprim17ROCPRIM_400000_NS6detail17trampoline_kernelINS0_14default_configENS1_35adjacent_difference_config_selectorILb1EhEEZNS1_24adjacent_difference_implIS3_Lb1ELb0EPhS7_N6thrust23THRUST_200600_302600_NS5minusIhEEEE10hipError_tPvRmT2_T3_mT4_P12ihipStream_tbEUlT_E_NS1_11comp_targetILNS1_3genE4ELNS1_11target_archE910ELNS1_3gpuE8ELNS1_3repE0EEENS1_30default_config_static_selectorELNS0_4arch9wavefront6targetE1EEEvT1_, .Lfunc_end283-_ZN7rocprim17ROCPRIM_400000_NS6detail17trampoline_kernelINS0_14default_configENS1_35adjacent_difference_config_selectorILb1EhEEZNS1_24adjacent_difference_implIS3_Lb1ELb0EPhS7_N6thrust23THRUST_200600_302600_NS5minusIhEEEE10hipError_tPvRmT2_T3_mT4_P12ihipStream_tbEUlT_E_NS1_11comp_targetILNS1_3genE4ELNS1_11target_archE910ELNS1_3gpuE8ELNS1_3repE0EEENS1_30default_config_static_selectorELNS0_4arch9wavefront6targetE1EEEvT1_
                                        ; -- End function
	.section	.AMDGPU.csdata,"",@progbits
; Kernel info:
; codeLenInByte = 5108
; NumSgprs: 31
; NumVgprs: 34
; NumAgprs: 0
; TotalNumVgprs: 34
; ScratchSize: 0
; MemoryBound: 0
; FloatMode: 240
; IeeeMode: 1
; LDSByteSize: 2432 bytes/workgroup (compile time only)
; SGPRBlocks: 3
; VGPRBlocks: 4
; NumSGPRsForWavesPerEU: 31
; NumVGPRsForWavesPerEU: 34
; AccumOffset: 36
; Occupancy: 8
; WaveLimiterHint : 1
; COMPUTE_PGM_RSRC2:SCRATCH_EN: 0
; COMPUTE_PGM_RSRC2:USER_SGPR: 6
; COMPUTE_PGM_RSRC2:TRAP_HANDLER: 0
; COMPUTE_PGM_RSRC2:TGID_X_EN: 1
; COMPUTE_PGM_RSRC2:TGID_Y_EN: 0
; COMPUTE_PGM_RSRC2:TGID_Z_EN: 0
; COMPUTE_PGM_RSRC2:TIDIG_COMP_CNT: 0
; COMPUTE_PGM_RSRC3_GFX90A:ACCUM_OFFSET: 8
; COMPUTE_PGM_RSRC3_GFX90A:TG_SPLIT: 0
	.section	.text._ZN7rocprim17ROCPRIM_400000_NS6detail17trampoline_kernelINS0_14default_configENS1_35adjacent_difference_config_selectorILb1EhEEZNS1_24adjacent_difference_implIS3_Lb1ELb0EPhS7_N6thrust23THRUST_200600_302600_NS5minusIhEEEE10hipError_tPvRmT2_T3_mT4_P12ihipStream_tbEUlT_E_NS1_11comp_targetILNS1_3genE3ELNS1_11target_archE908ELNS1_3gpuE7ELNS1_3repE0EEENS1_30default_config_static_selectorELNS0_4arch9wavefront6targetE1EEEvT1_,"axG",@progbits,_ZN7rocprim17ROCPRIM_400000_NS6detail17trampoline_kernelINS0_14default_configENS1_35adjacent_difference_config_selectorILb1EhEEZNS1_24adjacent_difference_implIS3_Lb1ELb0EPhS7_N6thrust23THRUST_200600_302600_NS5minusIhEEEE10hipError_tPvRmT2_T3_mT4_P12ihipStream_tbEUlT_E_NS1_11comp_targetILNS1_3genE3ELNS1_11target_archE908ELNS1_3gpuE7ELNS1_3repE0EEENS1_30default_config_static_selectorELNS0_4arch9wavefront6targetE1EEEvT1_,comdat
	.protected	_ZN7rocprim17ROCPRIM_400000_NS6detail17trampoline_kernelINS0_14default_configENS1_35adjacent_difference_config_selectorILb1EhEEZNS1_24adjacent_difference_implIS3_Lb1ELb0EPhS7_N6thrust23THRUST_200600_302600_NS5minusIhEEEE10hipError_tPvRmT2_T3_mT4_P12ihipStream_tbEUlT_E_NS1_11comp_targetILNS1_3genE3ELNS1_11target_archE908ELNS1_3gpuE7ELNS1_3repE0EEENS1_30default_config_static_selectorELNS0_4arch9wavefront6targetE1EEEvT1_ ; -- Begin function _ZN7rocprim17ROCPRIM_400000_NS6detail17trampoline_kernelINS0_14default_configENS1_35adjacent_difference_config_selectorILb1EhEEZNS1_24adjacent_difference_implIS3_Lb1ELb0EPhS7_N6thrust23THRUST_200600_302600_NS5minusIhEEEE10hipError_tPvRmT2_T3_mT4_P12ihipStream_tbEUlT_E_NS1_11comp_targetILNS1_3genE3ELNS1_11target_archE908ELNS1_3gpuE7ELNS1_3repE0EEENS1_30default_config_static_selectorELNS0_4arch9wavefront6targetE1EEEvT1_
	.globl	_ZN7rocprim17ROCPRIM_400000_NS6detail17trampoline_kernelINS0_14default_configENS1_35adjacent_difference_config_selectorILb1EhEEZNS1_24adjacent_difference_implIS3_Lb1ELb0EPhS7_N6thrust23THRUST_200600_302600_NS5minusIhEEEE10hipError_tPvRmT2_T3_mT4_P12ihipStream_tbEUlT_E_NS1_11comp_targetILNS1_3genE3ELNS1_11target_archE908ELNS1_3gpuE7ELNS1_3repE0EEENS1_30default_config_static_selectorELNS0_4arch9wavefront6targetE1EEEvT1_
	.p2align	8
	.type	_ZN7rocprim17ROCPRIM_400000_NS6detail17trampoline_kernelINS0_14default_configENS1_35adjacent_difference_config_selectorILb1EhEEZNS1_24adjacent_difference_implIS3_Lb1ELb0EPhS7_N6thrust23THRUST_200600_302600_NS5minusIhEEEE10hipError_tPvRmT2_T3_mT4_P12ihipStream_tbEUlT_E_NS1_11comp_targetILNS1_3genE3ELNS1_11target_archE908ELNS1_3gpuE7ELNS1_3repE0EEENS1_30default_config_static_selectorELNS0_4arch9wavefront6targetE1EEEvT1_,@function
_ZN7rocprim17ROCPRIM_400000_NS6detail17trampoline_kernelINS0_14default_configENS1_35adjacent_difference_config_selectorILb1EhEEZNS1_24adjacent_difference_implIS3_Lb1ELb0EPhS7_N6thrust23THRUST_200600_302600_NS5minusIhEEEE10hipError_tPvRmT2_T3_mT4_P12ihipStream_tbEUlT_E_NS1_11comp_targetILNS1_3genE3ELNS1_11target_archE908ELNS1_3gpuE7ELNS1_3repE0EEENS1_30default_config_static_selectorELNS0_4arch9wavefront6targetE1EEEvT1_: ; @_ZN7rocprim17ROCPRIM_400000_NS6detail17trampoline_kernelINS0_14default_configENS1_35adjacent_difference_config_selectorILb1EhEEZNS1_24adjacent_difference_implIS3_Lb1ELb0EPhS7_N6thrust23THRUST_200600_302600_NS5minusIhEEEE10hipError_tPvRmT2_T3_mT4_P12ihipStream_tbEUlT_E_NS1_11comp_targetILNS1_3genE3ELNS1_11target_archE908ELNS1_3gpuE7ELNS1_3repE0EEENS1_30default_config_static_selectorELNS0_4arch9wavefront6targetE1EEEvT1_
; %bb.0:
	.section	.rodata,"a",@progbits
	.p2align	6, 0x0
	.amdhsa_kernel _ZN7rocprim17ROCPRIM_400000_NS6detail17trampoline_kernelINS0_14default_configENS1_35adjacent_difference_config_selectorILb1EhEEZNS1_24adjacent_difference_implIS3_Lb1ELb0EPhS7_N6thrust23THRUST_200600_302600_NS5minusIhEEEE10hipError_tPvRmT2_T3_mT4_P12ihipStream_tbEUlT_E_NS1_11comp_targetILNS1_3genE3ELNS1_11target_archE908ELNS1_3gpuE7ELNS1_3repE0EEENS1_30default_config_static_selectorELNS0_4arch9wavefront6targetE1EEEvT1_
		.amdhsa_group_segment_fixed_size 0
		.amdhsa_private_segment_fixed_size 0
		.amdhsa_kernarg_size 56
		.amdhsa_user_sgpr_count 6
		.amdhsa_user_sgpr_private_segment_buffer 1
		.amdhsa_user_sgpr_dispatch_ptr 0
		.amdhsa_user_sgpr_queue_ptr 0
		.amdhsa_user_sgpr_kernarg_segment_ptr 1
		.amdhsa_user_sgpr_dispatch_id 0
		.amdhsa_user_sgpr_flat_scratch_init 0
		.amdhsa_user_sgpr_kernarg_preload_length 0
		.amdhsa_user_sgpr_kernarg_preload_offset 0
		.amdhsa_user_sgpr_private_segment_size 0
		.amdhsa_uses_dynamic_stack 0
		.amdhsa_system_sgpr_private_segment_wavefront_offset 0
		.amdhsa_system_sgpr_workgroup_id_x 1
		.amdhsa_system_sgpr_workgroup_id_y 0
		.amdhsa_system_sgpr_workgroup_id_z 0
		.amdhsa_system_sgpr_workgroup_info 0
		.amdhsa_system_vgpr_workitem_id 0
		.amdhsa_next_free_vgpr 1
		.amdhsa_next_free_sgpr 0
		.amdhsa_accum_offset 4
		.amdhsa_reserve_vcc 0
		.amdhsa_reserve_flat_scratch 0
		.amdhsa_float_round_mode_32 0
		.amdhsa_float_round_mode_16_64 0
		.amdhsa_float_denorm_mode_32 3
		.amdhsa_float_denorm_mode_16_64 3
		.amdhsa_dx10_clamp 1
		.amdhsa_ieee_mode 1
		.amdhsa_fp16_overflow 0
		.amdhsa_tg_split 0
		.amdhsa_exception_fp_ieee_invalid_op 0
		.amdhsa_exception_fp_denorm_src 0
		.amdhsa_exception_fp_ieee_div_zero 0
		.amdhsa_exception_fp_ieee_overflow 0
		.amdhsa_exception_fp_ieee_underflow 0
		.amdhsa_exception_fp_ieee_inexact 0
		.amdhsa_exception_int_div_zero 0
	.end_amdhsa_kernel
	.section	.text._ZN7rocprim17ROCPRIM_400000_NS6detail17trampoline_kernelINS0_14default_configENS1_35adjacent_difference_config_selectorILb1EhEEZNS1_24adjacent_difference_implIS3_Lb1ELb0EPhS7_N6thrust23THRUST_200600_302600_NS5minusIhEEEE10hipError_tPvRmT2_T3_mT4_P12ihipStream_tbEUlT_E_NS1_11comp_targetILNS1_3genE3ELNS1_11target_archE908ELNS1_3gpuE7ELNS1_3repE0EEENS1_30default_config_static_selectorELNS0_4arch9wavefront6targetE1EEEvT1_,"axG",@progbits,_ZN7rocprim17ROCPRIM_400000_NS6detail17trampoline_kernelINS0_14default_configENS1_35adjacent_difference_config_selectorILb1EhEEZNS1_24adjacent_difference_implIS3_Lb1ELb0EPhS7_N6thrust23THRUST_200600_302600_NS5minusIhEEEE10hipError_tPvRmT2_T3_mT4_P12ihipStream_tbEUlT_E_NS1_11comp_targetILNS1_3genE3ELNS1_11target_archE908ELNS1_3gpuE7ELNS1_3repE0EEENS1_30default_config_static_selectorELNS0_4arch9wavefront6targetE1EEEvT1_,comdat
.Lfunc_end284:
	.size	_ZN7rocprim17ROCPRIM_400000_NS6detail17trampoline_kernelINS0_14default_configENS1_35adjacent_difference_config_selectorILb1EhEEZNS1_24adjacent_difference_implIS3_Lb1ELb0EPhS7_N6thrust23THRUST_200600_302600_NS5minusIhEEEE10hipError_tPvRmT2_T3_mT4_P12ihipStream_tbEUlT_E_NS1_11comp_targetILNS1_3genE3ELNS1_11target_archE908ELNS1_3gpuE7ELNS1_3repE0EEENS1_30default_config_static_selectorELNS0_4arch9wavefront6targetE1EEEvT1_, .Lfunc_end284-_ZN7rocprim17ROCPRIM_400000_NS6detail17trampoline_kernelINS0_14default_configENS1_35adjacent_difference_config_selectorILb1EhEEZNS1_24adjacent_difference_implIS3_Lb1ELb0EPhS7_N6thrust23THRUST_200600_302600_NS5minusIhEEEE10hipError_tPvRmT2_T3_mT4_P12ihipStream_tbEUlT_E_NS1_11comp_targetILNS1_3genE3ELNS1_11target_archE908ELNS1_3gpuE7ELNS1_3repE0EEENS1_30default_config_static_selectorELNS0_4arch9wavefront6targetE1EEEvT1_
                                        ; -- End function
	.section	.AMDGPU.csdata,"",@progbits
; Kernel info:
; codeLenInByte = 0
; NumSgprs: 4
; NumVgprs: 0
; NumAgprs: 0
; TotalNumVgprs: 0
; ScratchSize: 0
; MemoryBound: 0
; FloatMode: 240
; IeeeMode: 1
; LDSByteSize: 0 bytes/workgroup (compile time only)
; SGPRBlocks: 0
; VGPRBlocks: 0
; NumSGPRsForWavesPerEU: 4
; NumVGPRsForWavesPerEU: 1
; AccumOffset: 4
; Occupancy: 8
; WaveLimiterHint : 0
; COMPUTE_PGM_RSRC2:SCRATCH_EN: 0
; COMPUTE_PGM_RSRC2:USER_SGPR: 6
; COMPUTE_PGM_RSRC2:TRAP_HANDLER: 0
; COMPUTE_PGM_RSRC2:TGID_X_EN: 1
; COMPUTE_PGM_RSRC2:TGID_Y_EN: 0
; COMPUTE_PGM_RSRC2:TGID_Z_EN: 0
; COMPUTE_PGM_RSRC2:TIDIG_COMP_CNT: 0
; COMPUTE_PGM_RSRC3_GFX90A:ACCUM_OFFSET: 0
; COMPUTE_PGM_RSRC3_GFX90A:TG_SPLIT: 0
	.section	.text._ZN7rocprim17ROCPRIM_400000_NS6detail17trampoline_kernelINS0_14default_configENS1_35adjacent_difference_config_selectorILb1EhEEZNS1_24adjacent_difference_implIS3_Lb1ELb0EPhS7_N6thrust23THRUST_200600_302600_NS5minusIhEEEE10hipError_tPvRmT2_T3_mT4_P12ihipStream_tbEUlT_E_NS1_11comp_targetILNS1_3genE2ELNS1_11target_archE906ELNS1_3gpuE6ELNS1_3repE0EEENS1_30default_config_static_selectorELNS0_4arch9wavefront6targetE1EEEvT1_,"axG",@progbits,_ZN7rocprim17ROCPRIM_400000_NS6detail17trampoline_kernelINS0_14default_configENS1_35adjacent_difference_config_selectorILb1EhEEZNS1_24adjacent_difference_implIS3_Lb1ELb0EPhS7_N6thrust23THRUST_200600_302600_NS5minusIhEEEE10hipError_tPvRmT2_T3_mT4_P12ihipStream_tbEUlT_E_NS1_11comp_targetILNS1_3genE2ELNS1_11target_archE906ELNS1_3gpuE6ELNS1_3repE0EEENS1_30default_config_static_selectorELNS0_4arch9wavefront6targetE1EEEvT1_,comdat
	.protected	_ZN7rocprim17ROCPRIM_400000_NS6detail17trampoline_kernelINS0_14default_configENS1_35adjacent_difference_config_selectorILb1EhEEZNS1_24adjacent_difference_implIS3_Lb1ELb0EPhS7_N6thrust23THRUST_200600_302600_NS5minusIhEEEE10hipError_tPvRmT2_T3_mT4_P12ihipStream_tbEUlT_E_NS1_11comp_targetILNS1_3genE2ELNS1_11target_archE906ELNS1_3gpuE6ELNS1_3repE0EEENS1_30default_config_static_selectorELNS0_4arch9wavefront6targetE1EEEvT1_ ; -- Begin function _ZN7rocprim17ROCPRIM_400000_NS6detail17trampoline_kernelINS0_14default_configENS1_35adjacent_difference_config_selectorILb1EhEEZNS1_24adjacent_difference_implIS3_Lb1ELb0EPhS7_N6thrust23THRUST_200600_302600_NS5minusIhEEEE10hipError_tPvRmT2_T3_mT4_P12ihipStream_tbEUlT_E_NS1_11comp_targetILNS1_3genE2ELNS1_11target_archE906ELNS1_3gpuE6ELNS1_3repE0EEENS1_30default_config_static_selectorELNS0_4arch9wavefront6targetE1EEEvT1_
	.globl	_ZN7rocprim17ROCPRIM_400000_NS6detail17trampoline_kernelINS0_14default_configENS1_35adjacent_difference_config_selectorILb1EhEEZNS1_24adjacent_difference_implIS3_Lb1ELb0EPhS7_N6thrust23THRUST_200600_302600_NS5minusIhEEEE10hipError_tPvRmT2_T3_mT4_P12ihipStream_tbEUlT_E_NS1_11comp_targetILNS1_3genE2ELNS1_11target_archE906ELNS1_3gpuE6ELNS1_3repE0EEENS1_30default_config_static_selectorELNS0_4arch9wavefront6targetE1EEEvT1_
	.p2align	8
	.type	_ZN7rocprim17ROCPRIM_400000_NS6detail17trampoline_kernelINS0_14default_configENS1_35adjacent_difference_config_selectorILb1EhEEZNS1_24adjacent_difference_implIS3_Lb1ELb0EPhS7_N6thrust23THRUST_200600_302600_NS5minusIhEEEE10hipError_tPvRmT2_T3_mT4_P12ihipStream_tbEUlT_E_NS1_11comp_targetILNS1_3genE2ELNS1_11target_archE906ELNS1_3gpuE6ELNS1_3repE0EEENS1_30default_config_static_selectorELNS0_4arch9wavefront6targetE1EEEvT1_,@function
_ZN7rocprim17ROCPRIM_400000_NS6detail17trampoline_kernelINS0_14default_configENS1_35adjacent_difference_config_selectorILb1EhEEZNS1_24adjacent_difference_implIS3_Lb1ELb0EPhS7_N6thrust23THRUST_200600_302600_NS5minusIhEEEE10hipError_tPvRmT2_T3_mT4_P12ihipStream_tbEUlT_E_NS1_11comp_targetILNS1_3genE2ELNS1_11target_archE906ELNS1_3gpuE6ELNS1_3repE0EEENS1_30default_config_static_selectorELNS0_4arch9wavefront6targetE1EEEvT1_: ; @_ZN7rocprim17ROCPRIM_400000_NS6detail17trampoline_kernelINS0_14default_configENS1_35adjacent_difference_config_selectorILb1EhEEZNS1_24adjacent_difference_implIS3_Lb1ELb0EPhS7_N6thrust23THRUST_200600_302600_NS5minusIhEEEE10hipError_tPvRmT2_T3_mT4_P12ihipStream_tbEUlT_E_NS1_11comp_targetILNS1_3genE2ELNS1_11target_archE906ELNS1_3gpuE6ELNS1_3repE0EEENS1_30default_config_static_selectorELNS0_4arch9wavefront6targetE1EEEvT1_
; %bb.0:
	.section	.rodata,"a",@progbits
	.p2align	6, 0x0
	.amdhsa_kernel _ZN7rocprim17ROCPRIM_400000_NS6detail17trampoline_kernelINS0_14default_configENS1_35adjacent_difference_config_selectorILb1EhEEZNS1_24adjacent_difference_implIS3_Lb1ELb0EPhS7_N6thrust23THRUST_200600_302600_NS5minusIhEEEE10hipError_tPvRmT2_T3_mT4_P12ihipStream_tbEUlT_E_NS1_11comp_targetILNS1_3genE2ELNS1_11target_archE906ELNS1_3gpuE6ELNS1_3repE0EEENS1_30default_config_static_selectorELNS0_4arch9wavefront6targetE1EEEvT1_
		.amdhsa_group_segment_fixed_size 0
		.amdhsa_private_segment_fixed_size 0
		.amdhsa_kernarg_size 56
		.amdhsa_user_sgpr_count 6
		.amdhsa_user_sgpr_private_segment_buffer 1
		.amdhsa_user_sgpr_dispatch_ptr 0
		.amdhsa_user_sgpr_queue_ptr 0
		.amdhsa_user_sgpr_kernarg_segment_ptr 1
		.amdhsa_user_sgpr_dispatch_id 0
		.amdhsa_user_sgpr_flat_scratch_init 0
		.amdhsa_user_sgpr_kernarg_preload_length 0
		.amdhsa_user_sgpr_kernarg_preload_offset 0
		.amdhsa_user_sgpr_private_segment_size 0
		.amdhsa_uses_dynamic_stack 0
		.amdhsa_system_sgpr_private_segment_wavefront_offset 0
		.amdhsa_system_sgpr_workgroup_id_x 1
		.amdhsa_system_sgpr_workgroup_id_y 0
		.amdhsa_system_sgpr_workgroup_id_z 0
		.amdhsa_system_sgpr_workgroup_info 0
		.amdhsa_system_vgpr_workitem_id 0
		.amdhsa_next_free_vgpr 1
		.amdhsa_next_free_sgpr 0
		.amdhsa_accum_offset 4
		.amdhsa_reserve_vcc 0
		.amdhsa_reserve_flat_scratch 0
		.amdhsa_float_round_mode_32 0
		.amdhsa_float_round_mode_16_64 0
		.amdhsa_float_denorm_mode_32 3
		.amdhsa_float_denorm_mode_16_64 3
		.amdhsa_dx10_clamp 1
		.amdhsa_ieee_mode 1
		.amdhsa_fp16_overflow 0
		.amdhsa_tg_split 0
		.amdhsa_exception_fp_ieee_invalid_op 0
		.amdhsa_exception_fp_denorm_src 0
		.amdhsa_exception_fp_ieee_div_zero 0
		.amdhsa_exception_fp_ieee_overflow 0
		.amdhsa_exception_fp_ieee_underflow 0
		.amdhsa_exception_fp_ieee_inexact 0
		.amdhsa_exception_int_div_zero 0
	.end_amdhsa_kernel
	.section	.text._ZN7rocprim17ROCPRIM_400000_NS6detail17trampoline_kernelINS0_14default_configENS1_35adjacent_difference_config_selectorILb1EhEEZNS1_24adjacent_difference_implIS3_Lb1ELb0EPhS7_N6thrust23THRUST_200600_302600_NS5minusIhEEEE10hipError_tPvRmT2_T3_mT4_P12ihipStream_tbEUlT_E_NS1_11comp_targetILNS1_3genE2ELNS1_11target_archE906ELNS1_3gpuE6ELNS1_3repE0EEENS1_30default_config_static_selectorELNS0_4arch9wavefront6targetE1EEEvT1_,"axG",@progbits,_ZN7rocprim17ROCPRIM_400000_NS6detail17trampoline_kernelINS0_14default_configENS1_35adjacent_difference_config_selectorILb1EhEEZNS1_24adjacent_difference_implIS3_Lb1ELb0EPhS7_N6thrust23THRUST_200600_302600_NS5minusIhEEEE10hipError_tPvRmT2_T3_mT4_P12ihipStream_tbEUlT_E_NS1_11comp_targetILNS1_3genE2ELNS1_11target_archE906ELNS1_3gpuE6ELNS1_3repE0EEENS1_30default_config_static_selectorELNS0_4arch9wavefront6targetE1EEEvT1_,comdat
.Lfunc_end285:
	.size	_ZN7rocprim17ROCPRIM_400000_NS6detail17trampoline_kernelINS0_14default_configENS1_35adjacent_difference_config_selectorILb1EhEEZNS1_24adjacent_difference_implIS3_Lb1ELb0EPhS7_N6thrust23THRUST_200600_302600_NS5minusIhEEEE10hipError_tPvRmT2_T3_mT4_P12ihipStream_tbEUlT_E_NS1_11comp_targetILNS1_3genE2ELNS1_11target_archE906ELNS1_3gpuE6ELNS1_3repE0EEENS1_30default_config_static_selectorELNS0_4arch9wavefront6targetE1EEEvT1_, .Lfunc_end285-_ZN7rocprim17ROCPRIM_400000_NS6detail17trampoline_kernelINS0_14default_configENS1_35adjacent_difference_config_selectorILb1EhEEZNS1_24adjacent_difference_implIS3_Lb1ELb0EPhS7_N6thrust23THRUST_200600_302600_NS5minusIhEEEE10hipError_tPvRmT2_T3_mT4_P12ihipStream_tbEUlT_E_NS1_11comp_targetILNS1_3genE2ELNS1_11target_archE906ELNS1_3gpuE6ELNS1_3repE0EEENS1_30default_config_static_selectorELNS0_4arch9wavefront6targetE1EEEvT1_
                                        ; -- End function
	.section	.AMDGPU.csdata,"",@progbits
; Kernel info:
; codeLenInByte = 0
; NumSgprs: 4
; NumVgprs: 0
; NumAgprs: 0
; TotalNumVgprs: 0
; ScratchSize: 0
; MemoryBound: 0
; FloatMode: 240
; IeeeMode: 1
; LDSByteSize: 0 bytes/workgroup (compile time only)
; SGPRBlocks: 0
; VGPRBlocks: 0
; NumSGPRsForWavesPerEU: 4
; NumVGPRsForWavesPerEU: 1
; AccumOffset: 4
; Occupancy: 8
; WaveLimiterHint : 0
; COMPUTE_PGM_RSRC2:SCRATCH_EN: 0
; COMPUTE_PGM_RSRC2:USER_SGPR: 6
; COMPUTE_PGM_RSRC2:TRAP_HANDLER: 0
; COMPUTE_PGM_RSRC2:TGID_X_EN: 1
; COMPUTE_PGM_RSRC2:TGID_Y_EN: 0
; COMPUTE_PGM_RSRC2:TGID_Z_EN: 0
; COMPUTE_PGM_RSRC2:TIDIG_COMP_CNT: 0
; COMPUTE_PGM_RSRC3_GFX90A:ACCUM_OFFSET: 0
; COMPUTE_PGM_RSRC3_GFX90A:TG_SPLIT: 0
	.section	.text._ZN7rocprim17ROCPRIM_400000_NS6detail17trampoline_kernelINS0_14default_configENS1_35adjacent_difference_config_selectorILb1EhEEZNS1_24adjacent_difference_implIS3_Lb1ELb0EPhS7_N6thrust23THRUST_200600_302600_NS5minusIhEEEE10hipError_tPvRmT2_T3_mT4_P12ihipStream_tbEUlT_E_NS1_11comp_targetILNS1_3genE9ELNS1_11target_archE1100ELNS1_3gpuE3ELNS1_3repE0EEENS1_30default_config_static_selectorELNS0_4arch9wavefront6targetE1EEEvT1_,"axG",@progbits,_ZN7rocprim17ROCPRIM_400000_NS6detail17trampoline_kernelINS0_14default_configENS1_35adjacent_difference_config_selectorILb1EhEEZNS1_24adjacent_difference_implIS3_Lb1ELb0EPhS7_N6thrust23THRUST_200600_302600_NS5minusIhEEEE10hipError_tPvRmT2_T3_mT4_P12ihipStream_tbEUlT_E_NS1_11comp_targetILNS1_3genE9ELNS1_11target_archE1100ELNS1_3gpuE3ELNS1_3repE0EEENS1_30default_config_static_selectorELNS0_4arch9wavefront6targetE1EEEvT1_,comdat
	.protected	_ZN7rocprim17ROCPRIM_400000_NS6detail17trampoline_kernelINS0_14default_configENS1_35adjacent_difference_config_selectorILb1EhEEZNS1_24adjacent_difference_implIS3_Lb1ELb0EPhS7_N6thrust23THRUST_200600_302600_NS5minusIhEEEE10hipError_tPvRmT2_T3_mT4_P12ihipStream_tbEUlT_E_NS1_11comp_targetILNS1_3genE9ELNS1_11target_archE1100ELNS1_3gpuE3ELNS1_3repE0EEENS1_30default_config_static_selectorELNS0_4arch9wavefront6targetE1EEEvT1_ ; -- Begin function _ZN7rocprim17ROCPRIM_400000_NS6detail17trampoline_kernelINS0_14default_configENS1_35adjacent_difference_config_selectorILb1EhEEZNS1_24adjacent_difference_implIS3_Lb1ELb0EPhS7_N6thrust23THRUST_200600_302600_NS5minusIhEEEE10hipError_tPvRmT2_T3_mT4_P12ihipStream_tbEUlT_E_NS1_11comp_targetILNS1_3genE9ELNS1_11target_archE1100ELNS1_3gpuE3ELNS1_3repE0EEENS1_30default_config_static_selectorELNS0_4arch9wavefront6targetE1EEEvT1_
	.globl	_ZN7rocprim17ROCPRIM_400000_NS6detail17trampoline_kernelINS0_14default_configENS1_35adjacent_difference_config_selectorILb1EhEEZNS1_24adjacent_difference_implIS3_Lb1ELb0EPhS7_N6thrust23THRUST_200600_302600_NS5minusIhEEEE10hipError_tPvRmT2_T3_mT4_P12ihipStream_tbEUlT_E_NS1_11comp_targetILNS1_3genE9ELNS1_11target_archE1100ELNS1_3gpuE3ELNS1_3repE0EEENS1_30default_config_static_selectorELNS0_4arch9wavefront6targetE1EEEvT1_
	.p2align	8
	.type	_ZN7rocprim17ROCPRIM_400000_NS6detail17trampoline_kernelINS0_14default_configENS1_35adjacent_difference_config_selectorILb1EhEEZNS1_24adjacent_difference_implIS3_Lb1ELb0EPhS7_N6thrust23THRUST_200600_302600_NS5minusIhEEEE10hipError_tPvRmT2_T3_mT4_P12ihipStream_tbEUlT_E_NS1_11comp_targetILNS1_3genE9ELNS1_11target_archE1100ELNS1_3gpuE3ELNS1_3repE0EEENS1_30default_config_static_selectorELNS0_4arch9wavefront6targetE1EEEvT1_,@function
_ZN7rocprim17ROCPRIM_400000_NS6detail17trampoline_kernelINS0_14default_configENS1_35adjacent_difference_config_selectorILb1EhEEZNS1_24adjacent_difference_implIS3_Lb1ELb0EPhS7_N6thrust23THRUST_200600_302600_NS5minusIhEEEE10hipError_tPvRmT2_T3_mT4_P12ihipStream_tbEUlT_E_NS1_11comp_targetILNS1_3genE9ELNS1_11target_archE1100ELNS1_3gpuE3ELNS1_3repE0EEENS1_30default_config_static_selectorELNS0_4arch9wavefront6targetE1EEEvT1_: ; @_ZN7rocprim17ROCPRIM_400000_NS6detail17trampoline_kernelINS0_14default_configENS1_35adjacent_difference_config_selectorILb1EhEEZNS1_24adjacent_difference_implIS3_Lb1ELb0EPhS7_N6thrust23THRUST_200600_302600_NS5minusIhEEEE10hipError_tPvRmT2_T3_mT4_P12ihipStream_tbEUlT_E_NS1_11comp_targetILNS1_3genE9ELNS1_11target_archE1100ELNS1_3gpuE3ELNS1_3repE0EEENS1_30default_config_static_selectorELNS0_4arch9wavefront6targetE1EEEvT1_
; %bb.0:
	.section	.rodata,"a",@progbits
	.p2align	6, 0x0
	.amdhsa_kernel _ZN7rocprim17ROCPRIM_400000_NS6detail17trampoline_kernelINS0_14default_configENS1_35adjacent_difference_config_selectorILb1EhEEZNS1_24adjacent_difference_implIS3_Lb1ELb0EPhS7_N6thrust23THRUST_200600_302600_NS5minusIhEEEE10hipError_tPvRmT2_T3_mT4_P12ihipStream_tbEUlT_E_NS1_11comp_targetILNS1_3genE9ELNS1_11target_archE1100ELNS1_3gpuE3ELNS1_3repE0EEENS1_30default_config_static_selectorELNS0_4arch9wavefront6targetE1EEEvT1_
		.amdhsa_group_segment_fixed_size 0
		.amdhsa_private_segment_fixed_size 0
		.amdhsa_kernarg_size 56
		.amdhsa_user_sgpr_count 6
		.amdhsa_user_sgpr_private_segment_buffer 1
		.amdhsa_user_sgpr_dispatch_ptr 0
		.amdhsa_user_sgpr_queue_ptr 0
		.amdhsa_user_sgpr_kernarg_segment_ptr 1
		.amdhsa_user_sgpr_dispatch_id 0
		.amdhsa_user_sgpr_flat_scratch_init 0
		.amdhsa_user_sgpr_kernarg_preload_length 0
		.amdhsa_user_sgpr_kernarg_preload_offset 0
		.amdhsa_user_sgpr_private_segment_size 0
		.amdhsa_uses_dynamic_stack 0
		.amdhsa_system_sgpr_private_segment_wavefront_offset 0
		.amdhsa_system_sgpr_workgroup_id_x 1
		.amdhsa_system_sgpr_workgroup_id_y 0
		.amdhsa_system_sgpr_workgroup_id_z 0
		.amdhsa_system_sgpr_workgroup_info 0
		.amdhsa_system_vgpr_workitem_id 0
		.amdhsa_next_free_vgpr 1
		.amdhsa_next_free_sgpr 0
		.amdhsa_accum_offset 4
		.amdhsa_reserve_vcc 0
		.amdhsa_reserve_flat_scratch 0
		.amdhsa_float_round_mode_32 0
		.amdhsa_float_round_mode_16_64 0
		.amdhsa_float_denorm_mode_32 3
		.amdhsa_float_denorm_mode_16_64 3
		.amdhsa_dx10_clamp 1
		.amdhsa_ieee_mode 1
		.amdhsa_fp16_overflow 0
		.amdhsa_tg_split 0
		.amdhsa_exception_fp_ieee_invalid_op 0
		.amdhsa_exception_fp_denorm_src 0
		.amdhsa_exception_fp_ieee_div_zero 0
		.amdhsa_exception_fp_ieee_overflow 0
		.amdhsa_exception_fp_ieee_underflow 0
		.amdhsa_exception_fp_ieee_inexact 0
		.amdhsa_exception_int_div_zero 0
	.end_amdhsa_kernel
	.section	.text._ZN7rocprim17ROCPRIM_400000_NS6detail17trampoline_kernelINS0_14default_configENS1_35adjacent_difference_config_selectorILb1EhEEZNS1_24adjacent_difference_implIS3_Lb1ELb0EPhS7_N6thrust23THRUST_200600_302600_NS5minusIhEEEE10hipError_tPvRmT2_T3_mT4_P12ihipStream_tbEUlT_E_NS1_11comp_targetILNS1_3genE9ELNS1_11target_archE1100ELNS1_3gpuE3ELNS1_3repE0EEENS1_30default_config_static_selectorELNS0_4arch9wavefront6targetE1EEEvT1_,"axG",@progbits,_ZN7rocprim17ROCPRIM_400000_NS6detail17trampoline_kernelINS0_14default_configENS1_35adjacent_difference_config_selectorILb1EhEEZNS1_24adjacent_difference_implIS3_Lb1ELb0EPhS7_N6thrust23THRUST_200600_302600_NS5minusIhEEEE10hipError_tPvRmT2_T3_mT4_P12ihipStream_tbEUlT_E_NS1_11comp_targetILNS1_3genE9ELNS1_11target_archE1100ELNS1_3gpuE3ELNS1_3repE0EEENS1_30default_config_static_selectorELNS0_4arch9wavefront6targetE1EEEvT1_,comdat
.Lfunc_end286:
	.size	_ZN7rocprim17ROCPRIM_400000_NS6detail17trampoline_kernelINS0_14default_configENS1_35adjacent_difference_config_selectorILb1EhEEZNS1_24adjacent_difference_implIS3_Lb1ELb0EPhS7_N6thrust23THRUST_200600_302600_NS5minusIhEEEE10hipError_tPvRmT2_T3_mT4_P12ihipStream_tbEUlT_E_NS1_11comp_targetILNS1_3genE9ELNS1_11target_archE1100ELNS1_3gpuE3ELNS1_3repE0EEENS1_30default_config_static_selectorELNS0_4arch9wavefront6targetE1EEEvT1_, .Lfunc_end286-_ZN7rocprim17ROCPRIM_400000_NS6detail17trampoline_kernelINS0_14default_configENS1_35adjacent_difference_config_selectorILb1EhEEZNS1_24adjacent_difference_implIS3_Lb1ELb0EPhS7_N6thrust23THRUST_200600_302600_NS5minusIhEEEE10hipError_tPvRmT2_T3_mT4_P12ihipStream_tbEUlT_E_NS1_11comp_targetILNS1_3genE9ELNS1_11target_archE1100ELNS1_3gpuE3ELNS1_3repE0EEENS1_30default_config_static_selectorELNS0_4arch9wavefront6targetE1EEEvT1_
                                        ; -- End function
	.section	.AMDGPU.csdata,"",@progbits
; Kernel info:
; codeLenInByte = 0
; NumSgprs: 4
; NumVgprs: 0
; NumAgprs: 0
; TotalNumVgprs: 0
; ScratchSize: 0
; MemoryBound: 0
; FloatMode: 240
; IeeeMode: 1
; LDSByteSize: 0 bytes/workgroup (compile time only)
; SGPRBlocks: 0
; VGPRBlocks: 0
; NumSGPRsForWavesPerEU: 4
; NumVGPRsForWavesPerEU: 1
; AccumOffset: 4
; Occupancy: 8
; WaveLimiterHint : 0
; COMPUTE_PGM_RSRC2:SCRATCH_EN: 0
; COMPUTE_PGM_RSRC2:USER_SGPR: 6
; COMPUTE_PGM_RSRC2:TRAP_HANDLER: 0
; COMPUTE_PGM_RSRC2:TGID_X_EN: 1
; COMPUTE_PGM_RSRC2:TGID_Y_EN: 0
; COMPUTE_PGM_RSRC2:TGID_Z_EN: 0
; COMPUTE_PGM_RSRC2:TIDIG_COMP_CNT: 0
; COMPUTE_PGM_RSRC3_GFX90A:ACCUM_OFFSET: 0
; COMPUTE_PGM_RSRC3_GFX90A:TG_SPLIT: 0
	.section	.text._ZN7rocprim17ROCPRIM_400000_NS6detail17trampoline_kernelINS0_14default_configENS1_35adjacent_difference_config_selectorILb1EhEEZNS1_24adjacent_difference_implIS3_Lb1ELb0EPhS7_N6thrust23THRUST_200600_302600_NS5minusIhEEEE10hipError_tPvRmT2_T3_mT4_P12ihipStream_tbEUlT_E_NS1_11comp_targetILNS1_3genE8ELNS1_11target_archE1030ELNS1_3gpuE2ELNS1_3repE0EEENS1_30default_config_static_selectorELNS0_4arch9wavefront6targetE1EEEvT1_,"axG",@progbits,_ZN7rocprim17ROCPRIM_400000_NS6detail17trampoline_kernelINS0_14default_configENS1_35adjacent_difference_config_selectorILb1EhEEZNS1_24adjacent_difference_implIS3_Lb1ELb0EPhS7_N6thrust23THRUST_200600_302600_NS5minusIhEEEE10hipError_tPvRmT2_T3_mT4_P12ihipStream_tbEUlT_E_NS1_11comp_targetILNS1_3genE8ELNS1_11target_archE1030ELNS1_3gpuE2ELNS1_3repE0EEENS1_30default_config_static_selectorELNS0_4arch9wavefront6targetE1EEEvT1_,comdat
	.protected	_ZN7rocprim17ROCPRIM_400000_NS6detail17trampoline_kernelINS0_14default_configENS1_35adjacent_difference_config_selectorILb1EhEEZNS1_24adjacent_difference_implIS3_Lb1ELb0EPhS7_N6thrust23THRUST_200600_302600_NS5minusIhEEEE10hipError_tPvRmT2_T3_mT4_P12ihipStream_tbEUlT_E_NS1_11comp_targetILNS1_3genE8ELNS1_11target_archE1030ELNS1_3gpuE2ELNS1_3repE0EEENS1_30default_config_static_selectorELNS0_4arch9wavefront6targetE1EEEvT1_ ; -- Begin function _ZN7rocprim17ROCPRIM_400000_NS6detail17trampoline_kernelINS0_14default_configENS1_35adjacent_difference_config_selectorILb1EhEEZNS1_24adjacent_difference_implIS3_Lb1ELb0EPhS7_N6thrust23THRUST_200600_302600_NS5minusIhEEEE10hipError_tPvRmT2_T3_mT4_P12ihipStream_tbEUlT_E_NS1_11comp_targetILNS1_3genE8ELNS1_11target_archE1030ELNS1_3gpuE2ELNS1_3repE0EEENS1_30default_config_static_selectorELNS0_4arch9wavefront6targetE1EEEvT1_
	.globl	_ZN7rocprim17ROCPRIM_400000_NS6detail17trampoline_kernelINS0_14default_configENS1_35adjacent_difference_config_selectorILb1EhEEZNS1_24adjacent_difference_implIS3_Lb1ELb0EPhS7_N6thrust23THRUST_200600_302600_NS5minusIhEEEE10hipError_tPvRmT2_T3_mT4_P12ihipStream_tbEUlT_E_NS1_11comp_targetILNS1_3genE8ELNS1_11target_archE1030ELNS1_3gpuE2ELNS1_3repE0EEENS1_30default_config_static_selectorELNS0_4arch9wavefront6targetE1EEEvT1_
	.p2align	8
	.type	_ZN7rocprim17ROCPRIM_400000_NS6detail17trampoline_kernelINS0_14default_configENS1_35adjacent_difference_config_selectorILb1EhEEZNS1_24adjacent_difference_implIS3_Lb1ELb0EPhS7_N6thrust23THRUST_200600_302600_NS5minusIhEEEE10hipError_tPvRmT2_T3_mT4_P12ihipStream_tbEUlT_E_NS1_11comp_targetILNS1_3genE8ELNS1_11target_archE1030ELNS1_3gpuE2ELNS1_3repE0EEENS1_30default_config_static_selectorELNS0_4arch9wavefront6targetE1EEEvT1_,@function
_ZN7rocprim17ROCPRIM_400000_NS6detail17trampoline_kernelINS0_14default_configENS1_35adjacent_difference_config_selectorILb1EhEEZNS1_24adjacent_difference_implIS3_Lb1ELb0EPhS7_N6thrust23THRUST_200600_302600_NS5minusIhEEEE10hipError_tPvRmT2_T3_mT4_P12ihipStream_tbEUlT_E_NS1_11comp_targetILNS1_3genE8ELNS1_11target_archE1030ELNS1_3gpuE2ELNS1_3repE0EEENS1_30default_config_static_selectorELNS0_4arch9wavefront6targetE1EEEvT1_: ; @_ZN7rocprim17ROCPRIM_400000_NS6detail17trampoline_kernelINS0_14default_configENS1_35adjacent_difference_config_selectorILb1EhEEZNS1_24adjacent_difference_implIS3_Lb1ELb0EPhS7_N6thrust23THRUST_200600_302600_NS5minusIhEEEE10hipError_tPvRmT2_T3_mT4_P12ihipStream_tbEUlT_E_NS1_11comp_targetILNS1_3genE8ELNS1_11target_archE1030ELNS1_3gpuE2ELNS1_3repE0EEENS1_30default_config_static_selectorELNS0_4arch9wavefront6targetE1EEEvT1_
; %bb.0:
	.section	.rodata,"a",@progbits
	.p2align	6, 0x0
	.amdhsa_kernel _ZN7rocprim17ROCPRIM_400000_NS6detail17trampoline_kernelINS0_14default_configENS1_35adjacent_difference_config_selectorILb1EhEEZNS1_24adjacent_difference_implIS3_Lb1ELb0EPhS7_N6thrust23THRUST_200600_302600_NS5minusIhEEEE10hipError_tPvRmT2_T3_mT4_P12ihipStream_tbEUlT_E_NS1_11comp_targetILNS1_3genE8ELNS1_11target_archE1030ELNS1_3gpuE2ELNS1_3repE0EEENS1_30default_config_static_selectorELNS0_4arch9wavefront6targetE1EEEvT1_
		.amdhsa_group_segment_fixed_size 0
		.amdhsa_private_segment_fixed_size 0
		.amdhsa_kernarg_size 56
		.amdhsa_user_sgpr_count 6
		.amdhsa_user_sgpr_private_segment_buffer 1
		.amdhsa_user_sgpr_dispatch_ptr 0
		.amdhsa_user_sgpr_queue_ptr 0
		.amdhsa_user_sgpr_kernarg_segment_ptr 1
		.amdhsa_user_sgpr_dispatch_id 0
		.amdhsa_user_sgpr_flat_scratch_init 0
		.amdhsa_user_sgpr_kernarg_preload_length 0
		.amdhsa_user_sgpr_kernarg_preload_offset 0
		.amdhsa_user_sgpr_private_segment_size 0
		.amdhsa_uses_dynamic_stack 0
		.amdhsa_system_sgpr_private_segment_wavefront_offset 0
		.amdhsa_system_sgpr_workgroup_id_x 1
		.amdhsa_system_sgpr_workgroup_id_y 0
		.amdhsa_system_sgpr_workgroup_id_z 0
		.amdhsa_system_sgpr_workgroup_info 0
		.amdhsa_system_vgpr_workitem_id 0
		.amdhsa_next_free_vgpr 1
		.amdhsa_next_free_sgpr 0
		.amdhsa_accum_offset 4
		.amdhsa_reserve_vcc 0
		.amdhsa_reserve_flat_scratch 0
		.amdhsa_float_round_mode_32 0
		.amdhsa_float_round_mode_16_64 0
		.amdhsa_float_denorm_mode_32 3
		.amdhsa_float_denorm_mode_16_64 3
		.amdhsa_dx10_clamp 1
		.amdhsa_ieee_mode 1
		.amdhsa_fp16_overflow 0
		.amdhsa_tg_split 0
		.amdhsa_exception_fp_ieee_invalid_op 0
		.amdhsa_exception_fp_denorm_src 0
		.amdhsa_exception_fp_ieee_div_zero 0
		.amdhsa_exception_fp_ieee_overflow 0
		.amdhsa_exception_fp_ieee_underflow 0
		.amdhsa_exception_fp_ieee_inexact 0
		.amdhsa_exception_int_div_zero 0
	.end_amdhsa_kernel
	.section	.text._ZN7rocprim17ROCPRIM_400000_NS6detail17trampoline_kernelINS0_14default_configENS1_35adjacent_difference_config_selectorILb1EhEEZNS1_24adjacent_difference_implIS3_Lb1ELb0EPhS7_N6thrust23THRUST_200600_302600_NS5minusIhEEEE10hipError_tPvRmT2_T3_mT4_P12ihipStream_tbEUlT_E_NS1_11comp_targetILNS1_3genE8ELNS1_11target_archE1030ELNS1_3gpuE2ELNS1_3repE0EEENS1_30default_config_static_selectorELNS0_4arch9wavefront6targetE1EEEvT1_,"axG",@progbits,_ZN7rocprim17ROCPRIM_400000_NS6detail17trampoline_kernelINS0_14default_configENS1_35adjacent_difference_config_selectorILb1EhEEZNS1_24adjacent_difference_implIS3_Lb1ELb0EPhS7_N6thrust23THRUST_200600_302600_NS5minusIhEEEE10hipError_tPvRmT2_T3_mT4_P12ihipStream_tbEUlT_E_NS1_11comp_targetILNS1_3genE8ELNS1_11target_archE1030ELNS1_3gpuE2ELNS1_3repE0EEENS1_30default_config_static_selectorELNS0_4arch9wavefront6targetE1EEEvT1_,comdat
.Lfunc_end287:
	.size	_ZN7rocprim17ROCPRIM_400000_NS6detail17trampoline_kernelINS0_14default_configENS1_35adjacent_difference_config_selectorILb1EhEEZNS1_24adjacent_difference_implIS3_Lb1ELb0EPhS7_N6thrust23THRUST_200600_302600_NS5minusIhEEEE10hipError_tPvRmT2_T3_mT4_P12ihipStream_tbEUlT_E_NS1_11comp_targetILNS1_3genE8ELNS1_11target_archE1030ELNS1_3gpuE2ELNS1_3repE0EEENS1_30default_config_static_selectorELNS0_4arch9wavefront6targetE1EEEvT1_, .Lfunc_end287-_ZN7rocprim17ROCPRIM_400000_NS6detail17trampoline_kernelINS0_14default_configENS1_35adjacent_difference_config_selectorILb1EhEEZNS1_24adjacent_difference_implIS3_Lb1ELb0EPhS7_N6thrust23THRUST_200600_302600_NS5minusIhEEEE10hipError_tPvRmT2_T3_mT4_P12ihipStream_tbEUlT_E_NS1_11comp_targetILNS1_3genE8ELNS1_11target_archE1030ELNS1_3gpuE2ELNS1_3repE0EEENS1_30default_config_static_selectorELNS0_4arch9wavefront6targetE1EEEvT1_
                                        ; -- End function
	.section	.AMDGPU.csdata,"",@progbits
; Kernel info:
; codeLenInByte = 0
; NumSgprs: 4
; NumVgprs: 0
; NumAgprs: 0
; TotalNumVgprs: 0
; ScratchSize: 0
; MemoryBound: 0
; FloatMode: 240
; IeeeMode: 1
; LDSByteSize: 0 bytes/workgroup (compile time only)
; SGPRBlocks: 0
; VGPRBlocks: 0
; NumSGPRsForWavesPerEU: 4
; NumVGPRsForWavesPerEU: 1
; AccumOffset: 4
; Occupancy: 8
; WaveLimiterHint : 0
; COMPUTE_PGM_RSRC2:SCRATCH_EN: 0
; COMPUTE_PGM_RSRC2:USER_SGPR: 6
; COMPUTE_PGM_RSRC2:TRAP_HANDLER: 0
; COMPUTE_PGM_RSRC2:TGID_X_EN: 1
; COMPUTE_PGM_RSRC2:TGID_Y_EN: 0
; COMPUTE_PGM_RSRC2:TGID_Z_EN: 0
; COMPUTE_PGM_RSRC2:TIDIG_COMP_CNT: 0
; COMPUTE_PGM_RSRC3_GFX90A:ACCUM_OFFSET: 0
; COMPUTE_PGM_RSRC3_GFX90A:TG_SPLIT: 0
	.section	.text._ZN7rocprim17ROCPRIM_400000_NS6detail17trampoline_kernelINS0_14default_configENS1_35adjacent_difference_config_selectorILb0EhEEZNS1_24adjacent_difference_implIS3_Lb0ELb0EPhS7_N6thrust23THRUST_200600_302600_NS4plusIhEEEE10hipError_tPvRmT2_T3_mT4_P12ihipStream_tbEUlT_E_NS1_11comp_targetILNS1_3genE0ELNS1_11target_archE4294967295ELNS1_3gpuE0ELNS1_3repE0EEENS1_30default_config_static_selectorELNS0_4arch9wavefront6targetE1EEEvT1_,"axG",@progbits,_ZN7rocprim17ROCPRIM_400000_NS6detail17trampoline_kernelINS0_14default_configENS1_35adjacent_difference_config_selectorILb0EhEEZNS1_24adjacent_difference_implIS3_Lb0ELb0EPhS7_N6thrust23THRUST_200600_302600_NS4plusIhEEEE10hipError_tPvRmT2_T3_mT4_P12ihipStream_tbEUlT_E_NS1_11comp_targetILNS1_3genE0ELNS1_11target_archE4294967295ELNS1_3gpuE0ELNS1_3repE0EEENS1_30default_config_static_selectorELNS0_4arch9wavefront6targetE1EEEvT1_,comdat
	.protected	_ZN7rocprim17ROCPRIM_400000_NS6detail17trampoline_kernelINS0_14default_configENS1_35adjacent_difference_config_selectorILb0EhEEZNS1_24adjacent_difference_implIS3_Lb0ELb0EPhS7_N6thrust23THRUST_200600_302600_NS4plusIhEEEE10hipError_tPvRmT2_T3_mT4_P12ihipStream_tbEUlT_E_NS1_11comp_targetILNS1_3genE0ELNS1_11target_archE4294967295ELNS1_3gpuE0ELNS1_3repE0EEENS1_30default_config_static_selectorELNS0_4arch9wavefront6targetE1EEEvT1_ ; -- Begin function _ZN7rocprim17ROCPRIM_400000_NS6detail17trampoline_kernelINS0_14default_configENS1_35adjacent_difference_config_selectorILb0EhEEZNS1_24adjacent_difference_implIS3_Lb0ELb0EPhS7_N6thrust23THRUST_200600_302600_NS4plusIhEEEE10hipError_tPvRmT2_T3_mT4_P12ihipStream_tbEUlT_E_NS1_11comp_targetILNS1_3genE0ELNS1_11target_archE4294967295ELNS1_3gpuE0ELNS1_3repE0EEENS1_30default_config_static_selectorELNS0_4arch9wavefront6targetE1EEEvT1_
	.globl	_ZN7rocprim17ROCPRIM_400000_NS6detail17trampoline_kernelINS0_14default_configENS1_35adjacent_difference_config_selectorILb0EhEEZNS1_24adjacent_difference_implIS3_Lb0ELb0EPhS7_N6thrust23THRUST_200600_302600_NS4plusIhEEEE10hipError_tPvRmT2_T3_mT4_P12ihipStream_tbEUlT_E_NS1_11comp_targetILNS1_3genE0ELNS1_11target_archE4294967295ELNS1_3gpuE0ELNS1_3repE0EEENS1_30default_config_static_selectorELNS0_4arch9wavefront6targetE1EEEvT1_
	.p2align	8
	.type	_ZN7rocprim17ROCPRIM_400000_NS6detail17trampoline_kernelINS0_14default_configENS1_35adjacent_difference_config_selectorILb0EhEEZNS1_24adjacent_difference_implIS3_Lb0ELb0EPhS7_N6thrust23THRUST_200600_302600_NS4plusIhEEEE10hipError_tPvRmT2_T3_mT4_P12ihipStream_tbEUlT_E_NS1_11comp_targetILNS1_3genE0ELNS1_11target_archE4294967295ELNS1_3gpuE0ELNS1_3repE0EEENS1_30default_config_static_selectorELNS0_4arch9wavefront6targetE1EEEvT1_,@function
_ZN7rocprim17ROCPRIM_400000_NS6detail17trampoline_kernelINS0_14default_configENS1_35adjacent_difference_config_selectorILb0EhEEZNS1_24adjacent_difference_implIS3_Lb0ELb0EPhS7_N6thrust23THRUST_200600_302600_NS4plusIhEEEE10hipError_tPvRmT2_T3_mT4_P12ihipStream_tbEUlT_E_NS1_11comp_targetILNS1_3genE0ELNS1_11target_archE4294967295ELNS1_3gpuE0ELNS1_3repE0EEENS1_30default_config_static_selectorELNS0_4arch9wavefront6targetE1EEEvT1_: ; @_ZN7rocprim17ROCPRIM_400000_NS6detail17trampoline_kernelINS0_14default_configENS1_35adjacent_difference_config_selectorILb0EhEEZNS1_24adjacent_difference_implIS3_Lb0ELb0EPhS7_N6thrust23THRUST_200600_302600_NS4plusIhEEEE10hipError_tPvRmT2_T3_mT4_P12ihipStream_tbEUlT_E_NS1_11comp_targetILNS1_3genE0ELNS1_11target_archE4294967295ELNS1_3gpuE0ELNS1_3repE0EEENS1_30default_config_static_selectorELNS0_4arch9wavefront6targetE1EEEvT1_
; %bb.0:
	.section	.rodata,"a",@progbits
	.p2align	6, 0x0
	.amdhsa_kernel _ZN7rocprim17ROCPRIM_400000_NS6detail17trampoline_kernelINS0_14default_configENS1_35adjacent_difference_config_selectorILb0EhEEZNS1_24adjacent_difference_implIS3_Lb0ELb0EPhS7_N6thrust23THRUST_200600_302600_NS4plusIhEEEE10hipError_tPvRmT2_T3_mT4_P12ihipStream_tbEUlT_E_NS1_11comp_targetILNS1_3genE0ELNS1_11target_archE4294967295ELNS1_3gpuE0ELNS1_3repE0EEENS1_30default_config_static_selectorELNS0_4arch9wavefront6targetE1EEEvT1_
		.amdhsa_group_segment_fixed_size 0
		.amdhsa_private_segment_fixed_size 0
		.amdhsa_kernarg_size 56
		.amdhsa_user_sgpr_count 6
		.amdhsa_user_sgpr_private_segment_buffer 1
		.amdhsa_user_sgpr_dispatch_ptr 0
		.amdhsa_user_sgpr_queue_ptr 0
		.amdhsa_user_sgpr_kernarg_segment_ptr 1
		.amdhsa_user_sgpr_dispatch_id 0
		.amdhsa_user_sgpr_flat_scratch_init 0
		.amdhsa_user_sgpr_kernarg_preload_length 0
		.amdhsa_user_sgpr_kernarg_preload_offset 0
		.amdhsa_user_sgpr_private_segment_size 0
		.amdhsa_uses_dynamic_stack 0
		.amdhsa_system_sgpr_private_segment_wavefront_offset 0
		.amdhsa_system_sgpr_workgroup_id_x 1
		.amdhsa_system_sgpr_workgroup_id_y 0
		.amdhsa_system_sgpr_workgroup_id_z 0
		.amdhsa_system_sgpr_workgroup_info 0
		.amdhsa_system_vgpr_workitem_id 0
		.amdhsa_next_free_vgpr 1
		.amdhsa_next_free_sgpr 0
		.amdhsa_accum_offset 4
		.amdhsa_reserve_vcc 0
		.amdhsa_reserve_flat_scratch 0
		.amdhsa_float_round_mode_32 0
		.amdhsa_float_round_mode_16_64 0
		.amdhsa_float_denorm_mode_32 3
		.amdhsa_float_denorm_mode_16_64 3
		.amdhsa_dx10_clamp 1
		.amdhsa_ieee_mode 1
		.amdhsa_fp16_overflow 0
		.amdhsa_tg_split 0
		.amdhsa_exception_fp_ieee_invalid_op 0
		.amdhsa_exception_fp_denorm_src 0
		.amdhsa_exception_fp_ieee_div_zero 0
		.amdhsa_exception_fp_ieee_overflow 0
		.amdhsa_exception_fp_ieee_underflow 0
		.amdhsa_exception_fp_ieee_inexact 0
		.amdhsa_exception_int_div_zero 0
	.end_amdhsa_kernel
	.section	.text._ZN7rocprim17ROCPRIM_400000_NS6detail17trampoline_kernelINS0_14default_configENS1_35adjacent_difference_config_selectorILb0EhEEZNS1_24adjacent_difference_implIS3_Lb0ELb0EPhS7_N6thrust23THRUST_200600_302600_NS4plusIhEEEE10hipError_tPvRmT2_T3_mT4_P12ihipStream_tbEUlT_E_NS1_11comp_targetILNS1_3genE0ELNS1_11target_archE4294967295ELNS1_3gpuE0ELNS1_3repE0EEENS1_30default_config_static_selectorELNS0_4arch9wavefront6targetE1EEEvT1_,"axG",@progbits,_ZN7rocprim17ROCPRIM_400000_NS6detail17trampoline_kernelINS0_14default_configENS1_35adjacent_difference_config_selectorILb0EhEEZNS1_24adjacent_difference_implIS3_Lb0ELb0EPhS7_N6thrust23THRUST_200600_302600_NS4plusIhEEEE10hipError_tPvRmT2_T3_mT4_P12ihipStream_tbEUlT_E_NS1_11comp_targetILNS1_3genE0ELNS1_11target_archE4294967295ELNS1_3gpuE0ELNS1_3repE0EEENS1_30default_config_static_selectorELNS0_4arch9wavefront6targetE1EEEvT1_,comdat
.Lfunc_end288:
	.size	_ZN7rocprim17ROCPRIM_400000_NS6detail17trampoline_kernelINS0_14default_configENS1_35adjacent_difference_config_selectorILb0EhEEZNS1_24adjacent_difference_implIS3_Lb0ELb0EPhS7_N6thrust23THRUST_200600_302600_NS4plusIhEEEE10hipError_tPvRmT2_T3_mT4_P12ihipStream_tbEUlT_E_NS1_11comp_targetILNS1_3genE0ELNS1_11target_archE4294967295ELNS1_3gpuE0ELNS1_3repE0EEENS1_30default_config_static_selectorELNS0_4arch9wavefront6targetE1EEEvT1_, .Lfunc_end288-_ZN7rocprim17ROCPRIM_400000_NS6detail17trampoline_kernelINS0_14default_configENS1_35adjacent_difference_config_selectorILb0EhEEZNS1_24adjacent_difference_implIS3_Lb0ELb0EPhS7_N6thrust23THRUST_200600_302600_NS4plusIhEEEE10hipError_tPvRmT2_T3_mT4_P12ihipStream_tbEUlT_E_NS1_11comp_targetILNS1_3genE0ELNS1_11target_archE4294967295ELNS1_3gpuE0ELNS1_3repE0EEENS1_30default_config_static_selectorELNS0_4arch9wavefront6targetE1EEEvT1_
                                        ; -- End function
	.section	.AMDGPU.csdata,"",@progbits
; Kernel info:
; codeLenInByte = 0
; NumSgprs: 4
; NumVgprs: 0
; NumAgprs: 0
; TotalNumVgprs: 0
; ScratchSize: 0
; MemoryBound: 0
; FloatMode: 240
; IeeeMode: 1
; LDSByteSize: 0 bytes/workgroup (compile time only)
; SGPRBlocks: 0
; VGPRBlocks: 0
; NumSGPRsForWavesPerEU: 4
; NumVGPRsForWavesPerEU: 1
; AccumOffset: 4
; Occupancy: 8
; WaveLimiterHint : 0
; COMPUTE_PGM_RSRC2:SCRATCH_EN: 0
; COMPUTE_PGM_RSRC2:USER_SGPR: 6
; COMPUTE_PGM_RSRC2:TRAP_HANDLER: 0
; COMPUTE_PGM_RSRC2:TGID_X_EN: 1
; COMPUTE_PGM_RSRC2:TGID_Y_EN: 0
; COMPUTE_PGM_RSRC2:TGID_Z_EN: 0
; COMPUTE_PGM_RSRC2:TIDIG_COMP_CNT: 0
; COMPUTE_PGM_RSRC3_GFX90A:ACCUM_OFFSET: 0
; COMPUTE_PGM_RSRC3_GFX90A:TG_SPLIT: 0
	.section	.text._ZN7rocprim17ROCPRIM_400000_NS6detail17trampoline_kernelINS0_14default_configENS1_35adjacent_difference_config_selectorILb0EhEEZNS1_24adjacent_difference_implIS3_Lb0ELb0EPhS7_N6thrust23THRUST_200600_302600_NS4plusIhEEEE10hipError_tPvRmT2_T3_mT4_P12ihipStream_tbEUlT_E_NS1_11comp_targetILNS1_3genE10ELNS1_11target_archE1201ELNS1_3gpuE5ELNS1_3repE0EEENS1_30default_config_static_selectorELNS0_4arch9wavefront6targetE1EEEvT1_,"axG",@progbits,_ZN7rocprim17ROCPRIM_400000_NS6detail17trampoline_kernelINS0_14default_configENS1_35adjacent_difference_config_selectorILb0EhEEZNS1_24adjacent_difference_implIS3_Lb0ELb0EPhS7_N6thrust23THRUST_200600_302600_NS4plusIhEEEE10hipError_tPvRmT2_T3_mT4_P12ihipStream_tbEUlT_E_NS1_11comp_targetILNS1_3genE10ELNS1_11target_archE1201ELNS1_3gpuE5ELNS1_3repE0EEENS1_30default_config_static_selectorELNS0_4arch9wavefront6targetE1EEEvT1_,comdat
	.protected	_ZN7rocprim17ROCPRIM_400000_NS6detail17trampoline_kernelINS0_14default_configENS1_35adjacent_difference_config_selectorILb0EhEEZNS1_24adjacent_difference_implIS3_Lb0ELb0EPhS7_N6thrust23THRUST_200600_302600_NS4plusIhEEEE10hipError_tPvRmT2_T3_mT4_P12ihipStream_tbEUlT_E_NS1_11comp_targetILNS1_3genE10ELNS1_11target_archE1201ELNS1_3gpuE5ELNS1_3repE0EEENS1_30default_config_static_selectorELNS0_4arch9wavefront6targetE1EEEvT1_ ; -- Begin function _ZN7rocprim17ROCPRIM_400000_NS6detail17trampoline_kernelINS0_14default_configENS1_35adjacent_difference_config_selectorILb0EhEEZNS1_24adjacent_difference_implIS3_Lb0ELb0EPhS7_N6thrust23THRUST_200600_302600_NS4plusIhEEEE10hipError_tPvRmT2_T3_mT4_P12ihipStream_tbEUlT_E_NS1_11comp_targetILNS1_3genE10ELNS1_11target_archE1201ELNS1_3gpuE5ELNS1_3repE0EEENS1_30default_config_static_selectorELNS0_4arch9wavefront6targetE1EEEvT1_
	.globl	_ZN7rocprim17ROCPRIM_400000_NS6detail17trampoline_kernelINS0_14default_configENS1_35adjacent_difference_config_selectorILb0EhEEZNS1_24adjacent_difference_implIS3_Lb0ELb0EPhS7_N6thrust23THRUST_200600_302600_NS4plusIhEEEE10hipError_tPvRmT2_T3_mT4_P12ihipStream_tbEUlT_E_NS1_11comp_targetILNS1_3genE10ELNS1_11target_archE1201ELNS1_3gpuE5ELNS1_3repE0EEENS1_30default_config_static_selectorELNS0_4arch9wavefront6targetE1EEEvT1_
	.p2align	8
	.type	_ZN7rocprim17ROCPRIM_400000_NS6detail17trampoline_kernelINS0_14default_configENS1_35adjacent_difference_config_selectorILb0EhEEZNS1_24adjacent_difference_implIS3_Lb0ELb0EPhS7_N6thrust23THRUST_200600_302600_NS4plusIhEEEE10hipError_tPvRmT2_T3_mT4_P12ihipStream_tbEUlT_E_NS1_11comp_targetILNS1_3genE10ELNS1_11target_archE1201ELNS1_3gpuE5ELNS1_3repE0EEENS1_30default_config_static_selectorELNS0_4arch9wavefront6targetE1EEEvT1_,@function
_ZN7rocprim17ROCPRIM_400000_NS6detail17trampoline_kernelINS0_14default_configENS1_35adjacent_difference_config_selectorILb0EhEEZNS1_24adjacent_difference_implIS3_Lb0ELb0EPhS7_N6thrust23THRUST_200600_302600_NS4plusIhEEEE10hipError_tPvRmT2_T3_mT4_P12ihipStream_tbEUlT_E_NS1_11comp_targetILNS1_3genE10ELNS1_11target_archE1201ELNS1_3gpuE5ELNS1_3repE0EEENS1_30default_config_static_selectorELNS0_4arch9wavefront6targetE1EEEvT1_: ; @_ZN7rocprim17ROCPRIM_400000_NS6detail17trampoline_kernelINS0_14default_configENS1_35adjacent_difference_config_selectorILb0EhEEZNS1_24adjacent_difference_implIS3_Lb0ELb0EPhS7_N6thrust23THRUST_200600_302600_NS4plusIhEEEE10hipError_tPvRmT2_T3_mT4_P12ihipStream_tbEUlT_E_NS1_11comp_targetILNS1_3genE10ELNS1_11target_archE1201ELNS1_3gpuE5ELNS1_3repE0EEENS1_30default_config_static_selectorELNS0_4arch9wavefront6targetE1EEEvT1_
; %bb.0:
	.section	.rodata,"a",@progbits
	.p2align	6, 0x0
	.amdhsa_kernel _ZN7rocprim17ROCPRIM_400000_NS6detail17trampoline_kernelINS0_14default_configENS1_35adjacent_difference_config_selectorILb0EhEEZNS1_24adjacent_difference_implIS3_Lb0ELb0EPhS7_N6thrust23THRUST_200600_302600_NS4plusIhEEEE10hipError_tPvRmT2_T3_mT4_P12ihipStream_tbEUlT_E_NS1_11comp_targetILNS1_3genE10ELNS1_11target_archE1201ELNS1_3gpuE5ELNS1_3repE0EEENS1_30default_config_static_selectorELNS0_4arch9wavefront6targetE1EEEvT1_
		.amdhsa_group_segment_fixed_size 0
		.amdhsa_private_segment_fixed_size 0
		.amdhsa_kernarg_size 56
		.amdhsa_user_sgpr_count 6
		.amdhsa_user_sgpr_private_segment_buffer 1
		.amdhsa_user_sgpr_dispatch_ptr 0
		.amdhsa_user_sgpr_queue_ptr 0
		.amdhsa_user_sgpr_kernarg_segment_ptr 1
		.amdhsa_user_sgpr_dispatch_id 0
		.amdhsa_user_sgpr_flat_scratch_init 0
		.amdhsa_user_sgpr_kernarg_preload_length 0
		.amdhsa_user_sgpr_kernarg_preload_offset 0
		.amdhsa_user_sgpr_private_segment_size 0
		.amdhsa_uses_dynamic_stack 0
		.amdhsa_system_sgpr_private_segment_wavefront_offset 0
		.amdhsa_system_sgpr_workgroup_id_x 1
		.amdhsa_system_sgpr_workgroup_id_y 0
		.amdhsa_system_sgpr_workgroup_id_z 0
		.amdhsa_system_sgpr_workgroup_info 0
		.amdhsa_system_vgpr_workitem_id 0
		.amdhsa_next_free_vgpr 1
		.amdhsa_next_free_sgpr 0
		.amdhsa_accum_offset 4
		.amdhsa_reserve_vcc 0
		.amdhsa_reserve_flat_scratch 0
		.amdhsa_float_round_mode_32 0
		.amdhsa_float_round_mode_16_64 0
		.amdhsa_float_denorm_mode_32 3
		.amdhsa_float_denorm_mode_16_64 3
		.amdhsa_dx10_clamp 1
		.amdhsa_ieee_mode 1
		.amdhsa_fp16_overflow 0
		.amdhsa_tg_split 0
		.amdhsa_exception_fp_ieee_invalid_op 0
		.amdhsa_exception_fp_denorm_src 0
		.amdhsa_exception_fp_ieee_div_zero 0
		.amdhsa_exception_fp_ieee_overflow 0
		.amdhsa_exception_fp_ieee_underflow 0
		.amdhsa_exception_fp_ieee_inexact 0
		.amdhsa_exception_int_div_zero 0
	.end_amdhsa_kernel
	.section	.text._ZN7rocprim17ROCPRIM_400000_NS6detail17trampoline_kernelINS0_14default_configENS1_35adjacent_difference_config_selectorILb0EhEEZNS1_24adjacent_difference_implIS3_Lb0ELb0EPhS7_N6thrust23THRUST_200600_302600_NS4plusIhEEEE10hipError_tPvRmT2_T3_mT4_P12ihipStream_tbEUlT_E_NS1_11comp_targetILNS1_3genE10ELNS1_11target_archE1201ELNS1_3gpuE5ELNS1_3repE0EEENS1_30default_config_static_selectorELNS0_4arch9wavefront6targetE1EEEvT1_,"axG",@progbits,_ZN7rocprim17ROCPRIM_400000_NS6detail17trampoline_kernelINS0_14default_configENS1_35adjacent_difference_config_selectorILb0EhEEZNS1_24adjacent_difference_implIS3_Lb0ELb0EPhS7_N6thrust23THRUST_200600_302600_NS4plusIhEEEE10hipError_tPvRmT2_T3_mT4_P12ihipStream_tbEUlT_E_NS1_11comp_targetILNS1_3genE10ELNS1_11target_archE1201ELNS1_3gpuE5ELNS1_3repE0EEENS1_30default_config_static_selectorELNS0_4arch9wavefront6targetE1EEEvT1_,comdat
.Lfunc_end289:
	.size	_ZN7rocprim17ROCPRIM_400000_NS6detail17trampoline_kernelINS0_14default_configENS1_35adjacent_difference_config_selectorILb0EhEEZNS1_24adjacent_difference_implIS3_Lb0ELb0EPhS7_N6thrust23THRUST_200600_302600_NS4plusIhEEEE10hipError_tPvRmT2_T3_mT4_P12ihipStream_tbEUlT_E_NS1_11comp_targetILNS1_3genE10ELNS1_11target_archE1201ELNS1_3gpuE5ELNS1_3repE0EEENS1_30default_config_static_selectorELNS0_4arch9wavefront6targetE1EEEvT1_, .Lfunc_end289-_ZN7rocprim17ROCPRIM_400000_NS6detail17trampoline_kernelINS0_14default_configENS1_35adjacent_difference_config_selectorILb0EhEEZNS1_24adjacent_difference_implIS3_Lb0ELb0EPhS7_N6thrust23THRUST_200600_302600_NS4plusIhEEEE10hipError_tPvRmT2_T3_mT4_P12ihipStream_tbEUlT_E_NS1_11comp_targetILNS1_3genE10ELNS1_11target_archE1201ELNS1_3gpuE5ELNS1_3repE0EEENS1_30default_config_static_selectorELNS0_4arch9wavefront6targetE1EEEvT1_
                                        ; -- End function
	.section	.AMDGPU.csdata,"",@progbits
; Kernel info:
; codeLenInByte = 0
; NumSgprs: 4
; NumVgprs: 0
; NumAgprs: 0
; TotalNumVgprs: 0
; ScratchSize: 0
; MemoryBound: 0
; FloatMode: 240
; IeeeMode: 1
; LDSByteSize: 0 bytes/workgroup (compile time only)
; SGPRBlocks: 0
; VGPRBlocks: 0
; NumSGPRsForWavesPerEU: 4
; NumVGPRsForWavesPerEU: 1
; AccumOffset: 4
; Occupancy: 8
; WaveLimiterHint : 0
; COMPUTE_PGM_RSRC2:SCRATCH_EN: 0
; COMPUTE_PGM_RSRC2:USER_SGPR: 6
; COMPUTE_PGM_RSRC2:TRAP_HANDLER: 0
; COMPUTE_PGM_RSRC2:TGID_X_EN: 1
; COMPUTE_PGM_RSRC2:TGID_Y_EN: 0
; COMPUTE_PGM_RSRC2:TGID_Z_EN: 0
; COMPUTE_PGM_RSRC2:TIDIG_COMP_CNT: 0
; COMPUTE_PGM_RSRC3_GFX90A:ACCUM_OFFSET: 0
; COMPUTE_PGM_RSRC3_GFX90A:TG_SPLIT: 0
	.section	.text._ZN7rocprim17ROCPRIM_400000_NS6detail17trampoline_kernelINS0_14default_configENS1_35adjacent_difference_config_selectorILb0EhEEZNS1_24adjacent_difference_implIS3_Lb0ELb0EPhS7_N6thrust23THRUST_200600_302600_NS4plusIhEEEE10hipError_tPvRmT2_T3_mT4_P12ihipStream_tbEUlT_E_NS1_11comp_targetILNS1_3genE5ELNS1_11target_archE942ELNS1_3gpuE9ELNS1_3repE0EEENS1_30default_config_static_selectorELNS0_4arch9wavefront6targetE1EEEvT1_,"axG",@progbits,_ZN7rocprim17ROCPRIM_400000_NS6detail17trampoline_kernelINS0_14default_configENS1_35adjacent_difference_config_selectorILb0EhEEZNS1_24adjacent_difference_implIS3_Lb0ELb0EPhS7_N6thrust23THRUST_200600_302600_NS4plusIhEEEE10hipError_tPvRmT2_T3_mT4_P12ihipStream_tbEUlT_E_NS1_11comp_targetILNS1_3genE5ELNS1_11target_archE942ELNS1_3gpuE9ELNS1_3repE0EEENS1_30default_config_static_selectorELNS0_4arch9wavefront6targetE1EEEvT1_,comdat
	.protected	_ZN7rocprim17ROCPRIM_400000_NS6detail17trampoline_kernelINS0_14default_configENS1_35adjacent_difference_config_selectorILb0EhEEZNS1_24adjacent_difference_implIS3_Lb0ELb0EPhS7_N6thrust23THRUST_200600_302600_NS4plusIhEEEE10hipError_tPvRmT2_T3_mT4_P12ihipStream_tbEUlT_E_NS1_11comp_targetILNS1_3genE5ELNS1_11target_archE942ELNS1_3gpuE9ELNS1_3repE0EEENS1_30default_config_static_selectorELNS0_4arch9wavefront6targetE1EEEvT1_ ; -- Begin function _ZN7rocprim17ROCPRIM_400000_NS6detail17trampoline_kernelINS0_14default_configENS1_35adjacent_difference_config_selectorILb0EhEEZNS1_24adjacent_difference_implIS3_Lb0ELb0EPhS7_N6thrust23THRUST_200600_302600_NS4plusIhEEEE10hipError_tPvRmT2_T3_mT4_P12ihipStream_tbEUlT_E_NS1_11comp_targetILNS1_3genE5ELNS1_11target_archE942ELNS1_3gpuE9ELNS1_3repE0EEENS1_30default_config_static_selectorELNS0_4arch9wavefront6targetE1EEEvT1_
	.globl	_ZN7rocprim17ROCPRIM_400000_NS6detail17trampoline_kernelINS0_14default_configENS1_35adjacent_difference_config_selectorILb0EhEEZNS1_24adjacent_difference_implIS3_Lb0ELb0EPhS7_N6thrust23THRUST_200600_302600_NS4plusIhEEEE10hipError_tPvRmT2_T3_mT4_P12ihipStream_tbEUlT_E_NS1_11comp_targetILNS1_3genE5ELNS1_11target_archE942ELNS1_3gpuE9ELNS1_3repE0EEENS1_30default_config_static_selectorELNS0_4arch9wavefront6targetE1EEEvT1_
	.p2align	8
	.type	_ZN7rocprim17ROCPRIM_400000_NS6detail17trampoline_kernelINS0_14default_configENS1_35adjacent_difference_config_selectorILb0EhEEZNS1_24adjacent_difference_implIS3_Lb0ELb0EPhS7_N6thrust23THRUST_200600_302600_NS4plusIhEEEE10hipError_tPvRmT2_T3_mT4_P12ihipStream_tbEUlT_E_NS1_11comp_targetILNS1_3genE5ELNS1_11target_archE942ELNS1_3gpuE9ELNS1_3repE0EEENS1_30default_config_static_selectorELNS0_4arch9wavefront6targetE1EEEvT1_,@function
_ZN7rocprim17ROCPRIM_400000_NS6detail17trampoline_kernelINS0_14default_configENS1_35adjacent_difference_config_selectorILb0EhEEZNS1_24adjacent_difference_implIS3_Lb0ELb0EPhS7_N6thrust23THRUST_200600_302600_NS4plusIhEEEE10hipError_tPvRmT2_T3_mT4_P12ihipStream_tbEUlT_E_NS1_11comp_targetILNS1_3genE5ELNS1_11target_archE942ELNS1_3gpuE9ELNS1_3repE0EEENS1_30default_config_static_selectorELNS0_4arch9wavefront6targetE1EEEvT1_: ; @_ZN7rocprim17ROCPRIM_400000_NS6detail17trampoline_kernelINS0_14default_configENS1_35adjacent_difference_config_selectorILb0EhEEZNS1_24adjacent_difference_implIS3_Lb0ELb0EPhS7_N6thrust23THRUST_200600_302600_NS4plusIhEEEE10hipError_tPvRmT2_T3_mT4_P12ihipStream_tbEUlT_E_NS1_11comp_targetILNS1_3genE5ELNS1_11target_archE942ELNS1_3gpuE9ELNS1_3repE0EEENS1_30default_config_static_selectorELNS0_4arch9wavefront6targetE1EEEvT1_
; %bb.0:
	.section	.rodata,"a",@progbits
	.p2align	6, 0x0
	.amdhsa_kernel _ZN7rocprim17ROCPRIM_400000_NS6detail17trampoline_kernelINS0_14default_configENS1_35adjacent_difference_config_selectorILb0EhEEZNS1_24adjacent_difference_implIS3_Lb0ELb0EPhS7_N6thrust23THRUST_200600_302600_NS4plusIhEEEE10hipError_tPvRmT2_T3_mT4_P12ihipStream_tbEUlT_E_NS1_11comp_targetILNS1_3genE5ELNS1_11target_archE942ELNS1_3gpuE9ELNS1_3repE0EEENS1_30default_config_static_selectorELNS0_4arch9wavefront6targetE1EEEvT1_
		.amdhsa_group_segment_fixed_size 0
		.amdhsa_private_segment_fixed_size 0
		.amdhsa_kernarg_size 56
		.amdhsa_user_sgpr_count 6
		.amdhsa_user_sgpr_private_segment_buffer 1
		.amdhsa_user_sgpr_dispatch_ptr 0
		.amdhsa_user_sgpr_queue_ptr 0
		.amdhsa_user_sgpr_kernarg_segment_ptr 1
		.amdhsa_user_sgpr_dispatch_id 0
		.amdhsa_user_sgpr_flat_scratch_init 0
		.amdhsa_user_sgpr_kernarg_preload_length 0
		.amdhsa_user_sgpr_kernarg_preload_offset 0
		.amdhsa_user_sgpr_private_segment_size 0
		.amdhsa_uses_dynamic_stack 0
		.amdhsa_system_sgpr_private_segment_wavefront_offset 0
		.amdhsa_system_sgpr_workgroup_id_x 1
		.amdhsa_system_sgpr_workgroup_id_y 0
		.amdhsa_system_sgpr_workgroup_id_z 0
		.amdhsa_system_sgpr_workgroup_info 0
		.amdhsa_system_vgpr_workitem_id 0
		.amdhsa_next_free_vgpr 1
		.amdhsa_next_free_sgpr 0
		.amdhsa_accum_offset 4
		.amdhsa_reserve_vcc 0
		.amdhsa_reserve_flat_scratch 0
		.amdhsa_float_round_mode_32 0
		.amdhsa_float_round_mode_16_64 0
		.amdhsa_float_denorm_mode_32 3
		.amdhsa_float_denorm_mode_16_64 3
		.amdhsa_dx10_clamp 1
		.amdhsa_ieee_mode 1
		.amdhsa_fp16_overflow 0
		.amdhsa_tg_split 0
		.amdhsa_exception_fp_ieee_invalid_op 0
		.amdhsa_exception_fp_denorm_src 0
		.amdhsa_exception_fp_ieee_div_zero 0
		.amdhsa_exception_fp_ieee_overflow 0
		.amdhsa_exception_fp_ieee_underflow 0
		.amdhsa_exception_fp_ieee_inexact 0
		.amdhsa_exception_int_div_zero 0
	.end_amdhsa_kernel
	.section	.text._ZN7rocprim17ROCPRIM_400000_NS6detail17trampoline_kernelINS0_14default_configENS1_35adjacent_difference_config_selectorILb0EhEEZNS1_24adjacent_difference_implIS3_Lb0ELb0EPhS7_N6thrust23THRUST_200600_302600_NS4plusIhEEEE10hipError_tPvRmT2_T3_mT4_P12ihipStream_tbEUlT_E_NS1_11comp_targetILNS1_3genE5ELNS1_11target_archE942ELNS1_3gpuE9ELNS1_3repE0EEENS1_30default_config_static_selectorELNS0_4arch9wavefront6targetE1EEEvT1_,"axG",@progbits,_ZN7rocprim17ROCPRIM_400000_NS6detail17trampoline_kernelINS0_14default_configENS1_35adjacent_difference_config_selectorILb0EhEEZNS1_24adjacent_difference_implIS3_Lb0ELb0EPhS7_N6thrust23THRUST_200600_302600_NS4plusIhEEEE10hipError_tPvRmT2_T3_mT4_P12ihipStream_tbEUlT_E_NS1_11comp_targetILNS1_3genE5ELNS1_11target_archE942ELNS1_3gpuE9ELNS1_3repE0EEENS1_30default_config_static_selectorELNS0_4arch9wavefront6targetE1EEEvT1_,comdat
.Lfunc_end290:
	.size	_ZN7rocprim17ROCPRIM_400000_NS6detail17trampoline_kernelINS0_14default_configENS1_35adjacent_difference_config_selectorILb0EhEEZNS1_24adjacent_difference_implIS3_Lb0ELb0EPhS7_N6thrust23THRUST_200600_302600_NS4plusIhEEEE10hipError_tPvRmT2_T3_mT4_P12ihipStream_tbEUlT_E_NS1_11comp_targetILNS1_3genE5ELNS1_11target_archE942ELNS1_3gpuE9ELNS1_3repE0EEENS1_30default_config_static_selectorELNS0_4arch9wavefront6targetE1EEEvT1_, .Lfunc_end290-_ZN7rocprim17ROCPRIM_400000_NS6detail17trampoline_kernelINS0_14default_configENS1_35adjacent_difference_config_selectorILb0EhEEZNS1_24adjacent_difference_implIS3_Lb0ELb0EPhS7_N6thrust23THRUST_200600_302600_NS4plusIhEEEE10hipError_tPvRmT2_T3_mT4_P12ihipStream_tbEUlT_E_NS1_11comp_targetILNS1_3genE5ELNS1_11target_archE942ELNS1_3gpuE9ELNS1_3repE0EEENS1_30default_config_static_selectorELNS0_4arch9wavefront6targetE1EEEvT1_
                                        ; -- End function
	.section	.AMDGPU.csdata,"",@progbits
; Kernel info:
; codeLenInByte = 0
; NumSgprs: 4
; NumVgprs: 0
; NumAgprs: 0
; TotalNumVgprs: 0
; ScratchSize: 0
; MemoryBound: 0
; FloatMode: 240
; IeeeMode: 1
; LDSByteSize: 0 bytes/workgroup (compile time only)
; SGPRBlocks: 0
; VGPRBlocks: 0
; NumSGPRsForWavesPerEU: 4
; NumVGPRsForWavesPerEU: 1
; AccumOffset: 4
; Occupancy: 8
; WaveLimiterHint : 0
; COMPUTE_PGM_RSRC2:SCRATCH_EN: 0
; COMPUTE_PGM_RSRC2:USER_SGPR: 6
; COMPUTE_PGM_RSRC2:TRAP_HANDLER: 0
; COMPUTE_PGM_RSRC2:TGID_X_EN: 1
; COMPUTE_PGM_RSRC2:TGID_Y_EN: 0
; COMPUTE_PGM_RSRC2:TGID_Z_EN: 0
; COMPUTE_PGM_RSRC2:TIDIG_COMP_CNT: 0
; COMPUTE_PGM_RSRC3_GFX90A:ACCUM_OFFSET: 0
; COMPUTE_PGM_RSRC3_GFX90A:TG_SPLIT: 0
	.section	.text._ZN7rocprim17ROCPRIM_400000_NS6detail17trampoline_kernelINS0_14default_configENS1_35adjacent_difference_config_selectorILb0EhEEZNS1_24adjacent_difference_implIS3_Lb0ELb0EPhS7_N6thrust23THRUST_200600_302600_NS4plusIhEEEE10hipError_tPvRmT2_T3_mT4_P12ihipStream_tbEUlT_E_NS1_11comp_targetILNS1_3genE4ELNS1_11target_archE910ELNS1_3gpuE8ELNS1_3repE0EEENS1_30default_config_static_selectorELNS0_4arch9wavefront6targetE1EEEvT1_,"axG",@progbits,_ZN7rocprim17ROCPRIM_400000_NS6detail17trampoline_kernelINS0_14default_configENS1_35adjacent_difference_config_selectorILb0EhEEZNS1_24adjacent_difference_implIS3_Lb0ELb0EPhS7_N6thrust23THRUST_200600_302600_NS4plusIhEEEE10hipError_tPvRmT2_T3_mT4_P12ihipStream_tbEUlT_E_NS1_11comp_targetILNS1_3genE4ELNS1_11target_archE910ELNS1_3gpuE8ELNS1_3repE0EEENS1_30default_config_static_selectorELNS0_4arch9wavefront6targetE1EEEvT1_,comdat
	.protected	_ZN7rocprim17ROCPRIM_400000_NS6detail17trampoline_kernelINS0_14default_configENS1_35adjacent_difference_config_selectorILb0EhEEZNS1_24adjacent_difference_implIS3_Lb0ELb0EPhS7_N6thrust23THRUST_200600_302600_NS4plusIhEEEE10hipError_tPvRmT2_T3_mT4_P12ihipStream_tbEUlT_E_NS1_11comp_targetILNS1_3genE4ELNS1_11target_archE910ELNS1_3gpuE8ELNS1_3repE0EEENS1_30default_config_static_selectorELNS0_4arch9wavefront6targetE1EEEvT1_ ; -- Begin function _ZN7rocprim17ROCPRIM_400000_NS6detail17trampoline_kernelINS0_14default_configENS1_35adjacent_difference_config_selectorILb0EhEEZNS1_24adjacent_difference_implIS3_Lb0ELb0EPhS7_N6thrust23THRUST_200600_302600_NS4plusIhEEEE10hipError_tPvRmT2_T3_mT4_P12ihipStream_tbEUlT_E_NS1_11comp_targetILNS1_3genE4ELNS1_11target_archE910ELNS1_3gpuE8ELNS1_3repE0EEENS1_30default_config_static_selectorELNS0_4arch9wavefront6targetE1EEEvT1_
	.globl	_ZN7rocprim17ROCPRIM_400000_NS6detail17trampoline_kernelINS0_14default_configENS1_35adjacent_difference_config_selectorILb0EhEEZNS1_24adjacent_difference_implIS3_Lb0ELb0EPhS7_N6thrust23THRUST_200600_302600_NS4plusIhEEEE10hipError_tPvRmT2_T3_mT4_P12ihipStream_tbEUlT_E_NS1_11comp_targetILNS1_3genE4ELNS1_11target_archE910ELNS1_3gpuE8ELNS1_3repE0EEENS1_30default_config_static_selectorELNS0_4arch9wavefront6targetE1EEEvT1_
	.p2align	8
	.type	_ZN7rocprim17ROCPRIM_400000_NS6detail17trampoline_kernelINS0_14default_configENS1_35adjacent_difference_config_selectorILb0EhEEZNS1_24adjacent_difference_implIS3_Lb0ELb0EPhS7_N6thrust23THRUST_200600_302600_NS4plusIhEEEE10hipError_tPvRmT2_T3_mT4_P12ihipStream_tbEUlT_E_NS1_11comp_targetILNS1_3genE4ELNS1_11target_archE910ELNS1_3gpuE8ELNS1_3repE0EEENS1_30default_config_static_selectorELNS0_4arch9wavefront6targetE1EEEvT1_,@function
_ZN7rocprim17ROCPRIM_400000_NS6detail17trampoline_kernelINS0_14default_configENS1_35adjacent_difference_config_selectorILb0EhEEZNS1_24adjacent_difference_implIS3_Lb0ELb0EPhS7_N6thrust23THRUST_200600_302600_NS4plusIhEEEE10hipError_tPvRmT2_T3_mT4_P12ihipStream_tbEUlT_E_NS1_11comp_targetILNS1_3genE4ELNS1_11target_archE910ELNS1_3gpuE8ELNS1_3repE0EEENS1_30default_config_static_selectorELNS0_4arch9wavefront6targetE1EEEvT1_: ; @_ZN7rocprim17ROCPRIM_400000_NS6detail17trampoline_kernelINS0_14default_configENS1_35adjacent_difference_config_selectorILb0EhEEZNS1_24adjacent_difference_implIS3_Lb0ELb0EPhS7_N6thrust23THRUST_200600_302600_NS4plusIhEEEE10hipError_tPvRmT2_T3_mT4_P12ihipStream_tbEUlT_E_NS1_11comp_targetILNS1_3genE4ELNS1_11target_archE910ELNS1_3gpuE8ELNS1_3repE0EEENS1_30default_config_static_selectorELNS0_4arch9wavefront6targetE1EEEvT1_
; %bb.0:
	s_load_dwordx8 s[40:47], s[4:5], 0x0
	s_mov_b32 s2, 0xb9435940
	s_load_dwordx2 s[0:1], s[4:5], 0x30
	s_movk_i32 s7, 0x4c0
	s_mul_i32 s33, s6, 0x4c0
	s_waitcnt lgkmcnt(0)
	s_add_u32 s8, s40, s42
	s_addc_u32 s9, s41, s43
	s_add_u32 s2, 0x294, s2
	s_addc_u32 s4, 0, 0
	v_add_co_u32_e64 v1, s[2:3], s2, -2.0
	s_cmp_lg_u64 s[2:3], 0
	s_addc_u32 s2, s4, 0x35e50c
	v_readfirstlane_b32 s4, v1
	s_mul_hi_u32 s5, s4, 0xfffffb40
	s_mul_i32 s3, s2, 0xfffffb40
	s_sub_i32 s5, s5, s4
	s_add_i32 s5, s5, s3
	s_mul_i32 s11, s4, 0xfffffb40
	s_mul_hi_u32 s3, s4, s5
	s_mul_i32 s10, s4, s5
	s_mul_hi_u32 s4, s4, s11
	s_add_u32 s4, s4, s10
	s_addc_u32 s3, 0, s3
	s_mul_hi_u32 s12, s2, s11
	s_mul_i32 s11, s2, s11
	s_add_u32 s4, s4, s11
	s_mul_hi_u32 s10, s2, s5
	s_addc_u32 s3, s3, s12
	s_addc_u32 s4, s10, 0
	s_mul_i32 s5, s2, s5
	s_add_u32 s3, s3, s5
	s_addc_u32 s4, 0, s4
	v_add_co_u32_e32 v1, vcc, s3, v1
	s_cmp_lg_u64 vcc, 0
	s_addc_u32 s2, s2, s4
	v_readfirstlane_b32 s5, v1
	s_mul_i32 s4, s46, s2
	s_mul_hi_u32 s10, s46, s5
	s_mul_hi_u32 s3, s46, s2
	s_add_u32 s4, s10, s4
	s_addc_u32 s3, 0, s3
	s_mul_hi_u32 s11, s47, s5
	s_mul_i32 s5, s47, s5
	s_add_u32 s4, s4, s5
	s_mul_hi_u32 s10, s47, s2
	s_addc_u32 s3, s3, s11
	s_addc_u32 s4, s10, 0
	s_mul_i32 s2, s47, s2
	s_add_u32 s2, s3, s2
	s_addc_u32 s3, 0, s4
	s_add_u32 s4, s2, 1
	s_addc_u32 s5, s3, 0
	s_add_u32 s10, s2, 2
	s_mul_i32 s12, s3, 0x4c0
	s_mul_hi_u32 s13, s2, 0x4c0
	s_addc_u32 s11, s3, 0
	s_add_i32 s13, s13, s12
	s_mul_i32 s12, s2, 0x4c0
	v_mov_b32_e32 v1, s12
	v_sub_co_u32_e32 v1, vcc, s46, v1
	s_cmp_lg_u64 vcc, 0
	s_subb_u32 s12, s47, s13
	v_subrev_co_u32_e32 v2, vcc, s7, v1
	s_cmp_lg_u64 vcc, 0
	s_subb_u32 s7, s12, 0
	v_readfirstlane_b32 s13, v2
	s_cmpk_gt_u32 s13, 0x4bf
	s_cselect_b32 s13, -1, 0
	s_cmp_eq_u32 s7, 0
	s_cselect_b32 s7, s13, -1
	s_cmp_lg_u32 s7, 0
	v_readfirstlane_b32 s7, v1
	s_cselect_b32 s4, s10, s4
	s_cselect_b32 s5, s11, s5
	s_cmpk_gt_u32 s7, 0x4bf
	s_cselect_b32 s7, -1, 0
	s_cmp_eq_u32 s12, 0
	s_cselect_b32 s7, s7, -1
	s_cmp_lg_u32 s7, 0
	s_cselect_b32 s5, s5, s3
	s_cselect_b32 s4, s4, s2
	s_mul_i32 s2, s5, 0x4c0
	s_mul_hi_u32 s3, s4, 0x4c0
	s_add_i32 s3, s3, s2
	s_mul_i32 s2, s4, 0x4c0
	s_sub_u32 s2, s46, s2
	s_subb_u32 s3, s47, s3
	s_cmp_lg_u64 s[2:3], 0
	s_cselect_b64 s[2:3], -1, 0
	v_cndmask_b32_e64 v1, 0, 1, s[2:3]
	v_readfirstlane_b32 s2, v1
	s_add_u32 s2, s4, s2
	s_addc_u32 s3, s5, 0
	s_add_u32 s4, s0, s6
	s_addc_u32 s5, s1, 0
	s_add_u32 s6, s2, -1
	s_addc_u32 s7, s3, -1
	v_pk_mov_b32 v[2:3], s[6:7], s[6:7] op_sel:[0,1]
	v_cmp_ge_u64_e64 s[0:1], s[4:5], v[2:3]
	s_mov_b64 s[10:11], -1
	s_and_b64 vcc, exec, s[0:1]
	s_mul_i32 s47, s6, 0xfffffb40
	s_cbranch_vccz .LBB291_40
; %bb.1:
	s_add_i32 s14, s47, s46
	s_add_u32 s10, s8, s33
	s_addc_u32 s11, s9, 0
	v_cmp_gt_u32_e32 vcc, s14, v0
                                        ; implicit-def: $vgpr1
	s_and_saveexec_b64 s[12:13], vcc
	s_cbranch_execz .LBB291_3
; %bb.2:
	global_load_ubyte v1, v0, s[10:11]
.LBB291_3:
	s_or_b64 exec, exec, s[12:13]
	v_or_b32_e32 v2, 64, v0
	v_cmp_gt_u32_e32 vcc, s14, v2
                                        ; implicit-def: $vgpr2
	s_and_saveexec_b64 s[12:13], vcc
	s_cbranch_execz .LBB291_5
; %bb.4:
	global_load_ubyte v2, v0, s[10:11] offset:64
.LBB291_5:
	s_or_b64 exec, exec, s[12:13]
	v_or_b32_e32 v3, 0x80, v0
	v_cmp_gt_u32_e32 vcc, s14, v3
                                        ; implicit-def: $vgpr3
	s_and_saveexec_b64 s[12:13], vcc
	s_cbranch_execz .LBB291_7
; %bb.6:
	global_load_ubyte v3, v0, s[10:11] offset:128
.LBB291_7:
	s_or_b64 exec, exec, s[12:13]
	v_or_b32_e32 v4, 0xc0, v0
	v_cmp_gt_u32_e32 vcc, s14, v4
                                        ; implicit-def: $vgpr4
	s_and_saveexec_b64 s[12:13], vcc
	s_cbranch_execz .LBB291_9
; %bb.8:
	global_load_ubyte v4, v0, s[10:11] offset:192
.LBB291_9:
	s_or_b64 exec, exec, s[12:13]
	v_or_b32_e32 v5, 0x100, v0
	v_cmp_gt_u32_e32 vcc, s14, v5
                                        ; implicit-def: $vgpr5
	s_and_saveexec_b64 s[12:13], vcc
	s_cbranch_execz .LBB291_11
; %bb.10:
	global_load_ubyte v5, v0, s[10:11] offset:256
.LBB291_11:
	s_or_b64 exec, exec, s[12:13]
	v_or_b32_e32 v6, 0x140, v0
	v_cmp_gt_u32_e32 vcc, s14, v6
                                        ; implicit-def: $vgpr6
	s_and_saveexec_b64 s[12:13], vcc
	s_cbranch_execz .LBB291_13
; %bb.12:
	global_load_ubyte v6, v0, s[10:11] offset:320
.LBB291_13:
	s_or_b64 exec, exec, s[12:13]
	v_or_b32_e32 v7, 0x180, v0
	v_cmp_gt_u32_e32 vcc, s14, v7
                                        ; implicit-def: $vgpr7
	s_and_saveexec_b64 s[12:13], vcc
	s_cbranch_execz .LBB291_15
; %bb.14:
	global_load_ubyte v7, v0, s[10:11] offset:384
.LBB291_15:
	s_or_b64 exec, exec, s[12:13]
	v_or_b32_e32 v8, 0x1c0, v0
	v_cmp_gt_u32_e32 vcc, s14, v8
                                        ; implicit-def: $vgpr8
	s_and_saveexec_b64 s[12:13], vcc
	s_cbranch_execz .LBB291_17
; %bb.16:
	global_load_ubyte v8, v0, s[10:11] offset:448
.LBB291_17:
	s_or_b64 exec, exec, s[12:13]
	v_or_b32_e32 v9, 0x200, v0
	v_cmp_gt_u32_e32 vcc, s14, v9
                                        ; implicit-def: $vgpr9
	s_and_saveexec_b64 s[12:13], vcc
	s_cbranch_execz .LBB291_19
; %bb.18:
	global_load_ubyte v9, v0, s[10:11] offset:512
.LBB291_19:
	s_or_b64 exec, exec, s[12:13]
	v_or_b32_e32 v10, 0x240, v0
	v_cmp_gt_u32_e32 vcc, s14, v10
                                        ; implicit-def: $vgpr10
	s_and_saveexec_b64 s[12:13], vcc
	s_cbranch_execz .LBB291_21
; %bb.20:
	global_load_ubyte v10, v0, s[10:11] offset:576
.LBB291_21:
	s_or_b64 exec, exec, s[12:13]
	v_or_b32_e32 v11, 0x280, v0
	v_cmp_gt_u32_e32 vcc, s14, v11
                                        ; implicit-def: $vgpr11
	s_and_saveexec_b64 s[12:13], vcc
	s_cbranch_execz .LBB291_23
; %bb.22:
	global_load_ubyte v11, v0, s[10:11] offset:640
.LBB291_23:
	s_or_b64 exec, exec, s[12:13]
	v_or_b32_e32 v12, 0x2c0, v0
	v_cmp_gt_u32_e32 vcc, s14, v12
                                        ; implicit-def: $vgpr12
	s_and_saveexec_b64 s[12:13], vcc
	s_cbranch_execz .LBB291_25
; %bb.24:
	global_load_ubyte v12, v0, s[10:11] offset:704
.LBB291_25:
	s_or_b64 exec, exec, s[12:13]
	v_or_b32_e32 v13, 0x300, v0
	v_cmp_gt_u32_e32 vcc, s14, v13
                                        ; implicit-def: $vgpr13
	s_and_saveexec_b64 s[12:13], vcc
	s_cbranch_execz .LBB291_27
; %bb.26:
	global_load_ubyte v13, v0, s[10:11] offset:768
.LBB291_27:
	s_or_b64 exec, exec, s[12:13]
	v_or_b32_e32 v14, 0x340, v0
	v_cmp_gt_u32_e32 vcc, s14, v14
                                        ; implicit-def: $vgpr14
	s_and_saveexec_b64 s[12:13], vcc
	s_cbranch_execz .LBB291_29
; %bb.28:
	global_load_ubyte v14, v0, s[10:11] offset:832
.LBB291_29:
	s_or_b64 exec, exec, s[12:13]
	v_or_b32_e32 v15, 0x380, v0
	v_cmp_gt_u32_e32 vcc, s14, v15
                                        ; implicit-def: $vgpr15
	s_and_saveexec_b64 s[12:13], vcc
	s_cbranch_execz .LBB291_31
; %bb.30:
	global_load_ubyte v15, v0, s[10:11] offset:896
.LBB291_31:
	s_or_b64 exec, exec, s[12:13]
	v_or_b32_e32 v16, 0x3c0, v0
	v_cmp_gt_u32_e32 vcc, s14, v16
                                        ; implicit-def: $vgpr16
	s_and_saveexec_b64 s[12:13], vcc
	s_cbranch_execz .LBB291_33
; %bb.32:
	global_load_ubyte v16, v0, s[10:11] offset:960
.LBB291_33:
	s_or_b64 exec, exec, s[12:13]
	v_or_b32_e32 v17, 0x400, v0
	v_cmp_gt_u32_e32 vcc, s14, v17
                                        ; implicit-def: $vgpr17
	s_and_saveexec_b64 s[12:13], vcc
	s_cbranch_execz .LBB291_35
; %bb.34:
	global_load_ubyte v17, v0, s[10:11] offset:1024
.LBB291_35:
	s_or_b64 exec, exec, s[12:13]
	v_or_b32_e32 v18, 0x440, v0
	v_cmp_gt_u32_e32 vcc, s14, v18
                                        ; implicit-def: $vgpr18
	s_and_saveexec_b64 s[12:13], vcc
	s_cbranch_execz .LBB291_37
; %bb.36:
	global_load_ubyte v18, v0, s[10:11] offset:1088
.LBB291_37:
	s_or_b64 exec, exec, s[12:13]
	v_or_b32_e32 v19, 0x480, v0
	v_cmp_gt_u32_e32 vcc, s14, v19
                                        ; implicit-def: $vgpr19
	s_and_saveexec_b64 s[12:13], vcc
	s_cbranch_execz .LBB291_39
; %bb.38:
	global_load_ubyte v19, v0, s[10:11] offset:1152
.LBB291_39:
	s_or_b64 exec, exec, s[12:13]
	s_mov_b64 s[10:11], 0
	s_waitcnt vmcnt(0)
	ds_write_b8 v0, v1
	ds_write_b8 v0, v2 offset:64
	ds_write_b8 v0, v3 offset:128
	;; [unrolled: 1-line block ×18, first 2 shown]
	s_waitcnt lgkmcnt(0)
	; wave barrier
.LBB291_40:
	s_and_b64 vcc, exec, s[10:11]
	s_cbranch_vccz .LBB291_42
; %bb.41:
	s_add_u32 s10, s8, s33
	s_addc_u32 s11, s9, 0
	global_load_ubyte v1, v0, s[10:11]
	global_load_ubyte v2, v0, s[10:11] offset:64
	global_load_ubyte v3, v0, s[10:11] offset:128
	;; [unrolled: 1-line block ×18, first 2 shown]
	s_waitcnt vmcnt(18)
	ds_write_b8 v0, v1
	s_waitcnt vmcnt(17)
	ds_write_b8 v0, v2 offset:64
	s_waitcnt vmcnt(16)
	ds_write_b8 v0, v3 offset:128
	;; [unrolled: 2-line block ×18, first 2 shown]
	s_waitcnt lgkmcnt(0)
	; wave barrier
.LBB291_42:
	v_mul_u32_u24_e32 v1, 19, v0
	s_waitcnt lgkmcnt(0)
	ds_read_b128 v[2:5], v1
	ds_read_u8 v6, v1 offset:16
	ds_read_u8 v7, v1 offset:17
	ds_read_u8 v8, v1 offset:18
	s_cmp_eq_u64 s[4:5], 0
	s_waitcnt lgkmcnt(3)
	v_lshrrev_b32_e32 v9, 8, v2
	v_lshrrev_b32_e32 v10, 16, v2
	;; [unrolled: 1-line block ×12, first 2 shown]
	s_waitcnt lgkmcnt(0)
	; wave barrier
	s_waitcnt lgkmcnt(0)
	s_cbranch_scc1 .LBB291_47
; %bb.43:
	v_mov_b32_e32 v1, s33
	global_load_ubyte v38, v1, s[8:9] offset:-1
	s_cmp_eq_u64 s[4:5], s[6:7]
	s_cbranch_scc1 .LBB291_48
; %bb.44:
	v_cmp_ne_u32_e32 vcc, 0, v0
	s_waitcnt vmcnt(0)
	v_mov_b32_e32 v1, v38
	ds_write_b8 v0, v8
	s_waitcnt lgkmcnt(0)
	; wave barrier
	s_waitcnt lgkmcnt(0)
	s_and_saveexec_b64 s[6:7], vcc
	s_cbranch_execz .LBB291_46
; %bb.45:
	v_add_u32_e32 v1, -1, v0
	ds_read_u8 v1, v1
.LBB291_46:
	s_or_b64 exec, exec, s[6:7]
	s_waitcnt lgkmcnt(0)
	v_add_u16_e32 v1, v1, v2
	s_mov_b64 s[6:7], 0
	s_branch .LBB291_49
.LBB291_47:
                                        ; implicit-def: $vgpr1
                                        ; implicit-def: $vgpr39
                                        ; implicit-def: $vgpr37
                                        ; implicit-def: $vgpr36
                                        ; implicit-def: $vgpr35
                                        ; implicit-def: $vgpr34
                                        ; implicit-def: $vgpr33
                                        ; implicit-def: $vgpr32
                                        ; implicit-def: $vgpr31
                                        ; implicit-def: $vgpr30
                                        ; implicit-def: $vgpr28
                                        ; implicit-def: $vgpr27
                                        ; implicit-def: $vgpr26
                                        ; implicit-def: $vgpr25
                                        ; implicit-def: $vgpr24
                                        ; implicit-def: $vgpr23
                                        ; implicit-def: $vgpr22
                                        ; implicit-def: $vgpr21
                                        ; implicit-def: $vgpr29
	s_branch .LBB291_54
.LBB291_48:
	s_mov_b64 s[6:7], -1
                                        ; implicit-def: $vgpr1
.LBB291_49:
	s_and_b64 vcc, exec, s[6:7]
	v_mov_b32_e32 v39, v2
	v_mov_b32_e32 v37, v9
	;; [unrolled: 1-line block ×18, first 2 shown]
	s_cbranch_vccz .LBB291_53
; %bb.50:
	v_mul_u32_u24_e32 v1, 19, v0
	v_cmp_ne_u32_e32 vcc, 0, v0
	ds_write_b8 v0, v8
	s_waitcnt lgkmcnt(0)
	; wave barrier
	s_waitcnt lgkmcnt(0)
	s_and_saveexec_b64 s[6:7], vcc
	s_cbranch_execz .LBB291_52
; %bb.51:
	v_add_u32_e32 v21, -1, v0
	s_waitcnt vmcnt(0)
	ds_read_u8 v38, v21
.LBB291_52:
	s_or_b64 exec, exec, s[6:7]
	s_mulk_i32 s4, 0xfb40
	s_add_i32 s4, s4, s46
	v_add_u32_e32 v21, 18, v1
	v_cmp_gt_u32_e32 vcc, s4, v21
	v_add_u32_e32 v21, 17, v1
	v_cndmask_b32_e32 v29, 0, v7, vcc
	v_cmp_gt_u32_e32 vcc, s4, v21
	v_add_u32_e32 v22, 16, v1
	v_cndmask_b32_e32 v21, 0, v6, vcc
	;; [unrolled: 3-line block ×17, first 2 shown]
	v_cmp_gt_u32_e32 vcc, s4, v39
	v_cndmask_b32_e32 v39, 0, v2, vcc
	v_cmp_gt_u32_e32 vcc, s4, v1
	s_waitcnt vmcnt(0) lgkmcnt(0)
	v_cndmask_b32_e32 v1, 0, v38, vcc
	v_add_u16_e32 v1, v1, v2
.LBB291_53:
	s_cbranch_execnz .LBB291_64
.LBB291_54:
	s_cmp_eq_u64 s[2:3], 1
	v_cmp_ne_u32_e32 vcc, 0, v0
	s_cbranch_scc1 .LBB291_58
; %bb.55:
	v_mov_b32_e32 v1, v2
	ds_write_b8 v0, v8
	s_waitcnt lgkmcnt(0)
	; wave barrier
	s_waitcnt lgkmcnt(0)
	s_and_saveexec_b64 s[2:3], vcc
	s_cbranch_execz .LBB291_57
; %bb.56:
	v_add_u32_e32 v1, -1, v0
	ds_read_u8 v1, v1
	s_waitcnt lgkmcnt(0)
	v_add_u16_e32 v1, v1, v2
.LBB291_57:
	s_or_b64 exec, exec, s[2:3]
	s_mov_b64 s[2:3], 0
	s_branch .LBB291_59
.LBB291_58:
	s_mov_b64 s[2:3], -1
                                        ; implicit-def: $vgpr1
.LBB291_59:
	s_andn2_b64 vcc, exec, s[2:3]
	v_mov_b32_e32 v37, v9
	v_mov_b32_e32 v36, v10
	;; [unrolled: 1-line block ×17, first 2 shown]
	s_cbranch_vccnz .LBB291_63
; %bb.60:
	v_mad_u32_u24 v21, v0, 19, 18
	v_cmp_gt_u32_e32 vcc, s46, v21
	v_mad_u32_u24 v21, v0, 19, 17
	v_cmp_gt_u32_e64 s[2:3], s46, v21
	v_mad_u32_u24 v21, v0, 19, 16
	v_cmp_gt_u32_e64 s[4:5], s46, v21
	;; [unrolled: 2-line block ×14, first 2 shown]
	v_mad_u32_u24 v21, v0, 19, 3
	v_mul_u32_u24_e32 v1, 19, v0
	v_cmp_gt_u32_e64 s[30:31], s46, v21
	v_mad_u32_u24 v21, v0, 19, 2
	v_cmp_gt_u32_e64 s[34:35], s46, v21
	v_mad_u32_u24 v21, v0, 19, 1
	v_cmp_ne_u32_e64 s[38:39], 0, v0
	v_cmp_gt_u32_e64 s[40:41], s46, v1
	v_cmp_gt_u32_e64 s[36:37], s46, v21
	s_and_b64 s[40:41], s[38:39], s[40:41]
	v_mov_b32_e32 v1, v2
	ds_write_b8 v0, v8
	s_waitcnt lgkmcnt(0)
	; wave barrier
	s_waitcnt lgkmcnt(0)
	s_and_saveexec_b64 s[38:39], s[40:41]
	s_cbranch_execz .LBB291_62
; %bb.61:
	v_add_u32_e32 v1, -1, v0
	ds_read_u8 v1, v1
	s_waitcnt lgkmcnt(0)
	v_add_u16_e32 v1, v1, v2
.LBB291_62:
	s_or_b64 exec, exec, s[38:39]
	v_cndmask_b32_e32 v29, 0, v7, vcc
	v_cndmask_b32_e64 v21, 0, v6, s[2:3]
	v_cndmask_b32_e64 v22, 0, v20, s[4:5]
	;; [unrolled: 1-line block ×17, first 2 shown]
.LBB291_63:
	v_mov_b32_e32 v39, v2
.LBB291_64:
	s_add_u32 s4, s44, s42
	v_add_u16_e32 v8, v29, v8
	v_add_u16_e32 v2, v39, v9
	;; [unrolled: 1-line block ×13, first 2 shown]
	s_addc_u32 s5, s45, s43
	v_add_u16_e32 v12, v31, v4
	v_add_u16_e32 v14, v26, v5
	;; [unrolled: 1-line block ×5, first 2 shown]
	s_and_b64 vcc, exec, s[0:1]
	v_mul_u32_u24_e32 v6, 19, v0
	v_lshlrev_b16_e32 v21, 8, v17
	v_lshlrev_b16_e32 v22, 8, v18
	;; [unrolled: 1-line block ×8, first 2 shown]
	s_waitcnt lgkmcnt(0)
	; wave barrier
	s_cbranch_vccz .LBB291_102
; %bb.65:
	v_or_b32_sdwa v2, v14, v21 dst_sel:DWORD dst_unused:UNUSED_PAD src0_sel:BYTE_0 src1_sel:DWORD
	v_or_b32_sdwa v3, v15, v22 dst_sel:WORD_1 dst_unused:UNUSED_PAD src0_sel:BYTE_0 src1_sel:DWORD
	v_or_b32_sdwa v27, v2, v3 dst_sel:DWORD dst_unused:UNUSED_PAD src0_sel:WORD_0 src1_sel:DWORD
	v_or_b32_sdwa v2, v12, v19 dst_sel:DWORD dst_unused:UNUSED_PAD src0_sel:BYTE_0 src1_sel:DWORD
	v_or_b32_sdwa v3, v13, v20 dst_sel:WORD_1 dst_unused:UNUSED_PAD src0_sel:BYTE_0 src1_sel:DWORD
	v_or_b32_sdwa v26, v2, v3 dst_sel:DWORD dst_unused:UNUSED_PAD src0_sel:WORD_0 src1_sel:DWORD
	;; [unrolled: 3-line block ×4, first 2 shown]
	ds_write_b128 v6, v[24:27]
	ds_write_b8 v6, v4 offset:16
	ds_write_b8 v6, v5 offset:17
	ds_write_b8 v6, v8 offset:18
	s_waitcnt lgkmcnt(0)
	; wave barrier
	s_waitcnt lgkmcnt(0)
	ds_read_u8 v40, v0 offset:64
	ds_read_u8 v39, v0 offset:128
	s_waitcnt vmcnt(0)
	ds_read_u8 v38, v0 offset:192
	ds_read_u8 v37, v0 offset:256
	;; [unrolled: 1-line block ×16, first 2 shown]
	s_add_i32 s47, s47, s46
	s_add_u32 s0, s4, s33
	s_addc_u32 s1, s5, 0
	v_mov_b32_e32 v3, s1
	v_add_co_u32_e32 v2, vcc, s0, v0
	v_addc_co_u32_e32 v3, vcc, 0, v3, vcc
	v_cmp_gt_u32_e32 vcc, s47, v0
	s_and_saveexec_b64 s[0:1], vcc
	s_cbranch_execz .LBB291_67
; %bb.66:
	ds_read_u8 v41, v0
	s_waitcnt lgkmcnt(0)
	global_store_byte v[2:3], v41, off
.LBB291_67:
	s_or_b64 exec, exec, s[0:1]
	v_or_b32_e32 v41, 64, v0
	v_cmp_gt_u32_e32 vcc, s47, v41
	s_and_saveexec_b64 s[0:1], vcc
	s_cbranch_execz .LBB291_69
; %bb.68:
	s_waitcnt lgkmcnt(14)
	global_store_byte v[2:3], v40, off offset:64
.LBB291_69:
	s_or_b64 exec, exec, s[0:1]
	s_waitcnt lgkmcnt(14)
	v_or_b32_e32 v40, 0x80, v0
	v_cmp_gt_u32_e32 vcc, s47, v40
	s_and_saveexec_b64 s[0:1], vcc
	s_cbranch_execz .LBB291_71
; %bb.70:
	global_store_byte v[2:3], v39, off offset:128
.LBB291_71:
	s_or_b64 exec, exec, s[0:1]
	v_or_b32_e32 v39, 0xc0, v0
	v_cmp_gt_u32_e32 vcc, s47, v39
	s_and_saveexec_b64 s[0:1], vcc
	s_cbranch_execz .LBB291_73
; %bb.72:
	global_store_byte v[2:3], v38, off offset:192
.LBB291_73:
	s_or_b64 exec, exec, s[0:1]
	;; [unrolled: 8-line block ×3, first 2 shown]
	v_or_b32_e32 v37, 0x140, v0
	v_cmp_gt_u32_e32 vcc, s47, v37
	s_and_saveexec_b64 s[0:1], vcc
	s_cbranch_execz .LBB291_77
; %bb.76:
	s_waitcnt lgkmcnt(13)
	global_store_byte v[2:3], v36, off offset:320
.LBB291_77:
	s_or_b64 exec, exec, s[0:1]
	s_waitcnt lgkmcnt(13)
	v_or_b32_e32 v36, 0x180, v0
	v_cmp_gt_u32_e32 vcc, s47, v36
	s_and_saveexec_b64 s[0:1], vcc
	s_cbranch_execz .LBB291_79
; %bb.78:
	s_waitcnt lgkmcnt(12)
	global_store_byte v[2:3], v35, off offset:384
.LBB291_79:
	s_or_b64 exec, exec, s[0:1]
	s_waitcnt lgkmcnt(12)
	;; [unrolled: 10-line block ×13, first 2 shown]
	v_or_b32_e32 v24, 0x480, v0
	v_cmp_gt_u32_e64 s[0:1], s47, v24
	s_branch .LBB291_104
.LBB291_102:
	s_mov_b64 s[0:1], 0
                                        ; implicit-def: $vgpr23
                                        ; implicit-def: $vgpr2_vgpr3
	s_cbranch_execz .LBB291_104
; %bb.103:
	v_or_b32_sdwa v2, v14, v21 dst_sel:DWORD dst_unused:UNUSED_PAD src0_sel:BYTE_0 src1_sel:DWORD
	v_or_b32_sdwa v3, v15, v22 dst_sel:WORD_1 dst_unused:UNUSED_PAD src0_sel:BYTE_0 src1_sel:DWORD
	v_or_b32_sdwa v15, v2, v3 dst_sel:DWORD dst_unused:UNUSED_PAD src0_sel:WORD_0 src1_sel:DWORD
	v_or_b32_sdwa v2, v12, v19 dst_sel:DWORD dst_unused:UNUSED_PAD src0_sel:BYTE_0 src1_sel:DWORD
	v_or_b32_sdwa v3, v13, v20 dst_sel:WORD_1 dst_unused:UNUSED_PAD src0_sel:BYTE_0 src1_sel:DWORD
	v_or_b32_sdwa v14, v2, v3 dst_sel:DWORD dst_unused:UNUSED_PAD src0_sel:WORD_0 src1_sel:DWORD
	;; [unrolled: 3-line block ×4, first 2 shown]
	s_add_u32 s2, s4, s33
	ds_write_b128 v6, v[12:15]
	ds_write_b8 v6, v4 offset:16
	ds_write_b8 v6, v5 offset:17
	;; [unrolled: 1-line block ×3, first 2 shown]
	s_waitcnt lgkmcnt(0)
	; wave barrier
	s_waitcnt lgkmcnt(0)
	ds_read_u8 v1, v0
	ds_read_u8 v4, v0 offset:64
	ds_read_u8 v5, v0 offset:128
	;; [unrolled: 1-line block ×18, first 2 shown]
	s_addc_u32 s3, s5, 0
	v_mov_b32_e32 v3, s3
	v_add_co_u32_e32 v2, vcc, s2, v0
	v_addc_co_u32_e32 v3, vcc, 0, v3, vcc
	s_or_b64 s[0:1], s[0:1], exec
	s_waitcnt lgkmcnt(14)
	global_store_byte v0, v1, s[2:3]
	global_store_byte v0, v4, s[2:3] offset:64
	global_store_byte v0, v5, s[2:3] offset:128
	;; [unrolled: 1-line block ×4, first 2 shown]
	s_waitcnt lgkmcnt(13)
	global_store_byte v0, v8, s[2:3] offset:320
	s_waitcnt lgkmcnt(12)
	global_store_byte v0, v9, s[2:3] offset:384
	;; [unrolled: 2-line block ×13, first 2 shown]
.LBB291_104:
	s_and_saveexec_b64 s[2:3], s[0:1]
	s_cbranch_execnz .LBB291_106
; %bb.105:
	s_endpgm
.LBB291_106:
	s_waitcnt lgkmcnt(0)
	global_store_byte v[2:3], v23, off offset:1152
	s_endpgm
	.section	.rodata,"a",@progbits
	.p2align	6, 0x0
	.amdhsa_kernel _ZN7rocprim17ROCPRIM_400000_NS6detail17trampoline_kernelINS0_14default_configENS1_35adjacent_difference_config_selectorILb0EhEEZNS1_24adjacent_difference_implIS3_Lb0ELb0EPhS7_N6thrust23THRUST_200600_302600_NS4plusIhEEEE10hipError_tPvRmT2_T3_mT4_P12ihipStream_tbEUlT_E_NS1_11comp_targetILNS1_3genE4ELNS1_11target_archE910ELNS1_3gpuE8ELNS1_3repE0EEENS1_30default_config_static_selectorELNS0_4arch9wavefront6targetE1EEEvT1_
		.amdhsa_group_segment_fixed_size 1216
		.amdhsa_private_segment_fixed_size 0
		.amdhsa_kernarg_size 56
		.amdhsa_user_sgpr_count 6
		.amdhsa_user_sgpr_private_segment_buffer 1
		.amdhsa_user_sgpr_dispatch_ptr 0
		.amdhsa_user_sgpr_queue_ptr 0
		.amdhsa_user_sgpr_kernarg_segment_ptr 1
		.amdhsa_user_sgpr_dispatch_id 0
		.amdhsa_user_sgpr_flat_scratch_init 0
		.amdhsa_user_sgpr_kernarg_preload_length 0
		.amdhsa_user_sgpr_kernarg_preload_offset 0
		.amdhsa_user_sgpr_private_segment_size 0
		.amdhsa_uses_dynamic_stack 0
		.amdhsa_system_sgpr_private_segment_wavefront_offset 0
		.amdhsa_system_sgpr_workgroup_id_x 1
		.amdhsa_system_sgpr_workgroup_id_y 0
		.amdhsa_system_sgpr_workgroup_id_z 0
		.amdhsa_system_sgpr_workgroup_info 0
		.amdhsa_system_vgpr_workitem_id 0
		.amdhsa_next_free_vgpr 42
		.amdhsa_next_free_sgpr 48
		.amdhsa_accum_offset 44
		.amdhsa_reserve_vcc 1
		.amdhsa_reserve_flat_scratch 0
		.amdhsa_float_round_mode_32 0
		.amdhsa_float_round_mode_16_64 0
		.amdhsa_float_denorm_mode_32 3
		.amdhsa_float_denorm_mode_16_64 3
		.amdhsa_dx10_clamp 1
		.amdhsa_ieee_mode 1
		.amdhsa_fp16_overflow 0
		.amdhsa_tg_split 0
		.amdhsa_exception_fp_ieee_invalid_op 0
		.amdhsa_exception_fp_denorm_src 0
		.amdhsa_exception_fp_ieee_div_zero 0
		.amdhsa_exception_fp_ieee_overflow 0
		.amdhsa_exception_fp_ieee_underflow 0
		.amdhsa_exception_fp_ieee_inexact 0
		.amdhsa_exception_int_div_zero 0
	.end_amdhsa_kernel
	.section	.text._ZN7rocprim17ROCPRIM_400000_NS6detail17trampoline_kernelINS0_14default_configENS1_35adjacent_difference_config_selectorILb0EhEEZNS1_24adjacent_difference_implIS3_Lb0ELb0EPhS7_N6thrust23THRUST_200600_302600_NS4plusIhEEEE10hipError_tPvRmT2_T3_mT4_P12ihipStream_tbEUlT_E_NS1_11comp_targetILNS1_3genE4ELNS1_11target_archE910ELNS1_3gpuE8ELNS1_3repE0EEENS1_30default_config_static_selectorELNS0_4arch9wavefront6targetE1EEEvT1_,"axG",@progbits,_ZN7rocprim17ROCPRIM_400000_NS6detail17trampoline_kernelINS0_14default_configENS1_35adjacent_difference_config_selectorILb0EhEEZNS1_24adjacent_difference_implIS3_Lb0ELb0EPhS7_N6thrust23THRUST_200600_302600_NS4plusIhEEEE10hipError_tPvRmT2_T3_mT4_P12ihipStream_tbEUlT_E_NS1_11comp_targetILNS1_3genE4ELNS1_11target_archE910ELNS1_3gpuE8ELNS1_3repE0EEENS1_30default_config_static_selectorELNS0_4arch9wavefront6targetE1EEEvT1_,comdat
.Lfunc_end291:
	.size	_ZN7rocprim17ROCPRIM_400000_NS6detail17trampoline_kernelINS0_14default_configENS1_35adjacent_difference_config_selectorILb0EhEEZNS1_24adjacent_difference_implIS3_Lb0ELb0EPhS7_N6thrust23THRUST_200600_302600_NS4plusIhEEEE10hipError_tPvRmT2_T3_mT4_P12ihipStream_tbEUlT_E_NS1_11comp_targetILNS1_3genE4ELNS1_11target_archE910ELNS1_3gpuE8ELNS1_3repE0EEENS1_30default_config_static_selectorELNS0_4arch9wavefront6targetE1EEEvT1_, .Lfunc_end291-_ZN7rocprim17ROCPRIM_400000_NS6detail17trampoline_kernelINS0_14default_configENS1_35adjacent_difference_config_selectorILb0EhEEZNS1_24adjacent_difference_implIS3_Lb0ELb0EPhS7_N6thrust23THRUST_200600_302600_NS4plusIhEEEE10hipError_tPvRmT2_T3_mT4_P12ihipStream_tbEUlT_E_NS1_11comp_targetILNS1_3genE4ELNS1_11target_archE910ELNS1_3gpuE8ELNS1_3repE0EEENS1_30default_config_static_selectorELNS0_4arch9wavefront6targetE1EEEvT1_
                                        ; -- End function
	.section	.AMDGPU.csdata,"",@progbits
; Kernel info:
; codeLenInByte = 4596
; NumSgprs: 52
; NumVgprs: 42
; NumAgprs: 0
; TotalNumVgprs: 42
; ScratchSize: 0
; MemoryBound: 0
; FloatMode: 240
; IeeeMode: 1
; LDSByteSize: 1216 bytes/workgroup (compile time only)
; SGPRBlocks: 6
; VGPRBlocks: 5
; NumSGPRsForWavesPerEU: 52
; NumVGPRsForWavesPerEU: 42
; AccumOffset: 44
; Occupancy: 8
; WaveLimiterHint : 0
; COMPUTE_PGM_RSRC2:SCRATCH_EN: 0
; COMPUTE_PGM_RSRC2:USER_SGPR: 6
; COMPUTE_PGM_RSRC2:TRAP_HANDLER: 0
; COMPUTE_PGM_RSRC2:TGID_X_EN: 1
; COMPUTE_PGM_RSRC2:TGID_Y_EN: 0
; COMPUTE_PGM_RSRC2:TGID_Z_EN: 0
; COMPUTE_PGM_RSRC2:TIDIG_COMP_CNT: 0
; COMPUTE_PGM_RSRC3_GFX90A:ACCUM_OFFSET: 10
; COMPUTE_PGM_RSRC3_GFX90A:TG_SPLIT: 0
	.section	.text._ZN7rocprim17ROCPRIM_400000_NS6detail17trampoline_kernelINS0_14default_configENS1_35adjacent_difference_config_selectorILb0EhEEZNS1_24adjacent_difference_implIS3_Lb0ELb0EPhS7_N6thrust23THRUST_200600_302600_NS4plusIhEEEE10hipError_tPvRmT2_T3_mT4_P12ihipStream_tbEUlT_E_NS1_11comp_targetILNS1_3genE3ELNS1_11target_archE908ELNS1_3gpuE7ELNS1_3repE0EEENS1_30default_config_static_selectorELNS0_4arch9wavefront6targetE1EEEvT1_,"axG",@progbits,_ZN7rocprim17ROCPRIM_400000_NS6detail17trampoline_kernelINS0_14default_configENS1_35adjacent_difference_config_selectorILb0EhEEZNS1_24adjacent_difference_implIS3_Lb0ELb0EPhS7_N6thrust23THRUST_200600_302600_NS4plusIhEEEE10hipError_tPvRmT2_T3_mT4_P12ihipStream_tbEUlT_E_NS1_11comp_targetILNS1_3genE3ELNS1_11target_archE908ELNS1_3gpuE7ELNS1_3repE0EEENS1_30default_config_static_selectorELNS0_4arch9wavefront6targetE1EEEvT1_,comdat
	.protected	_ZN7rocprim17ROCPRIM_400000_NS6detail17trampoline_kernelINS0_14default_configENS1_35adjacent_difference_config_selectorILb0EhEEZNS1_24adjacent_difference_implIS3_Lb0ELb0EPhS7_N6thrust23THRUST_200600_302600_NS4plusIhEEEE10hipError_tPvRmT2_T3_mT4_P12ihipStream_tbEUlT_E_NS1_11comp_targetILNS1_3genE3ELNS1_11target_archE908ELNS1_3gpuE7ELNS1_3repE0EEENS1_30default_config_static_selectorELNS0_4arch9wavefront6targetE1EEEvT1_ ; -- Begin function _ZN7rocprim17ROCPRIM_400000_NS6detail17trampoline_kernelINS0_14default_configENS1_35adjacent_difference_config_selectorILb0EhEEZNS1_24adjacent_difference_implIS3_Lb0ELb0EPhS7_N6thrust23THRUST_200600_302600_NS4plusIhEEEE10hipError_tPvRmT2_T3_mT4_P12ihipStream_tbEUlT_E_NS1_11comp_targetILNS1_3genE3ELNS1_11target_archE908ELNS1_3gpuE7ELNS1_3repE0EEENS1_30default_config_static_selectorELNS0_4arch9wavefront6targetE1EEEvT1_
	.globl	_ZN7rocprim17ROCPRIM_400000_NS6detail17trampoline_kernelINS0_14default_configENS1_35adjacent_difference_config_selectorILb0EhEEZNS1_24adjacent_difference_implIS3_Lb0ELb0EPhS7_N6thrust23THRUST_200600_302600_NS4plusIhEEEE10hipError_tPvRmT2_T3_mT4_P12ihipStream_tbEUlT_E_NS1_11comp_targetILNS1_3genE3ELNS1_11target_archE908ELNS1_3gpuE7ELNS1_3repE0EEENS1_30default_config_static_selectorELNS0_4arch9wavefront6targetE1EEEvT1_
	.p2align	8
	.type	_ZN7rocprim17ROCPRIM_400000_NS6detail17trampoline_kernelINS0_14default_configENS1_35adjacent_difference_config_selectorILb0EhEEZNS1_24adjacent_difference_implIS3_Lb0ELb0EPhS7_N6thrust23THRUST_200600_302600_NS4plusIhEEEE10hipError_tPvRmT2_T3_mT4_P12ihipStream_tbEUlT_E_NS1_11comp_targetILNS1_3genE3ELNS1_11target_archE908ELNS1_3gpuE7ELNS1_3repE0EEENS1_30default_config_static_selectorELNS0_4arch9wavefront6targetE1EEEvT1_,@function
_ZN7rocprim17ROCPRIM_400000_NS6detail17trampoline_kernelINS0_14default_configENS1_35adjacent_difference_config_selectorILb0EhEEZNS1_24adjacent_difference_implIS3_Lb0ELb0EPhS7_N6thrust23THRUST_200600_302600_NS4plusIhEEEE10hipError_tPvRmT2_T3_mT4_P12ihipStream_tbEUlT_E_NS1_11comp_targetILNS1_3genE3ELNS1_11target_archE908ELNS1_3gpuE7ELNS1_3repE0EEENS1_30default_config_static_selectorELNS0_4arch9wavefront6targetE1EEEvT1_: ; @_ZN7rocprim17ROCPRIM_400000_NS6detail17trampoline_kernelINS0_14default_configENS1_35adjacent_difference_config_selectorILb0EhEEZNS1_24adjacent_difference_implIS3_Lb0ELb0EPhS7_N6thrust23THRUST_200600_302600_NS4plusIhEEEE10hipError_tPvRmT2_T3_mT4_P12ihipStream_tbEUlT_E_NS1_11comp_targetILNS1_3genE3ELNS1_11target_archE908ELNS1_3gpuE7ELNS1_3repE0EEENS1_30default_config_static_selectorELNS0_4arch9wavefront6targetE1EEEvT1_
; %bb.0:
	.section	.rodata,"a",@progbits
	.p2align	6, 0x0
	.amdhsa_kernel _ZN7rocprim17ROCPRIM_400000_NS6detail17trampoline_kernelINS0_14default_configENS1_35adjacent_difference_config_selectorILb0EhEEZNS1_24adjacent_difference_implIS3_Lb0ELb0EPhS7_N6thrust23THRUST_200600_302600_NS4plusIhEEEE10hipError_tPvRmT2_T3_mT4_P12ihipStream_tbEUlT_E_NS1_11comp_targetILNS1_3genE3ELNS1_11target_archE908ELNS1_3gpuE7ELNS1_3repE0EEENS1_30default_config_static_selectorELNS0_4arch9wavefront6targetE1EEEvT1_
		.amdhsa_group_segment_fixed_size 0
		.amdhsa_private_segment_fixed_size 0
		.amdhsa_kernarg_size 56
		.amdhsa_user_sgpr_count 6
		.amdhsa_user_sgpr_private_segment_buffer 1
		.amdhsa_user_sgpr_dispatch_ptr 0
		.amdhsa_user_sgpr_queue_ptr 0
		.amdhsa_user_sgpr_kernarg_segment_ptr 1
		.amdhsa_user_sgpr_dispatch_id 0
		.amdhsa_user_sgpr_flat_scratch_init 0
		.amdhsa_user_sgpr_kernarg_preload_length 0
		.amdhsa_user_sgpr_kernarg_preload_offset 0
		.amdhsa_user_sgpr_private_segment_size 0
		.amdhsa_uses_dynamic_stack 0
		.amdhsa_system_sgpr_private_segment_wavefront_offset 0
		.amdhsa_system_sgpr_workgroup_id_x 1
		.amdhsa_system_sgpr_workgroup_id_y 0
		.amdhsa_system_sgpr_workgroup_id_z 0
		.amdhsa_system_sgpr_workgroup_info 0
		.amdhsa_system_vgpr_workitem_id 0
		.amdhsa_next_free_vgpr 1
		.amdhsa_next_free_sgpr 0
		.amdhsa_accum_offset 4
		.amdhsa_reserve_vcc 0
		.amdhsa_reserve_flat_scratch 0
		.amdhsa_float_round_mode_32 0
		.amdhsa_float_round_mode_16_64 0
		.amdhsa_float_denorm_mode_32 3
		.amdhsa_float_denorm_mode_16_64 3
		.amdhsa_dx10_clamp 1
		.amdhsa_ieee_mode 1
		.amdhsa_fp16_overflow 0
		.amdhsa_tg_split 0
		.amdhsa_exception_fp_ieee_invalid_op 0
		.amdhsa_exception_fp_denorm_src 0
		.amdhsa_exception_fp_ieee_div_zero 0
		.amdhsa_exception_fp_ieee_overflow 0
		.amdhsa_exception_fp_ieee_underflow 0
		.amdhsa_exception_fp_ieee_inexact 0
		.amdhsa_exception_int_div_zero 0
	.end_amdhsa_kernel
	.section	.text._ZN7rocprim17ROCPRIM_400000_NS6detail17trampoline_kernelINS0_14default_configENS1_35adjacent_difference_config_selectorILb0EhEEZNS1_24adjacent_difference_implIS3_Lb0ELb0EPhS7_N6thrust23THRUST_200600_302600_NS4plusIhEEEE10hipError_tPvRmT2_T3_mT4_P12ihipStream_tbEUlT_E_NS1_11comp_targetILNS1_3genE3ELNS1_11target_archE908ELNS1_3gpuE7ELNS1_3repE0EEENS1_30default_config_static_selectorELNS0_4arch9wavefront6targetE1EEEvT1_,"axG",@progbits,_ZN7rocprim17ROCPRIM_400000_NS6detail17trampoline_kernelINS0_14default_configENS1_35adjacent_difference_config_selectorILb0EhEEZNS1_24adjacent_difference_implIS3_Lb0ELb0EPhS7_N6thrust23THRUST_200600_302600_NS4plusIhEEEE10hipError_tPvRmT2_T3_mT4_P12ihipStream_tbEUlT_E_NS1_11comp_targetILNS1_3genE3ELNS1_11target_archE908ELNS1_3gpuE7ELNS1_3repE0EEENS1_30default_config_static_selectorELNS0_4arch9wavefront6targetE1EEEvT1_,comdat
.Lfunc_end292:
	.size	_ZN7rocprim17ROCPRIM_400000_NS6detail17trampoline_kernelINS0_14default_configENS1_35adjacent_difference_config_selectorILb0EhEEZNS1_24adjacent_difference_implIS3_Lb0ELb0EPhS7_N6thrust23THRUST_200600_302600_NS4plusIhEEEE10hipError_tPvRmT2_T3_mT4_P12ihipStream_tbEUlT_E_NS1_11comp_targetILNS1_3genE3ELNS1_11target_archE908ELNS1_3gpuE7ELNS1_3repE0EEENS1_30default_config_static_selectorELNS0_4arch9wavefront6targetE1EEEvT1_, .Lfunc_end292-_ZN7rocprim17ROCPRIM_400000_NS6detail17trampoline_kernelINS0_14default_configENS1_35adjacent_difference_config_selectorILb0EhEEZNS1_24adjacent_difference_implIS3_Lb0ELb0EPhS7_N6thrust23THRUST_200600_302600_NS4plusIhEEEE10hipError_tPvRmT2_T3_mT4_P12ihipStream_tbEUlT_E_NS1_11comp_targetILNS1_3genE3ELNS1_11target_archE908ELNS1_3gpuE7ELNS1_3repE0EEENS1_30default_config_static_selectorELNS0_4arch9wavefront6targetE1EEEvT1_
                                        ; -- End function
	.section	.AMDGPU.csdata,"",@progbits
; Kernel info:
; codeLenInByte = 0
; NumSgprs: 4
; NumVgprs: 0
; NumAgprs: 0
; TotalNumVgprs: 0
; ScratchSize: 0
; MemoryBound: 0
; FloatMode: 240
; IeeeMode: 1
; LDSByteSize: 0 bytes/workgroup (compile time only)
; SGPRBlocks: 0
; VGPRBlocks: 0
; NumSGPRsForWavesPerEU: 4
; NumVGPRsForWavesPerEU: 1
; AccumOffset: 4
; Occupancy: 8
; WaveLimiterHint : 0
; COMPUTE_PGM_RSRC2:SCRATCH_EN: 0
; COMPUTE_PGM_RSRC2:USER_SGPR: 6
; COMPUTE_PGM_RSRC2:TRAP_HANDLER: 0
; COMPUTE_PGM_RSRC2:TGID_X_EN: 1
; COMPUTE_PGM_RSRC2:TGID_Y_EN: 0
; COMPUTE_PGM_RSRC2:TGID_Z_EN: 0
; COMPUTE_PGM_RSRC2:TIDIG_COMP_CNT: 0
; COMPUTE_PGM_RSRC3_GFX90A:ACCUM_OFFSET: 0
; COMPUTE_PGM_RSRC3_GFX90A:TG_SPLIT: 0
	.section	.text._ZN7rocprim17ROCPRIM_400000_NS6detail17trampoline_kernelINS0_14default_configENS1_35adjacent_difference_config_selectorILb0EhEEZNS1_24adjacent_difference_implIS3_Lb0ELb0EPhS7_N6thrust23THRUST_200600_302600_NS4plusIhEEEE10hipError_tPvRmT2_T3_mT4_P12ihipStream_tbEUlT_E_NS1_11comp_targetILNS1_3genE2ELNS1_11target_archE906ELNS1_3gpuE6ELNS1_3repE0EEENS1_30default_config_static_selectorELNS0_4arch9wavefront6targetE1EEEvT1_,"axG",@progbits,_ZN7rocprim17ROCPRIM_400000_NS6detail17trampoline_kernelINS0_14default_configENS1_35adjacent_difference_config_selectorILb0EhEEZNS1_24adjacent_difference_implIS3_Lb0ELb0EPhS7_N6thrust23THRUST_200600_302600_NS4plusIhEEEE10hipError_tPvRmT2_T3_mT4_P12ihipStream_tbEUlT_E_NS1_11comp_targetILNS1_3genE2ELNS1_11target_archE906ELNS1_3gpuE6ELNS1_3repE0EEENS1_30default_config_static_selectorELNS0_4arch9wavefront6targetE1EEEvT1_,comdat
	.protected	_ZN7rocprim17ROCPRIM_400000_NS6detail17trampoline_kernelINS0_14default_configENS1_35adjacent_difference_config_selectorILb0EhEEZNS1_24adjacent_difference_implIS3_Lb0ELb0EPhS7_N6thrust23THRUST_200600_302600_NS4plusIhEEEE10hipError_tPvRmT2_T3_mT4_P12ihipStream_tbEUlT_E_NS1_11comp_targetILNS1_3genE2ELNS1_11target_archE906ELNS1_3gpuE6ELNS1_3repE0EEENS1_30default_config_static_selectorELNS0_4arch9wavefront6targetE1EEEvT1_ ; -- Begin function _ZN7rocprim17ROCPRIM_400000_NS6detail17trampoline_kernelINS0_14default_configENS1_35adjacent_difference_config_selectorILb0EhEEZNS1_24adjacent_difference_implIS3_Lb0ELb0EPhS7_N6thrust23THRUST_200600_302600_NS4plusIhEEEE10hipError_tPvRmT2_T3_mT4_P12ihipStream_tbEUlT_E_NS1_11comp_targetILNS1_3genE2ELNS1_11target_archE906ELNS1_3gpuE6ELNS1_3repE0EEENS1_30default_config_static_selectorELNS0_4arch9wavefront6targetE1EEEvT1_
	.globl	_ZN7rocprim17ROCPRIM_400000_NS6detail17trampoline_kernelINS0_14default_configENS1_35adjacent_difference_config_selectorILb0EhEEZNS1_24adjacent_difference_implIS3_Lb0ELb0EPhS7_N6thrust23THRUST_200600_302600_NS4plusIhEEEE10hipError_tPvRmT2_T3_mT4_P12ihipStream_tbEUlT_E_NS1_11comp_targetILNS1_3genE2ELNS1_11target_archE906ELNS1_3gpuE6ELNS1_3repE0EEENS1_30default_config_static_selectorELNS0_4arch9wavefront6targetE1EEEvT1_
	.p2align	8
	.type	_ZN7rocprim17ROCPRIM_400000_NS6detail17trampoline_kernelINS0_14default_configENS1_35adjacent_difference_config_selectorILb0EhEEZNS1_24adjacent_difference_implIS3_Lb0ELb0EPhS7_N6thrust23THRUST_200600_302600_NS4plusIhEEEE10hipError_tPvRmT2_T3_mT4_P12ihipStream_tbEUlT_E_NS1_11comp_targetILNS1_3genE2ELNS1_11target_archE906ELNS1_3gpuE6ELNS1_3repE0EEENS1_30default_config_static_selectorELNS0_4arch9wavefront6targetE1EEEvT1_,@function
_ZN7rocprim17ROCPRIM_400000_NS6detail17trampoline_kernelINS0_14default_configENS1_35adjacent_difference_config_selectorILb0EhEEZNS1_24adjacent_difference_implIS3_Lb0ELb0EPhS7_N6thrust23THRUST_200600_302600_NS4plusIhEEEE10hipError_tPvRmT2_T3_mT4_P12ihipStream_tbEUlT_E_NS1_11comp_targetILNS1_3genE2ELNS1_11target_archE906ELNS1_3gpuE6ELNS1_3repE0EEENS1_30default_config_static_selectorELNS0_4arch9wavefront6targetE1EEEvT1_: ; @_ZN7rocprim17ROCPRIM_400000_NS6detail17trampoline_kernelINS0_14default_configENS1_35adjacent_difference_config_selectorILb0EhEEZNS1_24adjacent_difference_implIS3_Lb0ELb0EPhS7_N6thrust23THRUST_200600_302600_NS4plusIhEEEE10hipError_tPvRmT2_T3_mT4_P12ihipStream_tbEUlT_E_NS1_11comp_targetILNS1_3genE2ELNS1_11target_archE906ELNS1_3gpuE6ELNS1_3repE0EEENS1_30default_config_static_selectorELNS0_4arch9wavefront6targetE1EEEvT1_
; %bb.0:
	.section	.rodata,"a",@progbits
	.p2align	6, 0x0
	.amdhsa_kernel _ZN7rocprim17ROCPRIM_400000_NS6detail17trampoline_kernelINS0_14default_configENS1_35adjacent_difference_config_selectorILb0EhEEZNS1_24adjacent_difference_implIS3_Lb0ELb0EPhS7_N6thrust23THRUST_200600_302600_NS4plusIhEEEE10hipError_tPvRmT2_T3_mT4_P12ihipStream_tbEUlT_E_NS1_11comp_targetILNS1_3genE2ELNS1_11target_archE906ELNS1_3gpuE6ELNS1_3repE0EEENS1_30default_config_static_selectorELNS0_4arch9wavefront6targetE1EEEvT1_
		.amdhsa_group_segment_fixed_size 0
		.amdhsa_private_segment_fixed_size 0
		.amdhsa_kernarg_size 56
		.amdhsa_user_sgpr_count 6
		.amdhsa_user_sgpr_private_segment_buffer 1
		.amdhsa_user_sgpr_dispatch_ptr 0
		.amdhsa_user_sgpr_queue_ptr 0
		.amdhsa_user_sgpr_kernarg_segment_ptr 1
		.amdhsa_user_sgpr_dispatch_id 0
		.amdhsa_user_sgpr_flat_scratch_init 0
		.amdhsa_user_sgpr_kernarg_preload_length 0
		.amdhsa_user_sgpr_kernarg_preload_offset 0
		.amdhsa_user_sgpr_private_segment_size 0
		.amdhsa_uses_dynamic_stack 0
		.amdhsa_system_sgpr_private_segment_wavefront_offset 0
		.amdhsa_system_sgpr_workgroup_id_x 1
		.amdhsa_system_sgpr_workgroup_id_y 0
		.amdhsa_system_sgpr_workgroup_id_z 0
		.amdhsa_system_sgpr_workgroup_info 0
		.amdhsa_system_vgpr_workitem_id 0
		.amdhsa_next_free_vgpr 1
		.amdhsa_next_free_sgpr 0
		.amdhsa_accum_offset 4
		.amdhsa_reserve_vcc 0
		.amdhsa_reserve_flat_scratch 0
		.amdhsa_float_round_mode_32 0
		.amdhsa_float_round_mode_16_64 0
		.amdhsa_float_denorm_mode_32 3
		.amdhsa_float_denorm_mode_16_64 3
		.amdhsa_dx10_clamp 1
		.amdhsa_ieee_mode 1
		.amdhsa_fp16_overflow 0
		.amdhsa_tg_split 0
		.amdhsa_exception_fp_ieee_invalid_op 0
		.amdhsa_exception_fp_denorm_src 0
		.amdhsa_exception_fp_ieee_div_zero 0
		.amdhsa_exception_fp_ieee_overflow 0
		.amdhsa_exception_fp_ieee_underflow 0
		.amdhsa_exception_fp_ieee_inexact 0
		.amdhsa_exception_int_div_zero 0
	.end_amdhsa_kernel
	.section	.text._ZN7rocprim17ROCPRIM_400000_NS6detail17trampoline_kernelINS0_14default_configENS1_35adjacent_difference_config_selectorILb0EhEEZNS1_24adjacent_difference_implIS3_Lb0ELb0EPhS7_N6thrust23THRUST_200600_302600_NS4plusIhEEEE10hipError_tPvRmT2_T3_mT4_P12ihipStream_tbEUlT_E_NS1_11comp_targetILNS1_3genE2ELNS1_11target_archE906ELNS1_3gpuE6ELNS1_3repE0EEENS1_30default_config_static_selectorELNS0_4arch9wavefront6targetE1EEEvT1_,"axG",@progbits,_ZN7rocprim17ROCPRIM_400000_NS6detail17trampoline_kernelINS0_14default_configENS1_35adjacent_difference_config_selectorILb0EhEEZNS1_24adjacent_difference_implIS3_Lb0ELb0EPhS7_N6thrust23THRUST_200600_302600_NS4plusIhEEEE10hipError_tPvRmT2_T3_mT4_P12ihipStream_tbEUlT_E_NS1_11comp_targetILNS1_3genE2ELNS1_11target_archE906ELNS1_3gpuE6ELNS1_3repE0EEENS1_30default_config_static_selectorELNS0_4arch9wavefront6targetE1EEEvT1_,comdat
.Lfunc_end293:
	.size	_ZN7rocprim17ROCPRIM_400000_NS6detail17trampoline_kernelINS0_14default_configENS1_35adjacent_difference_config_selectorILb0EhEEZNS1_24adjacent_difference_implIS3_Lb0ELb0EPhS7_N6thrust23THRUST_200600_302600_NS4plusIhEEEE10hipError_tPvRmT2_T3_mT4_P12ihipStream_tbEUlT_E_NS1_11comp_targetILNS1_3genE2ELNS1_11target_archE906ELNS1_3gpuE6ELNS1_3repE0EEENS1_30default_config_static_selectorELNS0_4arch9wavefront6targetE1EEEvT1_, .Lfunc_end293-_ZN7rocprim17ROCPRIM_400000_NS6detail17trampoline_kernelINS0_14default_configENS1_35adjacent_difference_config_selectorILb0EhEEZNS1_24adjacent_difference_implIS3_Lb0ELb0EPhS7_N6thrust23THRUST_200600_302600_NS4plusIhEEEE10hipError_tPvRmT2_T3_mT4_P12ihipStream_tbEUlT_E_NS1_11comp_targetILNS1_3genE2ELNS1_11target_archE906ELNS1_3gpuE6ELNS1_3repE0EEENS1_30default_config_static_selectorELNS0_4arch9wavefront6targetE1EEEvT1_
                                        ; -- End function
	.section	.AMDGPU.csdata,"",@progbits
; Kernel info:
; codeLenInByte = 0
; NumSgprs: 4
; NumVgprs: 0
; NumAgprs: 0
; TotalNumVgprs: 0
; ScratchSize: 0
; MemoryBound: 0
; FloatMode: 240
; IeeeMode: 1
; LDSByteSize: 0 bytes/workgroup (compile time only)
; SGPRBlocks: 0
; VGPRBlocks: 0
; NumSGPRsForWavesPerEU: 4
; NumVGPRsForWavesPerEU: 1
; AccumOffset: 4
; Occupancy: 8
; WaveLimiterHint : 0
; COMPUTE_PGM_RSRC2:SCRATCH_EN: 0
; COMPUTE_PGM_RSRC2:USER_SGPR: 6
; COMPUTE_PGM_RSRC2:TRAP_HANDLER: 0
; COMPUTE_PGM_RSRC2:TGID_X_EN: 1
; COMPUTE_PGM_RSRC2:TGID_Y_EN: 0
; COMPUTE_PGM_RSRC2:TGID_Z_EN: 0
; COMPUTE_PGM_RSRC2:TIDIG_COMP_CNT: 0
; COMPUTE_PGM_RSRC3_GFX90A:ACCUM_OFFSET: 0
; COMPUTE_PGM_RSRC3_GFX90A:TG_SPLIT: 0
	.section	.text._ZN7rocprim17ROCPRIM_400000_NS6detail17trampoline_kernelINS0_14default_configENS1_35adjacent_difference_config_selectorILb0EhEEZNS1_24adjacent_difference_implIS3_Lb0ELb0EPhS7_N6thrust23THRUST_200600_302600_NS4plusIhEEEE10hipError_tPvRmT2_T3_mT4_P12ihipStream_tbEUlT_E_NS1_11comp_targetILNS1_3genE9ELNS1_11target_archE1100ELNS1_3gpuE3ELNS1_3repE0EEENS1_30default_config_static_selectorELNS0_4arch9wavefront6targetE1EEEvT1_,"axG",@progbits,_ZN7rocprim17ROCPRIM_400000_NS6detail17trampoline_kernelINS0_14default_configENS1_35adjacent_difference_config_selectorILb0EhEEZNS1_24adjacent_difference_implIS3_Lb0ELb0EPhS7_N6thrust23THRUST_200600_302600_NS4plusIhEEEE10hipError_tPvRmT2_T3_mT4_P12ihipStream_tbEUlT_E_NS1_11comp_targetILNS1_3genE9ELNS1_11target_archE1100ELNS1_3gpuE3ELNS1_3repE0EEENS1_30default_config_static_selectorELNS0_4arch9wavefront6targetE1EEEvT1_,comdat
	.protected	_ZN7rocprim17ROCPRIM_400000_NS6detail17trampoline_kernelINS0_14default_configENS1_35adjacent_difference_config_selectorILb0EhEEZNS1_24adjacent_difference_implIS3_Lb0ELb0EPhS7_N6thrust23THRUST_200600_302600_NS4plusIhEEEE10hipError_tPvRmT2_T3_mT4_P12ihipStream_tbEUlT_E_NS1_11comp_targetILNS1_3genE9ELNS1_11target_archE1100ELNS1_3gpuE3ELNS1_3repE0EEENS1_30default_config_static_selectorELNS0_4arch9wavefront6targetE1EEEvT1_ ; -- Begin function _ZN7rocprim17ROCPRIM_400000_NS6detail17trampoline_kernelINS0_14default_configENS1_35adjacent_difference_config_selectorILb0EhEEZNS1_24adjacent_difference_implIS3_Lb0ELb0EPhS7_N6thrust23THRUST_200600_302600_NS4plusIhEEEE10hipError_tPvRmT2_T3_mT4_P12ihipStream_tbEUlT_E_NS1_11comp_targetILNS1_3genE9ELNS1_11target_archE1100ELNS1_3gpuE3ELNS1_3repE0EEENS1_30default_config_static_selectorELNS0_4arch9wavefront6targetE1EEEvT1_
	.globl	_ZN7rocprim17ROCPRIM_400000_NS6detail17trampoline_kernelINS0_14default_configENS1_35adjacent_difference_config_selectorILb0EhEEZNS1_24adjacent_difference_implIS3_Lb0ELb0EPhS7_N6thrust23THRUST_200600_302600_NS4plusIhEEEE10hipError_tPvRmT2_T3_mT4_P12ihipStream_tbEUlT_E_NS1_11comp_targetILNS1_3genE9ELNS1_11target_archE1100ELNS1_3gpuE3ELNS1_3repE0EEENS1_30default_config_static_selectorELNS0_4arch9wavefront6targetE1EEEvT1_
	.p2align	8
	.type	_ZN7rocprim17ROCPRIM_400000_NS6detail17trampoline_kernelINS0_14default_configENS1_35adjacent_difference_config_selectorILb0EhEEZNS1_24adjacent_difference_implIS3_Lb0ELb0EPhS7_N6thrust23THRUST_200600_302600_NS4plusIhEEEE10hipError_tPvRmT2_T3_mT4_P12ihipStream_tbEUlT_E_NS1_11comp_targetILNS1_3genE9ELNS1_11target_archE1100ELNS1_3gpuE3ELNS1_3repE0EEENS1_30default_config_static_selectorELNS0_4arch9wavefront6targetE1EEEvT1_,@function
_ZN7rocprim17ROCPRIM_400000_NS6detail17trampoline_kernelINS0_14default_configENS1_35adjacent_difference_config_selectorILb0EhEEZNS1_24adjacent_difference_implIS3_Lb0ELb0EPhS7_N6thrust23THRUST_200600_302600_NS4plusIhEEEE10hipError_tPvRmT2_T3_mT4_P12ihipStream_tbEUlT_E_NS1_11comp_targetILNS1_3genE9ELNS1_11target_archE1100ELNS1_3gpuE3ELNS1_3repE0EEENS1_30default_config_static_selectorELNS0_4arch9wavefront6targetE1EEEvT1_: ; @_ZN7rocprim17ROCPRIM_400000_NS6detail17trampoline_kernelINS0_14default_configENS1_35adjacent_difference_config_selectorILb0EhEEZNS1_24adjacent_difference_implIS3_Lb0ELb0EPhS7_N6thrust23THRUST_200600_302600_NS4plusIhEEEE10hipError_tPvRmT2_T3_mT4_P12ihipStream_tbEUlT_E_NS1_11comp_targetILNS1_3genE9ELNS1_11target_archE1100ELNS1_3gpuE3ELNS1_3repE0EEENS1_30default_config_static_selectorELNS0_4arch9wavefront6targetE1EEEvT1_
; %bb.0:
	.section	.rodata,"a",@progbits
	.p2align	6, 0x0
	.amdhsa_kernel _ZN7rocprim17ROCPRIM_400000_NS6detail17trampoline_kernelINS0_14default_configENS1_35adjacent_difference_config_selectorILb0EhEEZNS1_24adjacent_difference_implIS3_Lb0ELb0EPhS7_N6thrust23THRUST_200600_302600_NS4plusIhEEEE10hipError_tPvRmT2_T3_mT4_P12ihipStream_tbEUlT_E_NS1_11comp_targetILNS1_3genE9ELNS1_11target_archE1100ELNS1_3gpuE3ELNS1_3repE0EEENS1_30default_config_static_selectorELNS0_4arch9wavefront6targetE1EEEvT1_
		.amdhsa_group_segment_fixed_size 0
		.amdhsa_private_segment_fixed_size 0
		.amdhsa_kernarg_size 56
		.amdhsa_user_sgpr_count 6
		.amdhsa_user_sgpr_private_segment_buffer 1
		.amdhsa_user_sgpr_dispatch_ptr 0
		.amdhsa_user_sgpr_queue_ptr 0
		.amdhsa_user_sgpr_kernarg_segment_ptr 1
		.amdhsa_user_sgpr_dispatch_id 0
		.amdhsa_user_sgpr_flat_scratch_init 0
		.amdhsa_user_sgpr_kernarg_preload_length 0
		.amdhsa_user_sgpr_kernarg_preload_offset 0
		.amdhsa_user_sgpr_private_segment_size 0
		.amdhsa_uses_dynamic_stack 0
		.amdhsa_system_sgpr_private_segment_wavefront_offset 0
		.amdhsa_system_sgpr_workgroup_id_x 1
		.amdhsa_system_sgpr_workgroup_id_y 0
		.amdhsa_system_sgpr_workgroup_id_z 0
		.amdhsa_system_sgpr_workgroup_info 0
		.amdhsa_system_vgpr_workitem_id 0
		.amdhsa_next_free_vgpr 1
		.amdhsa_next_free_sgpr 0
		.amdhsa_accum_offset 4
		.amdhsa_reserve_vcc 0
		.amdhsa_reserve_flat_scratch 0
		.amdhsa_float_round_mode_32 0
		.amdhsa_float_round_mode_16_64 0
		.amdhsa_float_denorm_mode_32 3
		.amdhsa_float_denorm_mode_16_64 3
		.amdhsa_dx10_clamp 1
		.amdhsa_ieee_mode 1
		.amdhsa_fp16_overflow 0
		.amdhsa_tg_split 0
		.amdhsa_exception_fp_ieee_invalid_op 0
		.amdhsa_exception_fp_denorm_src 0
		.amdhsa_exception_fp_ieee_div_zero 0
		.amdhsa_exception_fp_ieee_overflow 0
		.amdhsa_exception_fp_ieee_underflow 0
		.amdhsa_exception_fp_ieee_inexact 0
		.amdhsa_exception_int_div_zero 0
	.end_amdhsa_kernel
	.section	.text._ZN7rocprim17ROCPRIM_400000_NS6detail17trampoline_kernelINS0_14default_configENS1_35adjacent_difference_config_selectorILb0EhEEZNS1_24adjacent_difference_implIS3_Lb0ELb0EPhS7_N6thrust23THRUST_200600_302600_NS4plusIhEEEE10hipError_tPvRmT2_T3_mT4_P12ihipStream_tbEUlT_E_NS1_11comp_targetILNS1_3genE9ELNS1_11target_archE1100ELNS1_3gpuE3ELNS1_3repE0EEENS1_30default_config_static_selectorELNS0_4arch9wavefront6targetE1EEEvT1_,"axG",@progbits,_ZN7rocprim17ROCPRIM_400000_NS6detail17trampoline_kernelINS0_14default_configENS1_35adjacent_difference_config_selectorILb0EhEEZNS1_24adjacent_difference_implIS3_Lb0ELb0EPhS7_N6thrust23THRUST_200600_302600_NS4plusIhEEEE10hipError_tPvRmT2_T3_mT4_P12ihipStream_tbEUlT_E_NS1_11comp_targetILNS1_3genE9ELNS1_11target_archE1100ELNS1_3gpuE3ELNS1_3repE0EEENS1_30default_config_static_selectorELNS0_4arch9wavefront6targetE1EEEvT1_,comdat
.Lfunc_end294:
	.size	_ZN7rocprim17ROCPRIM_400000_NS6detail17trampoline_kernelINS0_14default_configENS1_35adjacent_difference_config_selectorILb0EhEEZNS1_24adjacent_difference_implIS3_Lb0ELb0EPhS7_N6thrust23THRUST_200600_302600_NS4plusIhEEEE10hipError_tPvRmT2_T3_mT4_P12ihipStream_tbEUlT_E_NS1_11comp_targetILNS1_3genE9ELNS1_11target_archE1100ELNS1_3gpuE3ELNS1_3repE0EEENS1_30default_config_static_selectorELNS0_4arch9wavefront6targetE1EEEvT1_, .Lfunc_end294-_ZN7rocprim17ROCPRIM_400000_NS6detail17trampoline_kernelINS0_14default_configENS1_35adjacent_difference_config_selectorILb0EhEEZNS1_24adjacent_difference_implIS3_Lb0ELb0EPhS7_N6thrust23THRUST_200600_302600_NS4plusIhEEEE10hipError_tPvRmT2_T3_mT4_P12ihipStream_tbEUlT_E_NS1_11comp_targetILNS1_3genE9ELNS1_11target_archE1100ELNS1_3gpuE3ELNS1_3repE0EEENS1_30default_config_static_selectorELNS0_4arch9wavefront6targetE1EEEvT1_
                                        ; -- End function
	.section	.AMDGPU.csdata,"",@progbits
; Kernel info:
; codeLenInByte = 0
; NumSgprs: 4
; NumVgprs: 0
; NumAgprs: 0
; TotalNumVgprs: 0
; ScratchSize: 0
; MemoryBound: 0
; FloatMode: 240
; IeeeMode: 1
; LDSByteSize: 0 bytes/workgroup (compile time only)
; SGPRBlocks: 0
; VGPRBlocks: 0
; NumSGPRsForWavesPerEU: 4
; NumVGPRsForWavesPerEU: 1
; AccumOffset: 4
; Occupancy: 8
; WaveLimiterHint : 0
; COMPUTE_PGM_RSRC2:SCRATCH_EN: 0
; COMPUTE_PGM_RSRC2:USER_SGPR: 6
; COMPUTE_PGM_RSRC2:TRAP_HANDLER: 0
; COMPUTE_PGM_RSRC2:TGID_X_EN: 1
; COMPUTE_PGM_RSRC2:TGID_Y_EN: 0
; COMPUTE_PGM_RSRC2:TGID_Z_EN: 0
; COMPUTE_PGM_RSRC2:TIDIG_COMP_CNT: 0
; COMPUTE_PGM_RSRC3_GFX90A:ACCUM_OFFSET: 0
; COMPUTE_PGM_RSRC3_GFX90A:TG_SPLIT: 0
	.section	.text._ZN7rocprim17ROCPRIM_400000_NS6detail17trampoline_kernelINS0_14default_configENS1_35adjacent_difference_config_selectorILb0EhEEZNS1_24adjacent_difference_implIS3_Lb0ELb0EPhS7_N6thrust23THRUST_200600_302600_NS4plusIhEEEE10hipError_tPvRmT2_T3_mT4_P12ihipStream_tbEUlT_E_NS1_11comp_targetILNS1_3genE8ELNS1_11target_archE1030ELNS1_3gpuE2ELNS1_3repE0EEENS1_30default_config_static_selectorELNS0_4arch9wavefront6targetE1EEEvT1_,"axG",@progbits,_ZN7rocprim17ROCPRIM_400000_NS6detail17trampoline_kernelINS0_14default_configENS1_35adjacent_difference_config_selectorILb0EhEEZNS1_24adjacent_difference_implIS3_Lb0ELb0EPhS7_N6thrust23THRUST_200600_302600_NS4plusIhEEEE10hipError_tPvRmT2_T3_mT4_P12ihipStream_tbEUlT_E_NS1_11comp_targetILNS1_3genE8ELNS1_11target_archE1030ELNS1_3gpuE2ELNS1_3repE0EEENS1_30default_config_static_selectorELNS0_4arch9wavefront6targetE1EEEvT1_,comdat
	.protected	_ZN7rocprim17ROCPRIM_400000_NS6detail17trampoline_kernelINS0_14default_configENS1_35adjacent_difference_config_selectorILb0EhEEZNS1_24adjacent_difference_implIS3_Lb0ELb0EPhS7_N6thrust23THRUST_200600_302600_NS4plusIhEEEE10hipError_tPvRmT2_T3_mT4_P12ihipStream_tbEUlT_E_NS1_11comp_targetILNS1_3genE8ELNS1_11target_archE1030ELNS1_3gpuE2ELNS1_3repE0EEENS1_30default_config_static_selectorELNS0_4arch9wavefront6targetE1EEEvT1_ ; -- Begin function _ZN7rocprim17ROCPRIM_400000_NS6detail17trampoline_kernelINS0_14default_configENS1_35adjacent_difference_config_selectorILb0EhEEZNS1_24adjacent_difference_implIS3_Lb0ELb0EPhS7_N6thrust23THRUST_200600_302600_NS4plusIhEEEE10hipError_tPvRmT2_T3_mT4_P12ihipStream_tbEUlT_E_NS1_11comp_targetILNS1_3genE8ELNS1_11target_archE1030ELNS1_3gpuE2ELNS1_3repE0EEENS1_30default_config_static_selectorELNS0_4arch9wavefront6targetE1EEEvT1_
	.globl	_ZN7rocprim17ROCPRIM_400000_NS6detail17trampoline_kernelINS0_14default_configENS1_35adjacent_difference_config_selectorILb0EhEEZNS1_24adjacent_difference_implIS3_Lb0ELb0EPhS7_N6thrust23THRUST_200600_302600_NS4plusIhEEEE10hipError_tPvRmT2_T3_mT4_P12ihipStream_tbEUlT_E_NS1_11comp_targetILNS1_3genE8ELNS1_11target_archE1030ELNS1_3gpuE2ELNS1_3repE0EEENS1_30default_config_static_selectorELNS0_4arch9wavefront6targetE1EEEvT1_
	.p2align	8
	.type	_ZN7rocprim17ROCPRIM_400000_NS6detail17trampoline_kernelINS0_14default_configENS1_35adjacent_difference_config_selectorILb0EhEEZNS1_24adjacent_difference_implIS3_Lb0ELb0EPhS7_N6thrust23THRUST_200600_302600_NS4plusIhEEEE10hipError_tPvRmT2_T3_mT4_P12ihipStream_tbEUlT_E_NS1_11comp_targetILNS1_3genE8ELNS1_11target_archE1030ELNS1_3gpuE2ELNS1_3repE0EEENS1_30default_config_static_selectorELNS0_4arch9wavefront6targetE1EEEvT1_,@function
_ZN7rocprim17ROCPRIM_400000_NS6detail17trampoline_kernelINS0_14default_configENS1_35adjacent_difference_config_selectorILb0EhEEZNS1_24adjacent_difference_implIS3_Lb0ELb0EPhS7_N6thrust23THRUST_200600_302600_NS4plusIhEEEE10hipError_tPvRmT2_T3_mT4_P12ihipStream_tbEUlT_E_NS1_11comp_targetILNS1_3genE8ELNS1_11target_archE1030ELNS1_3gpuE2ELNS1_3repE0EEENS1_30default_config_static_selectorELNS0_4arch9wavefront6targetE1EEEvT1_: ; @_ZN7rocprim17ROCPRIM_400000_NS6detail17trampoline_kernelINS0_14default_configENS1_35adjacent_difference_config_selectorILb0EhEEZNS1_24adjacent_difference_implIS3_Lb0ELb0EPhS7_N6thrust23THRUST_200600_302600_NS4plusIhEEEE10hipError_tPvRmT2_T3_mT4_P12ihipStream_tbEUlT_E_NS1_11comp_targetILNS1_3genE8ELNS1_11target_archE1030ELNS1_3gpuE2ELNS1_3repE0EEENS1_30default_config_static_selectorELNS0_4arch9wavefront6targetE1EEEvT1_
; %bb.0:
	.section	.rodata,"a",@progbits
	.p2align	6, 0x0
	.amdhsa_kernel _ZN7rocprim17ROCPRIM_400000_NS6detail17trampoline_kernelINS0_14default_configENS1_35adjacent_difference_config_selectorILb0EhEEZNS1_24adjacent_difference_implIS3_Lb0ELb0EPhS7_N6thrust23THRUST_200600_302600_NS4plusIhEEEE10hipError_tPvRmT2_T3_mT4_P12ihipStream_tbEUlT_E_NS1_11comp_targetILNS1_3genE8ELNS1_11target_archE1030ELNS1_3gpuE2ELNS1_3repE0EEENS1_30default_config_static_selectorELNS0_4arch9wavefront6targetE1EEEvT1_
		.amdhsa_group_segment_fixed_size 0
		.amdhsa_private_segment_fixed_size 0
		.amdhsa_kernarg_size 56
		.amdhsa_user_sgpr_count 6
		.amdhsa_user_sgpr_private_segment_buffer 1
		.amdhsa_user_sgpr_dispatch_ptr 0
		.amdhsa_user_sgpr_queue_ptr 0
		.amdhsa_user_sgpr_kernarg_segment_ptr 1
		.amdhsa_user_sgpr_dispatch_id 0
		.amdhsa_user_sgpr_flat_scratch_init 0
		.amdhsa_user_sgpr_kernarg_preload_length 0
		.amdhsa_user_sgpr_kernarg_preload_offset 0
		.amdhsa_user_sgpr_private_segment_size 0
		.amdhsa_uses_dynamic_stack 0
		.amdhsa_system_sgpr_private_segment_wavefront_offset 0
		.amdhsa_system_sgpr_workgroup_id_x 1
		.amdhsa_system_sgpr_workgroup_id_y 0
		.amdhsa_system_sgpr_workgroup_id_z 0
		.amdhsa_system_sgpr_workgroup_info 0
		.amdhsa_system_vgpr_workitem_id 0
		.amdhsa_next_free_vgpr 1
		.amdhsa_next_free_sgpr 0
		.amdhsa_accum_offset 4
		.amdhsa_reserve_vcc 0
		.amdhsa_reserve_flat_scratch 0
		.amdhsa_float_round_mode_32 0
		.amdhsa_float_round_mode_16_64 0
		.amdhsa_float_denorm_mode_32 3
		.amdhsa_float_denorm_mode_16_64 3
		.amdhsa_dx10_clamp 1
		.amdhsa_ieee_mode 1
		.amdhsa_fp16_overflow 0
		.amdhsa_tg_split 0
		.amdhsa_exception_fp_ieee_invalid_op 0
		.amdhsa_exception_fp_denorm_src 0
		.amdhsa_exception_fp_ieee_div_zero 0
		.amdhsa_exception_fp_ieee_overflow 0
		.amdhsa_exception_fp_ieee_underflow 0
		.amdhsa_exception_fp_ieee_inexact 0
		.amdhsa_exception_int_div_zero 0
	.end_amdhsa_kernel
	.section	.text._ZN7rocprim17ROCPRIM_400000_NS6detail17trampoline_kernelINS0_14default_configENS1_35adjacent_difference_config_selectorILb0EhEEZNS1_24adjacent_difference_implIS3_Lb0ELb0EPhS7_N6thrust23THRUST_200600_302600_NS4plusIhEEEE10hipError_tPvRmT2_T3_mT4_P12ihipStream_tbEUlT_E_NS1_11comp_targetILNS1_3genE8ELNS1_11target_archE1030ELNS1_3gpuE2ELNS1_3repE0EEENS1_30default_config_static_selectorELNS0_4arch9wavefront6targetE1EEEvT1_,"axG",@progbits,_ZN7rocprim17ROCPRIM_400000_NS6detail17trampoline_kernelINS0_14default_configENS1_35adjacent_difference_config_selectorILb0EhEEZNS1_24adjacent_difference_implIS3_Lb0ELb0EPhS7_N6thrust23THRUST_200600_302600_NS4plusIhEEEE10hipError_tPvRmT2_T3_mT4_P12ihipStream_tbEUlT_E_NS1_11comp_targetILNS1_3genE8ELNS1_11target_archE1030ELNS1_3gpuE2ELNS1_3repE0EEENS1_30default_config_static_selectorELNS0_4arch9wavefront6targetE1EEEvT1_,comdat
.Lfunc_end295:
	.size	_ZN7rocprim17ROCPRIM_400000_NS6detail17trampoline_kernelINS0_14default_configENS1_35adjacent_difference_config_selectorILb0EhEEZNS1_24adjacent_difference_implIS3_Lb0ELb0EPhS7_N6thrust23THRUST_200600_302600_NS4plusIhEEEE10hipError_tPvRmT2_T3_mT4_P12ihipStream_tbEUlT_E_NS1_11comp_targetILNS1_3genE8ELNS1_11target_archE1030ELNS1_3gpuE2ELNS1_3repE0EEENS1_30default_config_static_selectorELNS0_4arch9wavefront6targetE1EEEvT1_, .Lfunc_end295-_ZN7rocprim17ROCPRIM_400000_NS6detail17trampoline_kernelINS0_14default_configENS1_35adjacent_difference_config_selectorILb0EhEEZNS1_24adjacent_difference_implIS3_Lb0ELb0EPhS7_N6thrust23THRUST_200600_302600_NS4plusIhEEEE10hipError_tPvRmT2_T3_mT4_P12ihipStream_tbEUlT_E_NS1_11comp_targetILNS1_3genE8ELNS1_11target_archE1030ELNS1_3gpuE2ELNS1_3repE0EEENS1_30default_config_static_selectorELNS0_4arch9wavefront6targetE1EEEvT1_
                                        ; -- End function
	.section	.AMDGPU.csdata,"",@progbits
; Kernel info:
; codeLenInByte = 0
; NumSgprs: 4
; NumVgprs: 0
; NumAgprs: 0
; TotalNumVgprs: 0
; ScratchSize: 0
; MemoryBound: 0
; FloatMode: 240
; IeeeMode: 1
; LDSByteSize: 0 bytes/workgroup (compile time only)
; SGPRBlocks: 0
; VGPRBlocks: 0
; NumSGPRsForWavesPerEU: 4
; NumVGPRsForWavesPerEU: 1
; AccumOffset: 4
; Occupancy: 8
; WaveLimiterHint : 0
; COMPUTE_PGM_RSRC2:SCRATCH_EN: 0
; COMPUTE_PGM_RSRC2:USER_SGPR: 6
; COMPUTE_PGM_RSRC2:TRAP_HANDLER: 0
; COMPUTE_PGM_RSRC2:TGID_X_EN: 1
; COMPUTE_PGM_RSRC2:TGID_Y_EN: 0
; COMPUTE_PGM_RSRC2:TGID_Z_EN: 0
; COMPUTE_PGM_RSRC2:TIDIG_COMP_CNT: 0
; COMPUTE_PGM_RSRC3_GFX90A:ACCUM_OFFSET: 0
; COMPUTE_PGM_RSRC3_GFX90A:TG_SPLIT: 0
	.section	.text._ZN7rocprim17ROCPRIM_400000_NS6detail17trampoline_kernelINS0_14default_configENS1_25transform_config_selectorIhLb0EEEZNS1_14transform_implILb0ES3_S5_NS0_18transform_iteratorINS0_17counting_iteratorImlEEZNS1_24adjacent_difference_implIS3_Lb1ELb0EPhSB_N6thrust23THRUST_200600_302600_NS4plusIhEEEE10hipError_tPvRmT2_T3_mT4_P12ihipStream_tbEUlmE_hEESB_NS0_8identityIvEEEESG_SJ_SK_mSL_SN_bEUlT_E_NS1_11comp_targetILNS1_3genE0ELNS1_11target_archE4294967295ELNS1_3gpuE0ELNS1_3repE0EEENS1_30default_config_static_selectorELNS0_4arch9wavefront6targetE1EEEvT1_,"axG",@progbits,_ZN7rocprim17ROCPRIM_400000_NS6detail17trampoline_kernelINS0_14default_configENS1_25transform_config_selectorIhLb0EEEZNS1_14transform_implILb0ES3_S5_NS0_18transform_iteratorINS0_17counting_iteratorImlEEZNS1_24adjacent_difference_implIS3_Lb1ELb0EPhSB_N6thrust23THRUST_200600_302600_NS4plusIhEEEE10hipError_tPvRmT2_T3_mT4_P12ihipStream_tbEUlmE_hEESB_NS0_8identityIvEEEESG_SJ_SK_mSL_SN_bEUlT_E_NS1_11comp_targetILNS1_3genE0ELNS1_11target_archE4294967295ELNS1_3gpuE0ELNS1_3repE0EEENS1_30default_config_static_selectorELNS0_4arch9wavefront6targetE1EEEvT1_,comdat
	.protected	_ZN7rocprim17ROCPRIM_400000_NS6detail17trampoline_kernelINS0_14default_configENS1_25transform_config_selectorIhLb0EEEZNS1_14transform_implILb0ES3_S5_NS0_18transform_iteratorINS0_17counting_iteratorImlEEZNS1_24adjacent_difference_implIS3_Lb1ELb0EPhSB_N6thrust23THRUST_200600_302600_NS4plusIhEEEE10hipError_tPvRmT2_T3_mT4_P12ihipStream_tbEUlmE_hEESB_NS0_8identityIvEEEESG_SJ_SK_mSL_SN_bEUlT_E_NS1_11comp_targetILNS1_3genE0ELNS1_11target_archE4294967295ELNS1_3gpuE0ELNS1_3repE0EEENS1_30default_config_static_selectorELNS0_4arch9wavefront6targetE1EEEvT1_ ; -- Begin function _ZN7rocprim17ROCPRIM_400000_NS6detail17trampoline_kernelINS0_14default_configENS1_25transform_config_selectorIhLb0EEEZNS1_14transform_implILb0ES3_S5_NS0_18transform_iteratorINS0_17counting_iteratorImlEEZNS1_24adjacent_difference_implIS3_Lb1ELb0EPhSB_N6thrust23THRUST_200600_302600_NS4plusIhEEEE10hipError_tPvRmT2_T3_mT4_P12ihipStream_tbEUlmE_hEESB_NS0_8identityIvEEEESG_SJ_SK_mSL_SN_bEUlT_E_NS1_11comp_targetILNS1_3genE0ELNS1_11target_archE4294967295ELNS1_3gpuE0ELNS1_3repE0EEENS1_30default_config_static_selectorELNS0_4arch9wavefront6targetE1EEEvT1_
	.globl	_ZN7rocprim17ROCPRIM_400000_NS6detail17trampoline_kernelINS0_14default_configENS1_25transform_config_selectorIhLb0EEEZNS1_14transform_implILb0ES3_S5_NS0_18transform_iteratorINS0_17counting_iteratorImlEEZNS1_24adjacent_difference_implIS3_Lb1ELb0EPhSB_N6thrust23THRUST_200600_302600_NS4plusIhEEEE10hipError_tPvRmT2_T3_mT4_P12ihipStream_tbEUlmE_hEESB_NS0_8identityIvEEEESG_SJ_SK_mSL_SN_bEUlT_E_NS1_11comp_targetILNS1_3genE0ELNS1_11target_archE4294967295ELNS1_3gpuE0ELNS1_3repE0EEENS1_30default_config_static_selectorELNS0_4arch9wavefront6targetE1EEEvT1_
	.p2align	8
	.type	_ZN7rocprim17ROCPRIM_400000_NS6detail17trampoline_kernelINS0_14default_configENS1_25transform_config_selectorIhLb0EEEZNS1_14transform_implILb0ES3_S5_NS0_18transform_iteratorINS0_17counting_iteratorImlEEZNS1_24adjacent_difference_implIS3_Lb1ELb0EPhSB_N6thrust23THRUST_200600_302600_NS4plusIhEEEE10hipError_tPvRmT2_T3_mT4_P12ihipStream_tbEUlmE_hEESB_NS0_8identityIvEEEESG_SJ_SK_mSL_SN_bEUlT_E_NS1_11comp_targetILNS1_3genE0ELNS1_11target_archE4294967295ELNS1_3gpuE0ELNS1_3repE0EEENS1_30default_config_static_selectorELNS0_4arch9wavefront6targetE1EEEvT1_,@function
_ZN7rocprim17ROCPRIM_400000_NS6detail17trampoline_kernelINS0_14default_configENS1_25transform_config_selectorIhLb0EEEZNS1_14transform_implILb0ES3_S5_NS0_18transform_iteratorINS0_17counting_iteratorImlEEZNS1_24adjacent_difference_implIS3_Lb1ELb0EPhSB_N6thrust23THRUST_200600_302600_NS4plusIhEEEE10hipError_tPvRmT2_T3_mT4_P12ihipStream_tbEUlmE_hEESB_NS0_8identityIvEEEESG_SJ_SK_mSL_SN_bEUlT_E_NS1_11comp_targetILNS1_3genE0ELNS1_11target_archE4294967295ELNS1_3gpuE0ELNS1_3repE0EEENS1_30default_config_static_selectorELNS0_4arch9wavefront6targetE1EEEvT1_: ; @_ZN7rocprim17ROCPRIM_400000_NS6detail17trampoline_kernelINS0_14default_configENS1_25transform_config_selectorIhLb0EEEZNS1_14transform_implILb0ES3_S5_NS0_18transform_iteratorINS0_17counting_iteratorImlEEZNS1_24adjacent_difference_implIS3_Lb1ELb0EPhSB_N6thrust23THRUST_200600_302600_NS4plusIhEEEE10hipError_tPvRmT2_T3_mT4_P12ihipStream_tbEUlmE_hEESB_NS0_8identityIvEEEESG_SJ_SK_mSL_SN_bEUlT_E_NS1_11comp_targetILNS1_3genE0ELNS1_11target_archE4294967295ELNS1_3gpuE0ELNS1_3repE0EEENS1_30default_config_static_selectorELNS0_4arch9wavefront6targetE1EEEvT1_
; %bb.0:
	.section	.rodata,"a",@progbits
	.p2align	6, 0x0
	.amdhsa_kernel _ZN7rocprim17ROCPRIM_400000_NS6detail17trampoline_kernelINS0_14default_configENS1_25transform_config_selectorIhLb0EEEZNS1_14transform_implILb0ES3_S5_NS0_18transform_iteratorINS0_17counting_iteratorImlEEZNS1_24adjacent_difference_implIS3_Lb1ELb0EPhSB_N6thrust23THRUST_200600_302600_NS4plusIhEEEE10hipError_tPvRmT2_T3_mT4_P12ihipStream_tbEUlmE_hEESB_NS0_8identityIvEEEESG_SJ_SK_mSL_SN_bEUlT_E_NS1_11comp_targetILNS1_3genE0ELNS1_11target_archE4294967295ELNS1_3gpuE0ELNS1_3repE0EEENS1_30default_config_static_selectorELNS0_4arch9wavefront6targetE1EEEvT1_
		.amdhsa_group_segment_fixed_size 0
		.amdhsa_private_segment_fixed_size 0
		.amdhsa_kernarg_size 56
		.amdhsa_user_sgpr_count 6
		.amdhsa_user_sgpr_private_segment_buffer 1
		.amdhsa_user_sgpr_dispatch_ptr 0
		.amdhsa_user_sgpr_queue_ptr 0
		.amdhsa_user_sgpr_kernarg_segment_ptr 1
		.amdhsa_user_sgpr_dispatch_id 0
		.amdhsa_user_sgpr_flat_scratch_init 0
		.amdhsa_user_sgpr_kernarg_preload_length 0
		.amdhsa_user_sgpr_kernarg_preload_offset 0
		.amdhsa_user_sgpr_private_segment_size 0
		.amdhsa_uses_dynamic_stack 0
		.amdhsa_system_sgpr_private_segment_wavefront_offset 0
		.amdhsa_system_sgpr_workgroup_id_x 1
		.amdhsa_system_sgpr_workgroup_id_y 0
		.amdhsa_system_sgpr_workgroup_id_z 0
		.amdhsa_system_sgpr_workgroup_info 0
		.amdhsa_system_vgpr_workitem_id 0
		.amdhsa_next_free_vgpr 1
		.amdhsa_next_free_sgpr 0
		.amdhsa_accum_offset 4
		.amdhsa_reserve_vcc 0
		.amdhsa_reserve_flat_scratch 0
		.amdhsa_float_round_mode_32 0
		.amdhsa_float_round_mode_16_64 0
		.amdhsa_float_denorm_mode_32 3
		.amdhsa_float_denorm_mode_16_64 3
		.amdhsa_dx10_clamp 1
		.amdhsa_ieee_mode 1
		.amdhsa_fp16_overflow 0
		.amdhsa_tg_split 0
		.amdhsa_exception_fp_ieee_invalid_op 0
		.amdhsa_exception_fp_denorm_src 0
		.amdhsa_exception_fp_ieee_div_zero 0
		.amdhsa_exception_fp_ieee_overflow 0
		.amdhsa_exception_fp_ieee_underflow 0
		.amdhsa_exception_fp_ieee_inexact 0
		.amdhsa_exception_int_div_zero 0
	.end_amdhsa_kernel
	.section	.text._ZN7rocprim17ROCPRIM_400000_NS6detail17trampoline_kernelINS0_14default_configENS1_25transform_config_selectorIhLb0EEEZNS1_14transform_implILb0ES3_S5_NS0_18transform_iteratorINS0_17counting_iteratorImlEEZNS1_24adjacent_difference_implIS3_Lb1ELb0EPhSB_N6thrust23THRUST_200600_302600_NS4plusIhEEEE10hipError_tPvRmT2_T3_mT4_P12ihipStream_tbEUlmE_hEESB_NS0_8identityIvEEEESG_SJ_SK_mSL_SN_bEUlT_E_NS1_11comp_targetILNS1_3genE0ELNS1_11target_archE4294967295ELNS1_3gpuE0ELNS1_3repE0EEENS1_30default_config_static_selectorELNS0_4arch9wavefront6targetE1EEEvT1_,"axG",@progbits,_ZN7rocprim17ROCPRIM_400000_NS6detail17trampoline_kernelINS0_14default_configENS1_25transform_config_selectorIhLb0EEEZNS1_14transform_implILb0ES3_S5_NS0_18transform_iteratorINS0_17counting_iteratorImlEEZNS1_24adjacent_difference_implIS3_Lb1ELb0EPhSB_N6thrust23THRUST_200600_302600_NS4plusIhEEEE10hipError_tPvRmT2_T3_mT4_P12ihipStream_tbEUlmE_hEESB_NS0_8identityIvEEEESG_SJ_SK_mSL_SN_bEUlT_E_NS1_11comp_targetILNS1_3genE0ELNS1_11target_archE4294967295ELNS1_3gpuE0ELNS1_3repE0EEENS1_30default_config_static_selectorELNS0_4arch9wavefront6targetE1EEEvT1_,comdat
.Lfunc_end296:
	.size	_ZN7rocprim17ROCPRIM_400000_NS6detail17trampoline_kernelINS0_14default_configENS1_25transform_config_selectorIhLb0EEEZNS1_14transform_implILb0ES3_S5_NS0_18transform_iteratorINS0_17counting_iteratorImlEEZNS1_24adjacent_difference_implIS3_Lb1ELb0EPhSB_N6thrust23THRUST_200600_302600_NS4plusIhEEEE10hipError_tPvRmT2_T3_mT4_P12ihipStream_tbEUlmE_hEESB_NS0_8identityIvEEEESG_SJ_SK_mSL_SN_bEUlT_E_NS1_11comp_targetILNS1_3genE0ELNS1_11target_archE4294967295ELNS1_3gpuE0ELNS1_3repE0EEENS1_30default_config_static_selectorELNS0_4arch9wavefront6targetE1EEEvT1_, .Lfunc_end296-_ZN7rocprim17ROCPRIM_400000_NS6detail17trampoline_kernelINS0_14default_configENS1_25transform_config_selectorIhLb0EEEZNS1_14transform_implILb0ES3_S5_NS0_18transform_iteratorINS0_17counting_iteratorImlEEZNS1_24adjacent_difference_implIS3_Lb1ELb0EPhSB_N6thrust23THRUST_200600_302600_NS4plusIhEEEE10hipError_tPvRmT2_T3_mT4_P12ihipStream_tbEUlmE_hEESB_NS0_8identityIvEEEESG_SJ_SK_mSL_SN_bEUlT_E_NS1_11comp_targetILNS1_3genE0ELNS1_11target_archE4294967295ELNS1_3gpuE0ELNS1_3repE0EEENS1_30default_config_static_selectorELNS0_4arch9wavefront6targetE1EEEvT1_
                                        ; -- End function
	.section	.AMDGPU.csdata,"",@progbits
; Kernel info:
; codeLenInByte = 0
; NumSgprs: 4
; NumVgprs: 0
; NumAgprs: 0
; TotalNumVgprs: 0
; ScratchSize: 0
; MemoryBound: 0
; FloatMode: 240
; IeeeMode: 1
; LDSByteSize: 0 bytes/workgroup (compile time only)
; SGPRBlocks: 0
; VGPRBlocks: 0
; NumSGPRsForWavesPerEU: 4
; NumVGPRsForWavesPerEU: 1
; AccumOffset: 4
; Occupancy: 8
; WaveLimiterHint : 0
; COMPUTE_PGM_RSRC2:SCRATCH_EN: 0
; COMPUTE_PGM_RSRC2:USER_SGPR: 6
; COMPUTE_PGM_RSRC2:TRAP_HANDLER: 0
; COMPUTE_PGM_RSRC2:TGID_X_EN: 1
; COMPUTE_PGM_RSRC2:TGID_Y_EN: 0
; COMPUTE_PGM_RSRC2:TGID_Z_EN: 0
; COMPUTE_PGM_RSRC2:TIDIG_COMP_CNT: 0
; COMPUTE_PGM_RSRC3_GFX90A:ACCUM_OFFSET: 0
; COMPUTE_PGM_RSRC3_GFX90A:TG_SPLIT: 0
	.section	.text._ZN7rocprim17ROCPRIM_400000_NS6detail17trampoline_kernelINS0_14default_configENS1_25transform_config_selectorIhLb0EEEZNS1_14transform_implILb0ES3_S5_NS0_18transform_iteratorINS0_17counting_iteratorImlEEZNS1_24adjacent_difference_implIS3_Lb1ELb0EPhSB_N6thrust23THRUST_200600_302600_NS4plusIhEEEE10hipError_tPvRmT2_T3_mT4_P12ihipStream_tbEUlmE_hEESB_NS0_8identityIvEEEESG_SJ_SK_mSL_SN_bEUlT_E_NS1_11comp_targetILNS1_3genE5ELNS1_11target_archE942ELNS1_3gpuE9ELNS1_3repE0EEENS1_30default_config_static_selectorELNS0_4arch9wavefront6targetE1EEEvT1_,"axG",@progbits,_ZN7rocprim17ROCPRIM_400000_NS6detail17trampoline_kernelINS0_14default_configENS1_25transform_config_selectorIhLb0EEEZNS1_14transform_implILb0ES3_S5_NS0_18transform_iteratorINS0_17counting_iteratorImlEEZNS1_24adjacent_difference_implIS3_Lb1ELb0EPhSB_N6thrust23THRUST_200600_302600_NS4plusIhEEEE10hipError_tPvRmT2_T3_mT4_P12ihipStream_tbEUlmE_hEESB_NS0_8identityIvEEEESG_SJ_SK_mSL_SN_bEUlT_E_NS1_11comp_targetILNS1_3genE5ELNS1_11target_archE942ELNS1_3gpuE9ELNS1_3repE0EEENS1_30default_config_static_selectorELNS0_4arch9wavefront6targetE1EEEvT1_,comdat
	.protected	_ZN7rocprim17ROCPRIM_400000_NS6detail17trampoline_kernelINS0_14default_configENS1_25transform_config_selectorIhLb0EEEZNS1_14transform_implILb0ES3_S5_NS0_18transform_iteratorINS0_17counting_iteratorImlEEZNS1_24adjacent_difference_implIS3_Lb1ELb0EPhSB_N6thrust23THRUST_200600_302600_NS4plusIhEEEE10hipError_tPvRmT2_T3_mT4_P12ihipStream_tbEUlmE_hEESB_NS0_8identityIvEEEESG_SJ_SK_mSL_SN_bEUlT_E_NS1_11comp_targetILNS1_3genE5ELNS1_11target_archE942ELNS1_3gpuE9ELNS1_3repE0EEENS1_30default_config_static_selectorELNS0_4arch9wavefront6targetE1EEEvT1_ ; -- Begin function _ZN7rocprim17ROCPRIM_400000_NS6detail17trampoline_kernelINS0_14default_configENS1_25transform_config_selectorIhLb0EEEZNS1_14transform_implILb0ES3_S5_NS0_18transform_iteratorINS0_17counting_iteratorImlEEZNS1_24adjacent_difference_implIS3_Lb1ELb0EPhSB_N6thrust23THRUST_200600_302600_NS4plusIhEEEE10hipError_tPvRmT2_T3_mT4_P12ihipStream_tbEUlmE_hEESB_NS0_8identityIvEEEESG_SJ_SK_mSL_SN_bEUlT_E_NS1_11comp_targetILNS1_3genE5ELNS1_11target_archE942ELNS1_3gpuE9ELNS1_3repE0EEENS1_30default_config_static_selectorELNS0_4arch9wavefront6targetE1EEEvT1_
	.globl	_ZN7rocprim17ROCPRIM_400000_NS6detail17trampoline_kernelINS0_14default_configENS1_25transform_config_selectorIhLb0EEEZNS1_14transform_implILb0ES3_S5_NS0_18transform_iteratorINS0_17counting_iteratorImlEEZNS1_24adjacent_difference_implIS3_Lb1ELb0EPhSB_N6thrust23THRUST_200600_302600_NS4plusIhEEEE10hipError_tPvRmT2_T3_mT4_P12ihipStream_tbEUlmE_hEESB_NS0_8identityIvEEEESG_SJ_SK_mSL_SN_bEUlT_E_NS1_11comp_targetILNS1_3genE5ELNS1_11target_archE942ELNS1_3gpuE9ELNS1_3repE0EEENS1_30default_config_static_selectorELNS0_4arch9wavefront6targetE1EEEvT1_
	.p2align	8
	.type	_ZN7rocprim17ROCPRIM_400000_NS6detail17trampoline_kernelINS0_14default_configENS1_25transform_config_selectorIhLb0EEEZNS1_14transform_implILb0ES3_S5_NS0_18transform_iteratorINS0_17counting_iteratorImlEEZNS1_24adjacent_difference_implIS3_Lb1ELb0EPhSB_N6thrust23THRUST_200600_302600_NS4plusIhEEEE10hipError_tPvRmT2_T3_mT4_P12ihipStream_tbEUlmE_hEESB_NS0_8identityIvEEEESG_SJ_SK_mSL_SN_bEUlT_E_NS1_11comp_targetILNS1_3genE5ELNS1_11target_archE942ELNS1_3gpuE9ELNS1_3repE0EEENS1_30default_config_static_selectorELNS0_4arch9wavefront6targetE1EEEvT1_,@function
_ZN7rocprim17ROCPRIM_400000_NS6detail17trampoline_kernelINS0_14default_configENS1_25transform_config_selectorIhLb0EEEZNS1_14transform_implILb0ES3_S5_NS0_18transform_iteratorINS0_17counting_iteratorImlEEZNS1_24adjacent_difference_implIS3_Lb1ELb0EPhSB_N6thrust23THRUST_200600_302600_NS4plusIhEEEE10hipError_tPvRmT2_T3_mT4_P12ihipStream_tbEUlmE_hEESB_NS0_8identityIvEEEESG_SJ_SK_mSL_SN_bEUlT_E_NS1_11comp_targetILNS1_3genE5ELNS1_11target_archE942ELNS1_3gpuE9ELNS1_3repE0EEENS1_30default_config_static_selectorELNS0_4arch9wavefront6targetE1EEEvT1_: ; @_ZN7rocprim17ROCPRIM_400000_NS6detail17trampoline_kernelINS0_14default_configENS1_25transform_config_selectorIhLb0EEEZNS1_14transform_implILb0ES3_S5_NS0_18transform_iteratorINS0_17counting_iteratorImlEEZNS1_24adjacent_difference_implIS3_Lb1ELb0EPhSB_N6thrust23THRUST_200600_302600_NS4plusIhEEEE10hipError_tPvRmT2_T3_mT4_P12ihipStream_tbEUlmE_hEESB_NS0_8identityIvEEEESG_SJ_SK_mSL_SN_bEUlT_E_NS1_11comp_targetILNS1_3genE5ELNS1_11target_archE942ELNS1_3gpuE9ELNS1_3repE0EEENS1_30default_config_static_selectorELNS0_4arch9wavefront6targetE1EEEvT1_
; %bb.0:
	.section	.rodata,"a",@progbits
	.p2align	6, 0x0
	.amdhsa_kernel _ZN7rocprim17ROCPRIM_400000_NS6detail17trampoline_kernelINS0_14default_configENS1_25transform_config_selectorIhLb0EEEZNS1_14transform_implILb0ES3_S5_NS0_18transform_iteratorINS0_17counting_iteratorImlEEZNS1_24adjacent_difference_implIS3_Lb1ELb0EPhSB_N6thrust23THRUST_200600_302600_NS4plusIhEEEE10hipError_tPvRmT2_T3_mT4_P12ihipStream_tbEUlmE_hEESB_NS0_8identityIvEEEESG_SJ_SK_mSL_SN_bEUlT_E_NS1_11comp_targetILNS1_3genE5ELNS1_11target_archE942ELNS1_3gpuE9ELNS1_3repE0EEENS1_30default_config_static_selectorELNS0_4arch9wavefront6targetE1EEEvT1_
		.amdhsa_group_segment_fixed_size 0
		.amdhsa_private_segment_fixed_size 0
		.amdhsa_kernarg_size 56
		.amdhsa_user_sgpr_count 6
		.amdhsa_user_sgpr_private_segment_buffer 1
		.amdhsa_user_sgpr_dispatch_ptr 0
		.amdhsa_user_sgpr_queue_ptr 0
		.amdhsa_user_sgpr_kernarg_segment_ptr 1
		.amdhsa_user_sgpr_dispatch_id 0
		.amdhsa_user_sgpr_flat_scratch_init 0
		.amdhsa_user_sgpr_kernarg_preload_length 0
		.amdhsa_user_sgpr_kernarg_preload_offset 0
		.amdhsa_user_sgpr_private_segment_size 0
		.amdhsa_uses_dynamic_stack 0
		.amdhsa_system_sgpr_private_segment_wavefront_offset 0
		.amdhsa_system_sgpr_workgroup_id_x 1
		.amdhsa_system_sgpr_workgroup_id_y 0
		.amdhsa_system_sgpr_workgroup_id_z 0
		.amdhsa_system_sgpr_workgroup_info 0
		.amdhsa_system_vgpr_workitem_id 0
		.amdhsa_next_free_vgpr 1
		.amdhsa_next_free_sgpr 0
		.amdhsa_accum_offset 4
		.amdhsa_reserve_vcc 0
		.amdhsa_reserve_flat_scratch 0
		.amdhsa_float_round_mode_32 0
		.amdhsa_float_round_mode_16_64 0
		.amdhsa_float_denorm_mode_32 3
		.amdhsa_float_denorm_mode_16_64 3
		.amdhsa_dx10_clamp 1
		.amdhsa_ieee_mode 1
		.amdhsa_fp16_overflow 0
		.amdhsa_tg_split 0
		.amdhsa_exception_fp_ieee_invalid_op 0
		.amdhsa_exception_fp_denorm_src 0
		.amdhsa_exception_fp_ieee_div_zero 0
		.amdhsa_exception_fp_ieee_overflow 0
		.amdhsa_exception_fp_ieee_underflow 0
		.amdhsa_exception_fp_ieee_inexact 0
		.amdhsa_exception_int_div_zero 0
	.end_amdhsa_kernel
	.section	.text._ZN7rocprim17ROCPRIM_400000_NS6detail17trampoline_kernelINS0_14default_configENS1_25transform_config_selectorIhLb0EEEZNS1_14transform_implILb0ES3_S5_NS0_18transform_iteratorINS0_17counting_iteratorImlEEZNS1_24adjacent_difference_implIS3_Lb1ELb0EPhSB_N6thrust23THRUST_200600_302600_NS4plusIhEEEE10hipError_tPvRmT2_T3_mT4_P12ihipStream_tbEUlmE_hEESB_NS0_8identityIvEEEESG_SJ_SK_mSL_SN_bEUlT_E_NS1_11comp_targetILNS1_3genE5ELNS1_11target_archE942ELNS1_3gpuE9ELNS1_3repE0EEENS1_30default_config_static_selectorELNS0_4arch9wavefront6targetE1EEEvT1_,"axG",@progbits,_ZN7rocprim17ROCPRIM_400000_NS6detail17trampoline_kernelINS0_14default_configENS1_25transform_config_selectorIhLb0EEEZNS1_14transform_implILb0ES3_S5_NS0_18transform_iteratorINS0_17counting_iteratorImlEEZNS1_24adjacent_difference_implIS3_Lb1ELb0EPhSB_N6thrust23THRUST_200600_302600_NS4plusIhEEEE10hipError_tPvRmT2_T3_mT4_P12ihipStream_tbEUlmE_hEESB_NS0_8identityIvEEEESG_SJ_SK_mSL_SN_bEUlT_E_NS1_11comp_targetILNS1_3genE5ELNS1_11target_archE942ELNS1_3gpuE9ELNS1_3repE0EEENS1_30default_config_static_selectorELNS0_4arch9wavefront6targetE1EEEvT1_,comdat
.Lfunc_end297:
	.size	_ZN7rocprim17ROCPRIM_400000_NS6detail17trampoline_kernelINS0_14default_configENS1_25transform_config_selectorIhLb0EEEZNS1_14transform_implILb0ES3_S5_NS0_18transform_iteratorINS0_17counting_iteratorImlEEZNS1_24adjacent_difference_implIS3_Lb1ELb0EPhSB_N6thrust23THRUST_200600_302600_NS4plusIhEEEE10hipError_tPvRmT2_T3_mT4_P12ihipStream_tbEUlmE_hEESB_NS0_8identityIvEEEESG_SJ_SK_mSL_SN_bEUlT_E_NS1_11comp_targetILNS1_3genE5ELNS1_11target_archE942ELNS1_3gpuE9ELNS1_3repE0EEENS1_30default_config_static_selectorELNS0_4arch9wavefront6targetE1EEEvT1_, .Lfunc_end297-_ZN7rocprim17ROCPRIM_400000_NS6detail17trampoline_kernelINS0_14default_configENS1_25transform_config_selectorIhLb0EEEZNS1_14transform_implILb0ES3_S5_NS0_18transform_iteratorINS0_17counting_iteratorImlEEZNS1_24adjacent_difference_implIS3_Lb1ELb0EPhSB_N6thrust23THRUST_200600_302600_NS4plusIhEEEE10hipError_tPvRmT2_T3_mT4_P12ihipStream_tbEUlmE_hEESB_NS0_8identityIvEEEESG_SJ_SK_mSL_SN_bEUlT_E_NS1_11comp_targetILNS1_3genE5ELNS1_11target_archE942ELNS1_3gpuE9ELNS1_3repE0EEENS1_30default_config_static_selectorELNS0_4arch9wavefront6targetE1EEEvT1_
                                        ; -- End function
	.section	.AMDGPU.csdata,"",@progbits
; Kernel info:
; codeLenInByte = 0
; NumSgprs: 4
; NumVgprs: 0
; NumAgprs: 0
; TotalNumVgprs: 0
; ScratchSize: 0
; MemoryBound: 0
; FloatMode: 240
; IeeeMode: 1
; LDSByteSize: 0 bytes/workgroup (compile time only)
; SGPRBlocks: 0
; VGPRBlocks: 0
; NumSGPRsForWavesPerEU: 4
; NumVGPRsForWavesPerEU: 1
; AccumOffset: 4
; Occupancy: 8
; WaveLimiterHint : 0
; COMPUTE_PGM_RSRC2:SCRATCH_EN: 0
; COMPUTE_PGM_RSRC2:USER_SGPR: 6
; COMPUTE_PGM_RSRC2:TRAP_HANDLER: 0
; COMPUTE_PGM_RSRC2:TGID_X_EN: 1
; COMPUTE_PGM_RSRC2:TGID_Y_EN: 0
; COMPUTE_PGM_RSRC2:TGID_Z_EN: 0
; COMPUTE_PGM_RSRC2:TIDIG_COMP_CNT: 0
; COMPUTE_PGM_RSRC3_GFX90A:ACCUM_OFFSET: 0
; COMPUTE_PGM_RSRC3_GFX90A:TG_SPLIT: 0
	.section	.text._ZN7rocprim17ROCPRIM_400000_NS6detail17trampoline_kernelINS0_14default_configENS1_25transform_config_selectorIhLb0EEEZNS1_14transform_implILb0ES3_S5_NS0_18transform_iteratorINS0_17counting_iteratorImlEEZNS1_24adjacent_difference_implIS3_Lb1ELb0EPhSB_N6thrust23THRUST_200600_302600_NS4plusIhEEEE10hipError_tPvRmT2_T3_mT4_P12ihipStream_tbEUlmE_hEESB_NS0_8identityIvEEEESG_SJ_SK_mSL_SN_bEUlT_E_NS1_11comp_targetILNS1_3genE4ELNS1_11target_archE910ELNS1_3gpuE8ELNS1_3repE0EEENS1_30default_config_static_selectorELNS0_4arch9wavefront6targetE1EEEvT1_,"axG",@progbits,_ZN7rocprim17ROCPRIM_400000_NS6detail17trampoline_kernelINS0_14default_configENS1_25transform_config_selectorIhLb0EEEZNS1_14transform_implILb0ES3_S5_NS0_18transform_iteratorINS0_17counting_iteratorImlEEZNS1_24adjacent_difference_implIS3_Lb1ELb0EPhSB_N6thrust23THRUST_200600_302600_NS4plusIhEEEE10hipError_tPvRmT2_T3_mT4_P12ihipStream_tbEUlmE_hEESB_NS0_8identityIvEEEESG_SJ_SK_mSL_SN_bEUlT_E_NS1_11comp_targetILNS1_3genE4ELNS1_11target_archE910ELNS1_3gpuE8ELNS1_3repE0EEENS1_30default_config_static_selectorELNS0_4arch9wavefront6targetE1EEEvT1_,comdat
	.protected	_ZN7rocprim17ROCPRIM_400000_NS6detail17trampoline_kernelINS0_14default_configENS1_25transform_config_selectorIhLb0EEEZNS1_14transform_implILb0ES3_S5_NS0_18transform_iteratorINS0_17counting_iteratorImlEEZNS1_24adjacent_difference_implIS3_Lb1ELb0EPhSB_N6thrust23THRUST_200600_302600_NS4plusIhEEEE10hipError_tPvRmT2_T3_mT4_P12ihipStream_tbEUlmE_hEESB_NS0_8identityIvEEEESG_SJ_SK_mSL_SN_bEUlT_E_NS1_11comp_targetILNS1_3genE4ELNS1_11target_archE910ELNS1_3gpuE8ELNS1_3repE0EEENS1_30default_config_static_selectorELNS0_4arch9wavefront6targetE1EEEvT1_ ; -- Begin function _ZN7rocprim17ROCPRIM_400000_NS6detail17trampoline_kernelINS0_14default_configENS1_25transform_config_selectorIhLb0EEEZNS1_14transform_implILb0ES3_S5_NS0_18transform_iteratorINS0_17counting_iteratorImlEEZNS1_24adjacent_difference_implIS3_Lb1ELb0EPhSB_N6thrust23THRUST_200600_302600_NS4plusIhEEEE10hipError_tPvRmT2_T3_mT4_P12ihipStream_tbEUlmE_hEESB_NS0_8identityIvEEEESG_SJ_SK_mSL_SN_bEUlT_E_NS1_11comp_targetILNS1_3genE4ELNS1_11target_archE910ELNS1_3gpuE8ELNS1_3repE0EEENS1_30default_config_static_selectorELNS0_4arch9wavefront6targetE1EEEvT1_
	.globl	_ZN7rocprim17ROCPRIM_400000_NS6detail17trampoline_kernelINS0_14default_configENS1_25transform_config_selectorIhLb0EEEZNS1_14transform_implILb0ES3_S5_NS0_18transform_iteratorINS0_17counting_iteratorImlEEZNS1_24adjacent_difference_implIS3_Lb1ELb0EPhSB_N6thrust23THRUST_200600_302600_NS4plusIhEEEE10hipError_tPvRmT2_T3_mT4_P12ihipStream_tbEUlmE_hEESB_NS0_8identityIvEEEESG_SJ_SK_mSL_SN_bEUlT_E_NS1_11comp_targetILNS1_3genE4ELNS1_11target_archE910ELNS1_3gpuE8ELNS1_3repE0EEENS1_30default_config_static_selectorELNS0_4arch9wavefront6targetE1EEEvT1_
	.p2align	8
	.type	_ZN7rocprim17ROCPRIM_400000_NS6detail17trampoline_kernelINS0_14default_configENS1_25transform_config_selectorIhLb0EEEZNS1_14transform_implILb0ES3_S5_NS0_18transform_iteratorINS0_17counting_iteratorImlEEZNS1_24adjacent_difference_implIS3_Lb1ELb0EPhSB_N6thrust23THRUST_200600_302600_NS4plusIhEEEE10hipError_tPvRmT2_T3_mT4_P12ihipStream_tbEUlmE_hEESB_NS0_8identityIvEEEESG_SJ_SK_mSL_SN_bEUlT_E_NS1_11comp_targetILNS1_3genE4ELNS1_11target_archE910ELNS1_3gpuE8ELNS1_3repE0EEENS1_30default_config_static_selectorELNS0_4arch9wavefront6targetE1EEEvT1_,@function
_ZN7rocprim17ROCPRIM_400000_NS6detail17trampoline_kernelINS0_14default_configENS1_25transform_config_selectorIhLb0EEEZNS1_14transform_implILb0ES3_S5_NS0_18transform_iteratorINS0_17counting_iteratorImlEEZNS1_24adjacent_difference_implIS3_Lb1ELb0EPhSB_N6thrust23THRUST_200600_302600_NS4plusIhEEEE10hipError_tPvRmT2_T3_mT4_P12ihipStream_tbEUlmE_hEESB_NS0_8identityIvEEEESG_SJ_SK_mSL_SN_bEUlT_E_NS1_11comp_targetILNS1_3genE4ELNS1_11target_archE910ELNS1_3gpuE8ELNS1_3repE0EEENS1_30default_config_static_selectorELNS0_4arch9wavefront6targetE1EEEvT1_: ; @_ZN7rocprim17ROCPRIM_400000_NS6detail17trampoline_kernelINS0_14default_configENS1_25transform_config_selectorIhLb0EEEZNS1_14transform_implILb0ES3_S5_NS0_18transform_iteratorINS0_17counting_iteratorImlEEZNS1_24adjacent_difference_implIS3_Lb1ELb0EPhSB_N6thrust23THRUST_200600_302600_NS4plusIhEEEE10hipError_tPvRmT2_T3_mT4_P12ihipStream_tbEUlmE_hEESB_NS0_8identityIvEEEESG_SJ_SK_mSL_SN_bEUlT_E_NS1_11comp_targetILNS1_3genE4ELNS1_11target_archE910ELNS1_3gpuE8ELNS1_3repE0EEENS1_30default_config_static_selectorELNS0_4arch9wavefront6targetE1EEEvT1_
; %bb.0:
	s_load_dwordx4 s[0:3], s[4:5], 0x18
	s_load_dwordx2 s[8:9], s[4:5], 0x28
	s_waitcnt lgkmcnt(0)
	s_load_dword s3, s[4:5], 0x38
	s_load_dwordx4 s[36:39], s[4:5], 0x0
	s_load_dword s40, s[4:5], 0x10
	s_mov_b32 s41, 0
	s_add_u32 s33, s8, s0
	s_addc_u32 s42, s9, s1
	s_lshl_b32 s43, s6, 10
	s_waitcnt lgkmcnt(0)
	s_add_i32 s3, s3, -1
	s_add_u32 s4, s36, s43
	s_addc_u32 s5, s37, 0
	s_add_u32 s44, s4, s0
	s_addc_u32 s45, s5, s1
	s_cmp_lg_u32 s6, s3
	s_cbranch_scc0 .LBB298_2
; %bb.1:
	v_add_co_u32_e32 v4, vcc, s44, v0
	v_pk_mov_b32 v[2:3], s[38:39], s[38:39] op_sel:[0,1]
	v_mov_b32_e32 v1, s45
	v_mad_u64_u32 v[2:3], s[0:1], v4, s40, v[2:3]
	v_addc_co_u32_e32 v1, vcc, 0, v1, vcc
	v_mov_b32_e32 v4, v3
	v_mad_u64_u32 v[4:5], s[0:1], v1, s40, v[4:5]
	v_mov_b32_e32 v3, v4
	s_lshl_b64 s[0:1], s[40:41], 6
	global_load_ubyte v1, v[2:3], off
	v_mov_b32_e32 v10, s1
	v_add_co_u32_e32 v2, vcc, s0, v2
	v_addc_co_u32_e32 v3, vcc, v3, v10, vcc
	v_add_co_u32_e32 v4, vcc, s0, v2
	v_addc_co_u32_e32 v5, vcc, v3, v10, vcc
	;; [unrolled: 2-line block ×4, first 2 shown]
	global_load_ubyte v11, v[2:3], off
	global_load_ubyte v12, v[4:5], off
	;; [unrolled: 1-line block ×4, first 2 shown]
	v_add_co_u32_e32 v2, vcc, s0, v8
	v_addc_co_u32_e32 v3, vcc, v9, v10, vcc
	global_load_ubyte v5, v[2:3], off
	v_add_co_u32_e32 v2, vcc, s0, v2
	v_addc_co_u32_e32 v3, vcc, v3, v10, vcc
	global_load_ubyte v6, v[2:3], off
	;; [unrolled: 3-line block ×11, first 2 shown]
	s_add_u32 s0, s33, s43
	s_addc_u32 s1, s42, 0
	v_mov_b32_e32 v3, s1
	v_add_co_u32_e32 v2, vcc, s0, v0
	v_addc_co_u32_e32 v3, vcc, 0, v3, vcc
	s_mov_b64 s[34:35], -1
	s_waitcnt vmcnt(15)
	global_store_byte v0, v1, s[0:1]
	s_waitcnt vmcnt(15)
	global_store_byte v0, v11, s[0:1] offset:64
	s_waitcnt vmcnt(15)
	global_store_byte v0, v12, s[0:1] offset:128
	;; [unrolled: 2-line block ×14, first 2 shown]
	s_cbranch_execz .LBB298_3
	s_branch .LBB298_68
.LBB298_2:
	s_mov_b64 s[34:35], 0
                                        ; implicit-def: $vgpr4
                                        ; implicit-def: $vgpr2_vgpr3
.LBB298_3:
	s_sub_i32 s36, s2, s43
	v_cmp_gt_u32_e32 vcc, s36, v0
                                        ; implicit-def: $vgpr1
	s_and_saveexec_b64 s[2:3], vcc
	s_cbranch_execz .LBB298_5
; %bb.4:
	v_mov_b32_e32 v1, s45
	s_waitcnt vmcnt(15)
	v_add_co_u32_e64 v4, s[0:1], s44, v0
	v_pk_mov_b32 v[2:3], s[38:39], s[38:39] op_sel:[0,1]
	v_addc_co_u32_e64 v1, s[0:1], 0, v1, s[0:1]
	v_mad_u64_u32 v[2:3], s[0:1], v4, s40, v[2:3]
	v_mov_b32_e32 v4, v3
	v_mad_u64_u32 v[4:5], s[0:1], v1, s40, v[4:5]
	v_mov_b32_e32 v3, v4
	global_load_ubyte v1, v[2:3], off
.LBB298_5:
	s_or_b64 exec, exec, s[2:3]
	v_or_b32_e32 v3, 64, v0
	v_cmp_gt_u32_e64 s[0:1], s36, v3
                                        ; implicit-def: $vgpr2
	s_and_saveexec_b64 s[4:5], s[0:1]
	s_cbranch_execz .LBB298_7
; %bb.6:
	v_mov_b32_e32 v2, s45
	s_waitcnt vmcnt(15)
	v_add_co_u32_e64 v4, s[2:3], s44, v3
	v_addc_co_u32_e64 v5, s[2:3], 0, v2, s[2:3]
	v_pk_mov_b32 v[2:3], s[38:39], s[38:39] op_sel:[0,1]
	v_mad_u64_u32 v[2:3], s[2:3], v4, s40, v[2:3]
	v_mov_b32_e32 v4, v3
	v_mad_u64_u32 v[4:5], s[2:3], v5, s40, v[4:5]
	v_mov_b32_e32 v3, v4
	global_load_ubyte v2, v[2:3], off
.LBB298_7:
	s_or_b64 exec, exec, s[4:5]
	s_waitcnt vmcnt(15)
	v_or_b32_e32 v4, 0x80, v0
	v_cmp_gt_u32_e64 s[2:3], s36, v4
                                        ; implicit-def: $vgpr3
	s_and_saveexec_b64 s[6:7], s[2:3]
	s_cbranch_execz .LBB298_9
; %bb.8:
	v_mov_b32_e32 v3, s45
	v_add_co_u32_e64 v6, s[4:5], s44, v4
	v_pk_mov_b32 v[4:5], s[38:39], s[38:39] op_sel:[0,1]
	v_addc_co_u32_e64 v3, s[4:5], 0, v3, s[4:5]
	v_mad_u64_u32 v[4:5], s[4:5], v6, s40, v[4:5]
	v_mov_b32_e32 v6, v5
	v_mad_u64_u32 v[6:7], s[4:5], v3, s40, v[6:7]
	v_mov_b32_e32 v5, v6
	global_load_ubyte v3, v[4:5], off
.LBB298_9:
	s_or_b64 exec, exec, s[6:7]
	v_or_b32_e32 v5, 0xc0, v0
	v_cmp_gt_u32_e64 s[4:5], s36, v5
                                        ; implicit-def: $vgpr4
	s_and_saveexec_b64 s[8:9], s[4:5]
	s_cbranch_execz .LBB298_11
; %bb.10:
	v_mov_b32_e32 v4, s45
	v_add_co_u32_e64 v6, s[6:7], s44, v5
	v_addc_co_u32_e64 v7, s[6:7], 0, v4, s[6:7]
	v_pk_mov_b32 v[4:5], s[38:39], s[38:39] op_sel:[0,1]
	v_mad_u64_u32 v[4:5], s[6:7], v6, s40, v[4:5]
	v_mov_b32_e32 v6, v5
	v_mad_u64_u32 v[6:7], s[6:7], v7, s40, v[6:7]
	v_mov_b32_e32 v5, v6
	global_load_ubyte v4, v[4:5], off
.LBB298_11:
	s_or_b64 exec, exec, s[8:9]
	v_or_b32_e32 v6, 0x100, v0
	v_cmp_gt_u32_e64 s[6:7], s36, v6
                                        ; implicit-def: $vgpr5
	s_and_saveexec_b64 s[10:11], s[6:7]
	s_cbranch_execz .LBB298_13
; %bb.12:
	v_mov_b32_e32 v5, s45
	v_add_co_u32_e64 v8, s[8:9], s44, v6
	v_pk_mov_b32 v[6:7], s[38:39], s[38:39] op_sel:[0,1]
	v_addc_co_u32_e64 v5, s[8:9], 0, v5, s[8:9]
	v_mad_u64_u32 v[6:7], s[8:9], v8, s40, v[6:7]
	v_mov_b32_e32 v8, v7
	v_mad_u64_u32 v[8:9], s[8:9], v5, s40, v[8:9]
	v_mov_b32_e32 v7, v8
	global_load_ubyte v5, v[6:7], off
.LBB298_13:
	s_or_b64 exec, exec, s[10:11]
	v_or_b32_e32 v7, 0x140, v0
	v_cmp_gt_u32_e64 s[8:9], s36, v7
                                        ; implicit-def: $vgpr6
	s_and_saveexec_b64 s[12:13], s[8:9]
	s_cbranch_execz .LBB298_15
; %bb.14:
	v_mov_b32_e32 v6, s45
	v_add_co_u32_e64 v8, s[10:11], s44, v7
	v_addc_co_u32_e64 v9, s[10:11], 0, v6, s[10:11]
	v_pk_mov_b32 v[6:7], s[38:39], s[38:39] op_sel:[0,1]
	v_mad_u64_u32 v[6:7], s[10:11], v8, s40, v[6:7]
	v_mov_b32_e32 v8, v7
	v_mad_u64_u32 v[8:9], s[10:11], v9, s40, v[8:9]
	v_mov_b32_e32 v7, v8
	global_load_ubyte v6, v[6:7], off
.LBB298_15:
	s_or_b64 exec, exec, s[12:13]
	v_or_b32_e32 v8, 0x180, v0
	v_cmp_gt_u32_e64 s[10:11], s36, v8
                                        ; implicit-def: $vgpr7
	s_and_saveexec_b64 s[14:15], s[10:11]
	s_cbranch_execz .LBB298_17
; %bb.16:
	v_mov_b32_e32 v7, s45
	v_add_co_u32_e64 v10, s[12:13], s44, v8
	v_pk_mov_b32 v[8:9], s[38:39], s[38:39] op_sel:[0,1]
	v_addc_co_u32_e64 v7, s[12:13], 0, v7, s[12:13]
	v_mad_u64_u32 v[8:9], s[12:13], v10, s40, v[8:9]
	v_mov_b32_e32 v10, v9
	v_mad_u64_u32 v[10:11], s[12:13], v7, s40, v[10:11]
	v_mov_b32_e32 v9, v10
	global_load_ubyte v7, v[8:9], off
.LBB298_17:
	s_or_b64 exec, exec, s[14:15]
	v_or_b32_e32 v9, 0x1c0, v0
	v_cmp_gt_u32_e64 s[12:13], s36, v9
                                        ; implicit-def: $vgpr8
	s_and_saveexec_b64 s[16:17], s[12:13]
	s_cbranch_execz .LBB298_19
; %bb.18:
	v_mov_b32_e32 v8, s45
	v_add_co_u32_e64 v10, s[14:15], s44, v9
	v_addc_co_u32_e64 v11, s[14:15], 0, v8, s[14:15]
	v_pk_mov_b32 v[8:9], s[38:39], s[38:39] op_sel:[0,1]
	v_mad_u64_u32 v[8:9], s[14:15], v10, s40, v[8:9]
	v_mov_b32_e32 v10, v9
	v_mad_u64_u32 v[10:11], s[14:15], v11, s40, v[10:11]
	v_mov_b32_e32 v9, v10
	global_load_ubyte v8, v[8:9], off
.LBB298_19:
	s_or_b64 exec, exec, s[16:17]
	v_or_b32_e32 v10, 0x200, v0
	v_cmp_gt_u32_e64 s[14:15], s36, v10
                                        ; implicit-def: $vgpr9
	s_and_saveexec_b64 s[18:19], s[14:15]
	s_cbranch_execz .LBB298_21
; %bb.20:
	v_mov_b32_e32 v9, s45
	v_add_co_u32_e64 v12, s[16:17], s44, v10
	v_pk_mov_b32 v[10:11], s[38:39], s[38:39] op_sel:[0,1]
	v_addc_co_u32_e64 v9, s[16:17], 0, v9, s[16:17]
	v_mad_u64_u32 v[10:11], s[16:17], v12, s40, v[10:11]
	v_mov_b32_e32 v12, v11
	v_mad_u64_u32 v[12:13], s[16:17], v9, s40, v[12:13]
	v_mov_b32_e32 v11, v12
	global_load_ubyte v9, v[10:11], off
.LBB298_21:
	s_or_b64 exec, exec, s[18:19]
	v_or_b32_e32 v11, 0x240, v0
	v_cmp_gt_u32_e64 s[16:17], s36, v11
                                        ; implicit-def: $vgpr10
	s_and_saveexec_b64 s[20:21], s[16:17]
	s_cbranch_execz .LBB298_23
; %bb.22:
	v_mov_b32_e32 v10, s45
	v_add_co_u32_e64 v12, s[18:19], s44, v11
	v_addc_co_u32_e64 v13, s[18:19], 0, v10, s[18:19]
	v_pk_mov_b32 v[10:11], s[38:39], s[38:39] op_sel:[0,1]
	v_mad_u64_u32 v[10:11], s[18:19], v12, s40, v[10:11]
	v_mov_b32_e32 v12, v11
	v_mad_u64_u32 v[12:13], s[18:19], v13, s40, v[12:13]
	v_mov_b32_e32 v11, v12
	global_load_ubyte v10, v[10:11], off
.LBB298_23:
	s_or_b64 exec, exec, s[20:21]
	v_or_b32_e32 v12, 0x280, v0
	v_cmp_gt_u32_e64 s[18:19], s36, v12
                                        ; implicit-def: $vgpr11
	s_and_saveexec_b64 s[22:23], s[18:19]
	s_cbranch_execz .LBB298_25
; %bb.24:
	v_mov_b32_e32 v11, s45
	v_add_co_u32_e64 v14, s[20:21], s44, v12
	v_pk_mov_b32 v[12:13], s[38:39], s[38:39] op_sel:[0,1]
	v_addc_co_u32_e64 v11, s[20:21], 0, v11, s[20:21]
	v_mad_u64_u32 v[12:13], s[20:21], v14, s40, v[12:13]
	v_mov_b32_e32 v14, v13
	v_mad_u64_u32 v[14:15], s[20:21], v11, s40, v[14:15]
	v_mov_b32_e32 v13, v14
	global_load_ubyte v11, v[12:13], off
.LBB298_25:
	s_or_b64 exec, exec, s[22:23]
	v_or_b32_e32 v13, 0x2c0, v0
	v_cmp_gt_u32_e64 s[20:21], s36, v13
                                        ; implicit-def: $vgpr12
	s_and_saveexec_b64 s[24:25], s[20:21]
	s_cbranch_execz .LBB298_27
; %bb.26:
	v_mov_b32_e32 v12, s45
	v_add_co_u32_e64 v14, s[22:23], s44, v13
	v_addc_co_u32_e64 v15, s[22:23], 0, v12, s[22:23]
	v_pk_mov_b32 v[12:13], s[38:39], s[38:39] op_sel:[0,1]
	v_mad_u64_u32 v[12:13], s[22:23], v14, s40, v[12:13]
	v_mov_b32_e32 v14, v13
	v_mad_u64_u32 v[14:15], s[22:23], v15, s40, v[14:15]
	v_mov_b32_e32 v13, v14
	global_load_ubyte v12, v[12:13], off
.LBB298_27:
	s_or_b64 exec, exec, s[24:25]
	v_or_b32_e32 v14, 0x300, v0
	v_cmp_gt_u32_e64 s[22:23], s36, v14
                                        ; implicit-def: $vgpr13
	s_and_saveexec_b64 s[26:27], s[22:23]
	s_cbranch_execz .LBB298_29
; %bb.28:
	v_mov_b32_e32 v13, s45
	v_add_co_u32_e64 v16, s[24:25], s44, v14
	v_pk_mov_b32 v[14:15], s[38:39], s[38:39] op_sel:[0,1]
	v_addc_co_u32_e64 v13, s[24:25], 0, v13, s[24:25]
	v_mad_u64_u32 v[14:15], s[24:25], v16, s40, v[14:15]
	v_mov_b32_e32 v16, v15
	v_mad_u64_u32 v[16:17], s[24:25], v13, s40, v[16:17]
	v_mov_b32_e32 v15, v16
	global_load_ubyte v13, v[14:15], off
.LBB298_29:
	s_or_b64 exec, exec, s[26:27]
	v_or_b32_e32 v15, 0x340, v0
	v_cmp_gt_u32_e64 s[24:25], s36, v15
                                        ; implicit-def: $vgpr14
	s_and_saveexec_b64 s[28:29], s[24:25]
	s_cbranch_execz .LBB298_31
; %bb.30:
	v_mov_b32_e32 v14, s45
	v_add_co_u32_e64 v16, s[26:27], s44, v15
	v_addc_co_u32_e64 v17, s[26:27], 0, v14, s[26:27]
	v_pk_mov_b32 v[14:15], s[38:39], s[38:39] op_sel:[0,1]
	v_mad_u64_u32 v[14:15], s[26:27], v16, s40, v[14:15]
	v_mov_b32_e32 v16, v15
	v_mad_u64_u32 v[16:17], s[26:27], v17, s40, v[16:17]
	v_mov_b32_e32 v15, v16
	global_load_ubyte v14, v[14:15], off
.LBB298_31:
	s_or_b64 exec, exec, s[28:29]
	v_or_b32_e32 v16, 0x380, v0
	v_cmp_gt_u32_e64 s[26:27], s36, v16
                                        ; implicit-def: $vgpr15
	s_and_saveexec_b64 s[30:31], s[26:27]
	s_cbranch_execz .LBB298_33
; %bb.32:
	v_mov_b32_e32 v15, s45
	v_add_co_u32_e64 v18, s[28:29], s44, v16
	v_pk_mov_b32 v[16:17], s[38:39], s[38:39] op_sel:[0,1]
	v_addc_co_u32_e64 v15, s[28:29], 0, v15, s[28:29]
	v_mad_u64_u32 v[16:17], s[28:29], v18, s40, v[16:17]
	v_mov_b32_e32 v18, v17
	v_mad_u64_u32 v[18:19], s[28:29], v15, s40, v[18:19]
	v_mov_b32_e32 v17, v18
	global_load_ubyte v15, v[16:17], off
.LBB298_33:
	s_or_b64 exec, exec, s[30:31]
	v_or_b32_e32 v17, 0x3c0, v0
	v_cmp_gt_u32_e64 s[28:29], s36, v17
                                        ; implicit-def: $vgpr16
	s_and_saveexec_b64 s[36:37], s[28:29]
	s_cbranch_execz .LBB298_35
; %bb.34:
	v_mov_b32_e32 v16, s45
	v_add_co_u32_e64 v18, s[30:31], s44, v17
	v_addc_co_u32_e64 v19, s[30:31], 0, v16, s[30:31]
	v_pk_mov_b32 v[16:17], s[38:39], s[38:39] op_sel:[0,1]
	v_mad_u64_u32 v[16:17], s[30:31], v18, s40, v[16:17]
	v_mov_b32_e32 v18, v17
	v_mad_u64_u32 v[18:19], s[30:31], v19, s40, v[18:19]
	v_mov_b32_e32 v17, v18
	global_load_ubyte v16, v[16:17], off
.LBB298_35:
	s_or_b64 exec, exec, s[36:37]
	s_waitcnt vmcnt(0)
	v_lshlrev_b16_e32 v2, 8, v2
	v_or_b32_sdwa v1, v1, v2 dst_sel:DWORD dst_unused:UNUSED_PAD src0_sel:BYTE_0 src1_sel:DWORD
	v_lshlrev_b16_e32 v2, 8, v4
	v_or_b32_sdwa v2, v3, v2 dst_sel:WORD_1 dst_unused:UNUSED_PAD src0_sel:BYTE_0 src1_sel:DWORD
	v_or_b32_sdwa v17, v1, v2 dst_sel:DWORD dst_unused:UNUSED_PAD src0_sel:WORD_0 src1_sel:DWORD
	v_lshlrev_b16_e32 v1, 8, v6
	v_lshlrev_b16_e32 v2, 8, v8
	v_or_b32_sdwa v1, v5, v1 dst_sel:DWORD dst_unused:UNUSED_PAD src0_sel:BYTE_0 src1_sel:DWORD
	v_or_b32_sdwa v2, v7, v2 dst_sel:WORD_1 dst_unused:UNUSED_PAD src0_sel:BYTE_0 src1_sel:DWORD
	v_or_b32_sdwa v5, v1, v2 dst_sel:DWORD dst_unused:UNUSED_PAD src0_sel:WORD_0 src1_sel:DWORD
	v_lshlrev_b16_e32 v1, 8, v10
	v_lshlrev_b16_e32 v2, 8, v12
	v_or_b32_sdwa v1, v9, v1 dst_sel:DWORD dst_unused:UNUSED_PAD src0_sel:BYTE_0 src1_sel:DWORD
	v_or_b32_sdwa v2, v11, v2 dst_sel:WORD_1 dst_unused:UNUSED_PAD src0_sel:BYTE_0 src1_sel:DWORD
	v_or_b32_sdwa v4, v1, v2 dst_sel:DWORD dst_unused:UNUSED_PAD src0_sel:WORD_0 src1_sel:DWORD
	v_lshlrev_b16_e32 v1, 8, v14
	v_lshlrev_b16_e32 v2, 8, v16
	s_add_u32 s30, s33, s43
	v_or_b32_sdwa v1, v13, v1 dst_sel:DWORD dst_unused:UNUSED_PAD src0_sel:BYTE_0 src1_sel:DWORD
	v_or_b32_sdwa v2, v15, v2 dst_sel:WORD_1 dst_unused:UNUSED_PAD src0_sel:BYTE_0 src1_sel:DWORD
	s_addc_u32 s31, s42, 0
	v_or_b32_sdwa v1, v1, v2 dst_sel:DWORD dst_unused:UNUSED_PAD src0_sel:WORD_0 src1_sel:DWORD
	v_mov_b32_e32 v3, s31
	v_add_co_u32_e64 v2, s[30:31], s30, v0
	v_addc_co_u32_e64 v3, s[30:31], 0, v3, s[30:31]
	s_and_saveexec_b64 s[30:31], vcc
	s_cbranch_execz .LBB298_37
; %bb.36:
	global_store_byte v[2:3], v17, off
.LBB298_37:
	s_or_b64 exec, exec, s[30:31]
	s_and_saveexec_b64 s[30:31], s[0:1]
	s_cbranch_execz .LBB298_39
; %bb.38:
	v_lshrrev_b32_e32 v0, 8, v17
	global_store_byte v[2:3], v0, off offset:64
.LBB298_39:
	s_or_b64 exec, exec, s[30:31]
	s_mov_b32 s0, 0x7060104
	v_perm_b32 v0, v17, v17, s0
	v_cndmask_b32_e64 v6, v0, v17, s[2:3]
	s_and_saveexec_b64 s[0:1], s[2:3]
	s_cbranch_execz .LBB298_41
; %bb.40:
	global_store_byte_d16_hi v[2:3], v6, off offset:128
.LBB298_41:
	s_or_b64 exec, exec, s[0:1]
	s_mov_b32 s0, 0x7020504
	v_perm_b32 v0, v0, v6, s0
	v_cndmask_b32_e64 v0, v0, v17, s[4:5]
	s_and_saveexec_b64 s[0:1], s[4:5]
	s_cbranch_execz .LBB298_43
; %bb.42:
	v_lshrrev_b32_e32 v0, 24, v0
	global_store_byte v[2:3], v0, off offset:192
.LBB298_43:
	s_or_b64 exec, exec, s[0:1]
	s_and_saveexec_b64 s[0:1], s[6:7]
	s_cbranch_execz .LBB298_45
; %bb.44:
	global_store_byte v[2:3], v5, off offset:256
.LBB298_45:
	s_or_b64 exec, exec, s[0:1]
	s_mov_b32 s0, 0x3020104
	v_perm_b32 v0, v5, v5, s0
	v_cndmask_b32_e64 v6, v0, v5, s[8:9]
	s_and_saveexec_b64 s[0:1], s[8:9]
	s_cbranch_execz .LBB298_47
; %bb.46:
	v_lshrrev_b32_e32 v7, 8, v6
	global_store_byte v[2:3], v7, off offset:320
.LBB298_47:
	s_or_b64 exec, exec, s[0:1]
	s_mov_b32 s0, 0x7060104
	v_perm_b32 v0, v0, v6, s0
	v_cndmask_b32_e64 v6, v0, v5, s[10:11]
	s_and_saveexec_b64 s[0:1], s[10:11]
	s_cbranch_execz .LBB298_49
; %bb.48:
	global_store_byte_d16_hi v[2:3], v6, off offset:384
.LBB298_49:
	s_or_b64 exec, exec, s[0:1]
	s_mov_b32 s0, 0x7020504
	v_perm_b32 v0, v0, v6, s0
	v_cndmask_b32_e64 v0, v0, v5, s[12:13]
	s_and_saveexec_b64 s[0:1], s[12:13]
	s_cbranch_execz .LBB298_51
; %bb.50:
	v_lshrrev_b32_e32 v0, 24, v0
	global_store_byte v[2:3], v0, off offset:448
.LBB298_51:
	s_or_b64 exec, exec, s[0:1]
	s_and_saveexec_b64 s[0:1], s[14:15]
	s_cbranch_execz .LBB298_53
; %bb.52:
	global_store_byte v[2:3], v4, off offset:512
.LBB298_53:
	s_or_b64 exec, exec, s[0:1]
	s_mov_b32 s0, 0x3020104
	v_perm_b32 v0, v4, v4, s0
	v_cndmask_b32_e64 v5, v0, v4, s[16:17]
	;; [unrolled: 35-line block ×3, first 2 shown]
	s_and_saveexec_b64 s[0:1], s[24:25]
	s_cbranch_execz .LBB298_63
; %bb.62:
	v_lshrrev_b32_e32 v5, 8, v4
	global_store_byte v[2:3], v5, off offset:832
.LBB298_63:
	s_or_b64 exec, exec, s[0:1]
	s_mov_b32 s0, 0x7060104
	v_perm_b32 v0, v0, v4, s0
	s_and_saveexec_b64 s[0:1], s[26:27]
	s_cbranch_execz .LBB298_65
; %bb.64:
	v_cndmask_b32_e64 v4, v0, v1, s[26:27]
	global_store_byte_d16_hi v[2:3], v4, off offset:896
.LBB298_65:
	s_or_b64 exec, exec, s[0:1]
                                        ; implicit-def: $vgpr4
	s_and_saveexec_b64 s[0:1], s[28:29]
; %bb.66:
	v_cndmask_b32_e64 v0, v0, v1, s[28:29]
	v_lshrrev_b32_e32 v4, 24, v0
	s_or_b64 s[34:35], s[34:35], exec
; %bb.67:
	s_or_b64 exec, exec, s[0:1]
.LBB298_68:
	s_and_saveexec_b64 s[0:1], s[34:35]
	s_cbranch_execnz .LBB298_70
; %bb.69:
	s_endpgm
.LBB298_70:
	s_waitcnt vmcnt(15)
	global_store_byte v[2:3], v4, off offset:960
	s_endpgm
	.section	.rodata,"a",@progbits
	.p2align	6, 0x0
	.amdhsa_kernel _ZN7rocprim17ROCPRIM_400000_NS6detail17trampoline_kernelINS0_14default_configENS1_25transform_config_selectorIhLb0EEEZNS1_14transform_implILb0ES3_S5_NS0_18transform_iteratorINS0_17counting_iteratorImlEEZNS1_24adjacent_difference_implIS3_Lb1ELb0EPhSB_N6thrust23THRUST_200600_302600_NS4plusIhEEEE10hipError_tPvRmT2_T3_mT4_P12ihipStream_tbEUlmE_hEESB_NS0_8identityIvEEEESG_SJ_SK_mSL_SN_bEUlT_E_NS1_11comp_targetILNS1_3genE4ELNS1_11target_archE910ELNS1_3gpuE8ELNS1_3repE0EEENS1_30default_config_static_selectorELNS0_4arch9wavefront6targetE1EEEvT1_
		.amdhsa_group_segment_fixed_size 0
		.amdhsa_private_segment_fixed_size 0
		.amdhsa_kernarg_size 312
		.amdhsa_user_sgpr_count 6
		.amdhsa_user_sgpr_private_segment_buffer 1
		.amdhsa_user_sgpr_dispatch_ptr 0
		.amdhsa_user_sgpr_queue_ptr 0
		.amdhsa_user_sgpr_kernarg_segment_ptr 1
		.amdhsa_user_sgpr_dispatch_id 0
		.amdhsa_user_sgpr_flat_scratch_init 0
		.amdhsa_user_sgpr_kernarg_preload_length 0
		.amdhsa_user_sgpr_kernarg_preload_offset 0
		.amdhsa_user_sgpr_private_segment_size 0
		.amdhsa_uses_dynamic_stack 0
		.amdhsa_system_sgpr_private_segment_wavefront_offset 0
		.amdhsa_system_sgpr_workgroup_id_x 1
		.amdhsa_system_sgpr_workgroup_id_y 0
		.amdhsa_system_sgpr_workgroup_id_z 0
		.amdhsa_system_sgpr_workgroup_info 0
		.amdhsa_system_vgpr_workitem_id 0
		.amdhsa_next_free_vgpr 20
		.amdhsa_next_free_sgpr 46
		.amdhsa_accum_offset 20
		.amdhsa_reserve_vcc 1
		.amdhsa_reserve_flat_scratch 0
		.amdhsa_float_round_mode_32 0
		.amdhsa_float_round_mode_16_64 0
		.amdhsa_float_denorm_mode_32 3
		.amdhsa_float_denorm_mode_16_64 3
		.amdhsa_dx10_clamp 1
		.amdhsa_ieee_mode 1
		.amdhsa_fp16_overflow 0
		.amdhsa_tg_split 0
		.amdhsa_exception_fp_ieee_invalid_op 0
		.amdhsa_exception_fp_denorm_src 0
		.amdhsa_exception_fp_ieee_div_zero 0
		.amdhsa_exception_fp_ieee_overflow 0
		.amdhsa_exception_fp_ieee_underflow 0
		.amdhsa_exception_fp_ieee_inexact 0
		.amdhsa_exception_int_div_zero 0
	.end_amdhsa_kernel
	.section	.text._ZN7rocprim17ROCPRIM_400000_NS6detail17trampoline_kernelINS0_14default_configENS1_25transform_config_selectorIhLb0EEEZNS1_14transform_implILb0ES3_S5_NS0_18transform_iteratorINS0_17counting_iteratorImlEEZNS1_24adjacent_difference_implIS3_Lb1ELb0EPhSB_N6thrust23THRUST_200600_302600_NS4plusIhEEEE10hipError_tPvRmT2_T3_mT4_P12ihipStream_tbEUlmE_hEESB_NS0_8identityIvEEEESG_SJ_SK_mSL_SN_bEUlT_E_NS1_11comp_targetILNS1_3genE4ELNS1_11target_archE910ELNS1_3gpuE8ELNS1_3repE0EEENS1_30default_config_static_selectorELNS0_4arch9wavefront6targetE1EEEvT1_,"axG",@progbits,_ZN7rocprim17ROCPRIM_400000_NS6detail17trampoline_kernelINS0_14default_configENS1_25transform_config_selectorIhLb0EEEZNS1_14transform_implILb0ES3_S5_NS0_18transform_iteratorINS0_17counting_iteratorImlEEZNS1_24adjacent_difference_implIS3_Lb1ELb0EPhSB_N6thrust23THRUST_200600_302600_NS4plusIhEEEE10hipError_tPvRmT2_T3_mT4_P12ihipStream_tbEUlmE_hEESB_NS0_8identityIvEEEESG_SJ_SK_mSL_SN_bEUlT_E_NS1_11comp_targetILNS1_3genE4ELNS1_11target_archE910ELNS1_3gpuE8ELNS1_3repE0EEENS1_30default_config_static_selectorELNS0_4arch9wavefront6targetE1EEEvT1_,comdat
.Lfunc_end298:
	.size	_ZN7rocprim17ROCPRIM_400000_NS6detail17trampoline_kernelINS0_14default_configENS1_25transform_config_selectorIhLb0EEEZNS1_14transform_implILb0ES3_S5_NS0_18transform_iteratorINS0_17counting_iteratorImlEEZNS1_24adjacent_difference_implIS3_Lb1ELb0EPhSB_N6thrust23THRUST_200600_302600_NS4plusIhEEEE10hipError_tPvRmT2_T3_mT4_P12ihipStream_tbEUlmE_hEESB_NS0_8identityIvEEEESG_SJ_SK_mSL_SN_bEUlT_E_NS1_11comp_targetILNS1_3genE4ELNS1_11target_archE910ELNS1_3gpuE8ELNS1_3repE0EEENS1_30default_config_static_selectorELNS0_4arch9wavefront6targetE1EEEvT1_, .Lfunc_end298-_ZN7rocprim17ROCPRIM_400000_NS6detail17trampoline_kernelINS0_14default_configENS1_25transform_config_selectorIhLb0EEEZNS1_14transform_implILb0ES3_S5_NS0_18transform_iteratorINS0_17counting_iteratorImlEEZNS1_24adjacent_difference_implIS3_Lb1ELb0EPhSB_N6thrust23THRUST_200600_302600_NS4plusIhEEEE10hipError_tPvRmT2_T3_mT4_P12ihipStream_tbEUlmE_hEESB_NS0_8identityIvEEEESG_SJ_SK_mSL_SN_bEUlT_E_NS1_11comp_targetILNS1_3genE4ELNS1_11target_archE910ELNS1_3gpuE8ELNS1_3repE0EEENS1_30default_config_static_selectorELNS0_4arch9wavefront6targetE1EEEvT1_
                                        ; -- End function
	.section	.AMDGPU.csdata,"",@progbits
; Kernel info:
; codeLenInByte = 2796
; NumSgprs: 50
; NumVgprs: 20
; NumAgprs: 0
; TotalNumVgprs: 20
; ScratchSize: 0
; MemoryBound: 0
; FloatMode: 240
; IeeeMode: 1
; LDSByteSize: 0 bytes/workgroup (compile time only)
; SGPRBlocks: 6
; VGPRBlocks: 2
; NumSGPRsForWavesPerEU: 50
; NumVGPRsForWavesPerEU: 20
; AccumOffset: 20
; Occupancy: 8
; WaveLimiterHint : 0
; COMPUTE_PGM_RSRC2:SCRATCH_EN: 0
; COMPUTE_PGM_RSRC2:USER_SGPR: 6
; COMPUTE_PGM_RSRC2:TRAP_HANDLER: 0
; COMPUTE_PGM_RSRC2:TGID_X_EN: 1
; COMPUTE_PGM_RSRC2:TGID_Y_EN: 0
; COMPUTE_PGM_RSRC2:TGID_Z_EN: 0
; COMPUTE_PGM_RSRC2:TIDIG_COMP_CNT: 0
; COMPUTE_PGM_RSRC3_GFX90A:ACCUM_OFFSET: 4
; COMPUTE_PGM_RSRC3_GFX90A:TG_SPLIT: 0
	.section	.text._ZN7rocprim17ROCPRIM_400000_NS6detail17trampoline_kernelINS0_14default_configENS1_25transform_config_selectorIhLb0EEEZNS1_14transform_implILb0ES3_S5_NS0_18transform_iteratorINS0_17counting_iteratorImlEEZNS1_24adjacent_difference_implIS3_Lb1ELb0EPhSB_N6thrust23THRUST_200600_302600_NS4plusIhEEEE10hipError_tPvRmT2_T3_mT4_P12ihipStream_tbEUlmE_hEESB_NS0_8identityIvEEEESG_SJ_SK_mSL_SN_bEUlT_E_NS1_11comp_targetILNS1_3genE3ELNS1_11target_archE908ELNS1_3gpuE7ELNS1_3repE0EEENS1_30default_config_static_selectorELNS0_4arch9wavefront6targetE1EEEvT1_,"axG",@progbits,_ZN7rocprim17ROCPRIM_400000_NS6detail17trampoline_kernelINS0_14default_configENS1_25transform_config_selectorIhLb0EEEZNS1_14transform_implILb0ES3_S5_NS0_18transform_iteratorINS0_17counting_iteratorImlEEZNS1_24adjacent_difference_implIS3_Lb1ELb0EPhSB_N6thrust23THRUST_200600_302600_NS4plusIhEEEE10hipError_tPvRmT2_T3_mT4_P12ihipStream_tbEUlmE_hEESB_NS0_8identityIvEEEESG_SJ_SK_mSL_SN_bEUlT_E_NS1_11comp_targetILNS1_3genE3ELNS1_11target_archE908ELNS1_3gpuE7ELNS1_3repE0EEENS1_30default_config_static_selectorELNS0_4arch9wavefront6targetE1EEEvT1_,comdat
	.protected	_ZN7rocprim17ROCPRIM_400000_NS6detail17trampoline_kernelINS0_14default_configENS1_25transform_config_selectorIhLb0EEEZNS1_14transform_implILb0ES3_S5_NS0_18transform_iteratorINS0_17counting_iteratorImlEEZNS1_24adjacent_difference_implIS3_Lb1ELb0EPhSB_N6thrust23THRUST_200600_302600_NS4plusIhEEEE10hipError_tPvRmT2_T3_mT4_P12ihipStream_tbEUlmE_hEESB_NS0_8identityIvEEEESG_SJ_SK_mSL_SN_bEUlT_E_NS1_11comp_targetILNS1_3genE3ELNS1_11target_archE908ELNS1_3gpuE7ELNS1_3repE0EEENS1_30default_config_static_selectorELNS0_4arch9wavefront6targetE1EEEvT1_ ; -- Begin function _ZN7rocprim17ROCPRIM_400000_NS6detail17trampoline_kernelINS0_14default_configENS1_25transform_config_selectorIhLb0EEEZNS1_14transform_implILb0ES3_S5_NS0_18transform_iteratorINS0_17counting_iteratorImlEEZNS1_24adjacent_difference_implIS3_Lb1ELb0EPhSB_N6thrust23THRUST_200600_302600_NS4plusIhEEEE10hipError_tPvRmT2_T3_mT4_P12ihipStream_tbEUlmE_hEESB_NS0_8identityIvEEEESG_SJ_SK_mSL_SN_bEUlT_E_NS1_11comp_targetILNS1_3genE3ELNS1_11target_archE908ELNS1_3gpuE7ELNS1_3repE0EEENS1_30default_config_static_selectorELNS0_4arch9wavefront6targetE1EEEvT1_
	.globl	_ZN7rocprim17ROCPRIM_400000_NS6detail17trampoline_kernelINS0_14default_configENS1_25transform_config_selectorIhLb0EEEZNS1_14transform_implILb0ES3_S5_NS0_18transform_iteratorINS0_17counting_iteratorImlEEZNS1_24adjacent_difference_implIS3_Lb1ELb0EPhSB_N6thrust23THRUST_200600_302600_NS4plusIhEEEE10hipError_tPvRmT2_T3_mT4_P12ihipStream_tbEUlmE_hEESB_NS0_8identityIvEEEESG_SJ_SK_mSL_SN_bEUlT_E_NS1_11comp_targetILNS1_3genE3ELNS1_11target_archE908ELNS1_3gpuE7ELNS1_3repE0EEENS1_30default_config_static_selectorELNS0_4arch9wavefront6targetE1EEEvT1_
	.p2align	8
	.type	_ZN7rocprim17ROCPRIM_400000_NS6detail17trampoline_kernelINS0_14default_configENS1_25transform_config_selectorIhLb0EEEZNS1_14transform_implILb0ES3_S5_NS0_18transform_iteratorINS0_17counting_iteratorImlEEZNS1_24adjacent_difference_implIS3_Lb1ELb0EPhSB_N6thrust23THRUST_200600_302600_NS4plusIhEEEE10hipError_tPvRmT2_T3_mT4_P12ihipStream_tbEUlmE_hEESB_NS0_8identityIvEEEESG_SJ_SK_mSL_SN_bEUlT_E_NS1_11comp_targetILNS1_3genE3ELNS1_11target_archE908ELNS1_3gpuE7ELNS1_3repE0EEENS1_30default_config_static_selectorELNS0_4arch9wavefront6targetE1EEEvT1_,@function
_ZN7rocprim17ROCPRIM_400000_NS6detail17trampoline_kernelINS0_14default_configENS1_25transform_config_selectorIhLb0EEEZNS1_14transform_implILb0ES3_S5_NS0_18transform_iteratorINS0_17counting_iteratorImlEEZNS1_24adjacent_difference_implIS3_Lb1ELb0EPhSB_N6thrust23THRUST_200600_302600_NS4plusIhEEEE10hipError_tPvRmT2_T3_mT4_P12ihipStream_tbEUlmE_hEESB_NS0_8identityIvEEEESG_SJ_SK_mSL_SN_bEUlT_E_NS1_11comp_targetILNS1_3genE3ELNS1_11target_archE908ELNS1_3gpuE7ELNS1_3repE0EEENS1_30default_config_static_selectorELNS0_4arch9wavefront6targetE1EEEvT1_: ; @_ZN7rocprim17ROCPRIM_400000_NS6detail17trampoline_kernelINS0_14default_configENS1_25transform_config_selectorIhLb0EEEZNS1_14transform_implILb0ES3_S5_NS0_18transform_iteratorINS0_17counting_iteratorImlEEZNS1_24adjacent_difference_implIS3_Lb1ELb0EPhSB_N6thrust23THRUST_200600_302600_NS4plusIhEEEE10hipError_tPvRmT2_T3_mT4_P12ihipStream_tbEUlmE_hEESB_NS0_8identityIvEEEESG_SJ_SK_mSL_SN_bEUlT_E_NS1_11comp_targetILNS1_3genE3ELNS1_11target_archE908ELNS1_3gpuE7ELNS1_3repE0EEENS1_30default_config_static_selectorELNS0_4arch9wavefront6targetE1EEEvT1_
; %bb.0:
	.section	.rodata,"a",@progbits
	.p2align	6, 0x0
	.amdhsa_kernel _ZN7rocprim17ROCPRIM_400000_NS6detail17trampoline_kernelINS0_14default_configENS1_25transform_config_selectorIhLb0EEEZNS1_14transform_implILb0ES3_S5_NS0_18transform_iteratorINS0_17counting_iteratorImlEEZNS1_24adjacent_difference_implIS3_Lb1ELb0EPhSB_N6thrust23THRUST_200600_302600_NS4plusIhEEEE10hipError_tPvRmT2_T3_mT4_P12ihipStream_tbEUlmE_hEESB_NS0_8identityIvEEEESG_SJ_SK_mSL_SN_bEUlT_E_NS1_11comp_targetILNS1_3genE3ELNS1_11target_archE908ELNS1_3gpuE7ELNS1_3repE0EEENS1_30default_config_static_selectorELNS0_4arch9wavefront6targetE1EEEvT1_
		.amdhsa_group_segment_fixed_size 0
		.amdhsa_private_segment_fixed_size 0
		.amdhsa_kernarg_size 56
		.amdhsa_user_sgpr_count 6
		.amdhsa_user_sgpr_private_segment_buffer 1
		.amdhsa_user_sgpr_dispatch_ptr 0
		.amdhsa_user_sgpr_queue_ptr 0
		.amdhsa_user_sgpr_kernarg_segment_ptr 1
		.amdhsa_user_sgpr_dispatch_id 0
		.amdhsa_user_sgpr_flat_scratch_init 0
		.amdhsa_user_sgpr_kernarg_preload_length 0
		.amdhsa_user_sgpr_kernarg_preload_offset 0
		.amdhsa_user_sgpr_private_segment_size 0
		.amdhsa_uses_dynamic_stack 0
		.amdhsa_system_sgpr_private_segment_wavefront_offset 0
		.amdhsa_system_sgpr_workgroup_id_x 1
		.amdhsa_system_sgpr_workgroup_id_y 0
		.amdhsa_system_sgpr_workgroup_id_z 0
		.amdhsa_system_sgpr_workgroup_info 0
		.amdhsa_system_vgpr_workitem_id 0
		.amdhsa_next_free_vgpr 1
		.amdhsa_next_free_sgpr 0
		.amdhsa_accum_offset 4
		.amdhsa_reserve_vcc 0
		.amdhsa_reserve_flat_scratch 0
		.amdhsa_float_round_mode_32 0
		.amdhsa_float_round_mode_16_64 0
		.amdhsa_float_denorm_mode_32 3
		.amdhsa_float_denorm_mode_16_64 3
		.amdhsa_dx10_clamp 1
		.amdhsa_ieee_mode 1
		.amdhsa_fp16_overflow 0
		.amdhsa_tg_split 0
		.amdhsa_exception_fp_ieee_invalid_op 0
		.amdhsa_exception_fp_denorm_src 0
		.amdhsa_exception_fp_ieee_div_zero 0
		.amdhsa_exception_fp_ieee_overflow 0
		.amdhsa_exception_fp_ieee_underflow 0
		.amdhsa_exception_fp_ieee_inexact 0
		.amdhsa_exception_int_div_zero 0
	.end_amdhsa_kernel
	.section	.text._ZN7rocprim17ROCPRIM_400000_NS6detail17trampoline_kernelINS0_14default_configENS1_25transform_config_selectorIhLb0EEEZNS1_14transform_implILb0ES3_S5_NS0_18transform_iteratorINS0_17counting_iteratorImlEEZNS1_24adjacent_difference_implIS3_Lb1ELb0EPhSB_N6thrust23THRUST_200600_302600_NS4plusIhEEEE10hipError_tPvRmT2_T3_mT4_P12ihipStream_tbEUlmE_hEESB_NS0_8identityIvEEEESG_SJ_SK_mSL_SN_bEUlT_E_NS1_11comp_targetILNS1_3genE3ELNS1_11target_archE908ELNS1_3gpuE7ELNS1_3repE0EEENS1_30default_config_static_selectorELNS0_4arch9wavefront6targetE1EEEvT1_,"axG",@progbits,_ZN7rocprim17ROCPRIM_400000_NS6detail17trampoline_kernelINS0_14default_configENS1_25transform_config_selectorIhLb0EEEZNS1_14transform_implILb0ES3_S5_NS0_18transform_iteratorINS0_17counting_iteratorImlEEZNS1_24adjacent_difference_implIS3_Lb1ELb0EPhSB_N6thrust23THRUST_200600_302600_NS4plusIhEEEE10hipError_tPvRmT2_T3_mT4_P12ihipStream_tbEUlmE_hEESB_NS0_8identityIvEEEESG_SJ_SK_mSL_SN_bEUlT_E_NS1_11comp_targetILNS1_3genE3ELNS1_11target_archE908ELNS1_3gpuE7ELNS1_3repE0EEENS1_30default_config_static_selectorELNS0_4arch9wavefront6targetE1EEEvT1_,comdat
.Lfunc_end299:
	.size	_ZN7rocprim17ROCPRIM_400000_NS6detail17trampoline_kernelINS0_14default_configENS1_25transform_config_selectorIhLb0EEEZNS1_14transform_implILb0ES3_S5_NS0_18transform_iteratorINS0_17counting_iteratorImlEEZNS1_24adjacent_difference_implIS3_Lb1ELb0EPhSB_N6thrust23THRUST_200600_302600_NS4plusIhEEEE10hipError_tPvRmT2_T3_mT4_P12ihipStream_tbEUlmE_hEESB_NS0_8identityIvEEEESG_SJ_SK_mSL_SN_bEUlT_E_NS1_11comp_targetILNS1_3genE3ELNS1_11target_archE908ELNS1_3gpuE7ELNS1_3repE0EEENS1_30default_config_static_selectorELNS0_4arch9wavefront6targetE1EEEvT1_, .Lfunc_end299-_ZN7rocprim17ROCPRIM_400000_NS6detail17trampoline_kernelINS0_14default_configENS1_25transform_config_selectorIhLb0EEEZNS1_14transform_implILb0ES3_S5_NS0_18transform_iteratorINS0_17counting_iteratorImlEEZNS1_24adjacent_difference_implIS3_Lb1ELb0EPhSB_N6thrust23THRUST_200600_302600_NS4plusIhEEEE10hipError_tPvRmT2_T3_mT4_P12ihipStream_tbEUlmE_hEESB_NS0_8identityIvEEEESG_SJ_SK_mSL_SN_bEUlT_E_NS1_11comp_targetILNS1_3genE3ELNS1_11target_archE908ELNS1_3gpuE7ELNS1_3repE0EEENS1_30default_config_static_selectorELNS0_4arch9wavefront6targetE1EEEvT1_
                                        ; -- End function
	.section	.AMDGPU.csdata,"",@progbits
; Kernel info:
; codeLenInByte = 0
; NumSgprs: 4
; NumVgprs: 0
; NumAgprs: 0
; TotalNumVgprs: 0
; ScratchSize: 0
; MemoryBound: 0
; FloatMode: 240
; IeeeMode: 1
; LDSByteSize: 0 bytes/workgroup (compile time only)
; SGPRBlocks: 0
; VGPRBlocks: 0
; NumSGPRsForWavesPerEU: 4
; NumVGPRsForWavesPerEU: 1
; AccumOffset: 4
; Occupancy: 8
; WaveLimiterHint : 0
; COMPUTE_PGM_RSRC2:SCRATCH_EN: 0
; COMPUTE_PGM_RSRC2:USER_SGPR: 6
; COMPUTE_PGM_RSRC2:TRAP_HANDLER: 0
; COMPUTE_PGM_RSRC2:TGID_X_EN: 1
; COMPUTE_PGM_RSRC2:TGID_Y_EN: 0
; COMPUTE_PGM_RSRC2:TGID_Z_EN: 0
; COMPUTE_PGM_RSRC2:TIDIG_COMP_CNT: 0
; COMPUTE_PGM_RSRC3_GFX90A:ACCUM_OFFSET: 0
; COMPUTE_PGM_RSRC3_GFX90A:TG_SPLIT: 0
	.section	.text._ZN7rocprim17ROCPRIM_400000_NS6detail17trampoline_kernelINS0_14default_configENS1_25transform_config_selectorIhLb0EEEZNS1_14transform_implILb0ES3_S5_NS0_18transform_iteratorINS0_17counting_iteratorImlEEZNS1_24adjacent_difference_implIS3_Lb1ELb0EPhSB_N6thrust23THRUST_200600_302600_NS4plusIhEEEE10hipError_tPvRmT2_T3_mT4_P12ihipStream_tbEUlmE_hEESB_NS0_8identityIvEEEESG_SJ_SK_mSL_SN_bEUlT_E_NS1_11comp_targetILNS1_3genE2ELNS1_11target_archE906ELNS1_3gpuE6ELNS1_3repE0EEENS1_30default_config_static_selectorELNS0_4arch9wavefront6targetE1EEEvT1_,"axG",@progbits,_ZN7rocprim17ROCPRIM_400000_NS6detail17trampoline_kernelINS0_14default_configENS1_25transform_config_selectorIhLb0EEEZNS1_14transform_implILb0ES3_S5_NS0_18transform_iteratorINS0_17counting_iteratorImlEEZNS1_24adjacent_difference_implIS3_Lb1ELb0EPhSB_N6thrust23THRUST_200600_302600_NS4plusIhEEEE10hipError_tPvRmT2_T3_mT4_P12ihipStream_tbEUlmE_hEESB_NS0_8identityIvEEEESG_SJ_SK_mSL_SN_bEUlT_E_NS1_11comp_targetILNS1_3genE2ELNS1_11target_archE906ELNS1_3gpuE6ELNS1_3repE0EEENS1_30default_config_static_selectorELNS0_4arch9wavefront6targetE1EEEvT1_,comdat
	.protected	_ZN7rocprim17ROCPRIM_400000_NS6detail17trampoline_kernelINS0_14default_configENS1_25transform_config_selectorIhLb0EEEZNS1_14transform_implILb0ES3_S5_NS0_18transform_iteratorINS0_17counting_iteratorImlEEZNS1_24adjacent_difference_implIS3_Lb1ELb0EPhSB_N6thrust23THRUST_200600_302600_NS4plusIhEEEE10hipError_tPvRmT2_T3_mT4_P12ihipStream_tbEUlmE_hEESB_NS0_8identityIvEEEESG_SJ_SK_mSL_SN_bEUlT_E_NS1_11comp_targetILNS1_3genE2ELNS1_11target_archE906ELNS1_3gpuE6ELNS1_3repE0EEENS1_30default_config_static_selectorELNS0_4arch9wavefront6targetE1EEEvT1_ ; -- Begin function _ZN7rocprim17ROCPRIM_400000_NS6detail17trampoline_kernelINS0_14default_configENS1_25transform_config_selectorIhLb0EEEZNS1_14transform_implILb0ES3_S5_NS0_18transform_iteratorINS0_17counting_iteratorImlEEZNS1_24adjacent_difference_implIS3_Lb1ELb0EPhSB_N6thrust23THRUST_200600_302600_NS4plusIhEEEE10hipError_tPvRmT2_T3_mT4_P12ihipStream_tbEUlmE_hEESB_NS0_8identityIvEEEESG_SJ_SK_mSL_SN_bEUlT_E_NS1_11comp_targetILNS1_3genE2ELNS1_11target_archE906ELNS1_3gpuE6ELNS1_3repE0EEENS1_30default_config_static_selectorELNS0_4arch9wavefront6targetE1EEEvT1_
	.globl	_ZN7rocprim17ROCPRIM_400000_NS6detail17trampoline_kernelINS0_14default_configENS1_25transform_config_selectorIhLb0EEEZNS1_14transform_implILb0ES3_S5_NS0_18transform_iteratorINS0_17counting_iteratorImlEEZNS1_24adjacent_difference_implIS3_Lb1ELb0EPhSB_N6thrust23THRUST_200600_302600_NS4plusIhEEEE10hipError_tPvRmT2_T3_mT4_P12ihipStream_tbEUlmE_hEESB_NS0_8identityIvEEEESG_SJ_SK_mSL_SN_bEUlT_E_NS1_11comp_targetILNS1_3genE2ELNS1_11target_archE906ELNS1_3gpuE6ELNS1_3repE0EEENS1_30default_config_static_selectorELNS0_4arch9wavefront6targetE1EEEvT1_
	.p2align	8
	.type	_ZN7rocprim17ROCPRIM_400000_NS6detail17trampoline_kernelINS0_14default_configENS1_25transform_config_selectorIhLb0EEEZNS1_14transform_implILb0ES3_S5_NS0_18transform_iteratorINS0_17counting_iteratorImlEEZNS1_24adjacent_difference_implIS3_Lb1ELb0EPhSB_N6thrust23THRUST_200600_302600_NS4plusIhEEEE10hipError_tPvRmT2_T3_mT4_P12ihipStream_tbEUlmE_hEESB_NS0_8identityIvEEEESG_SJ_SK_mSL_SN_bEUlT_E_NS1_11comp_targetILNS1_3genE2ELNS1_11target_archE906ELNS1_3gpuE6ELNS1_3repE0EEENS1_30default_config_static_selectorELNS0_4arch9wavefront6targetE1EEEvT1_,@function
_ZN7rocprim17ROCPRIM_400000_NS6detail17trampoline_kernelINS0_14default_configENS1_25transform_config_selectorIhLb0EEEZNS1_14transform_implILb0ES3_S5_NS0_18transform_iteratorINS0_17counting_iteratorImlEEZNS1_24adjacent_difference_implIS3_Lb1ELb0EPhSB_N6thrust23THRUST_200600_302600_NS4plusIhEEEE10hipError_tPvRmT2_T3_mT4_P12ihipStream_tbEUlmE_hEESB_NS0_8identityIvEEEESG_SJ_SK_mSL_SN_bEUlT_E_NS1_11comp_targetILNS1_3genE2ELNS1_11target_archE906ELNS1_3gpuE6ELNS1_3repE0EEENS1_30default_config_static_selectorELNS0_4arch9wavefront6targetE1EEEvT1_: ; @_ZN7rocprim17ROCPRIM_400000_NS6detail17trampoline_kernelINS0_14default_configENS1_25transform_config_selectorIhLb0EEEZNS1_14transform_implILb0ES3_S5_NS0_18transform_iteratorINS0_17counting_iteratorImlEEZNS1_24adjacent_difference_implIS3_Lb1ELb0EPhSB_N6thrust23THRUST_200600_302600_NS4plusIhEEEE10hipError_tPvRmT2_T3_mT4_P12ihipStream_tbEUlmE_hEESB_NS0_8identityIvEEEESG_SJ_SK_mSL_SN_bEUlT_E_NS1_11comp_targetILNS1_3genE2ELNS1_11target_archE906ELNS1_3gpuE6ELNS1_3repE0EEENS1_30default_config_static_selectorELNS0_4arch9wavefront6targetE1EEEvT1_
; %bb.0:
	.section	.rodata,"a",@progbits
	.p2align	6, 0x0
	.amdhsa_kernel _ZN7rocprim17ROCPRIM_400000_NS6detail17trampoline_kernelINS0_14default_configENS1_25transform_config_selectorIhLb0EEEZNS1_14transform_implILb0ES3_S5_NS0_18transform_iteratorINS0_17counting_iteratorImlEEZNS1_24adjacent_difference_implIS3_Lb1ELb0EPhSB_N6thrust23THRUST_200600_302600_NS4plusIhEEEE10hipError_tPvRmT2_T3_mT4_P12ihipStream_tbEUlmE_hEESB_NS0_8identityIvEEEESG_SJ_SK_mSL_SN_bEUlT_E_NS1_11comp_targetILNS1_3genE2ELNS1_11target_archE906ELNS1_3gpuE6ELNS1_3repE0EEENS1_30default_config_static_selectorELNS0_4arch9wavefront6targetE1EEEvT1_
		.amdhsa_group_segment_fixed_size 0
		.amdhsa_private_segment_fixed_size 0
		.amdhsa_kernarg_size 56
		.amdhsa_user_sgpr_count 6
		.amdhsa_user_sgpr_private_segment_buffer 1
		.amdhsa_user_sgpr_dispatch_ptr 0
		.amdhsa_user_sgpr_queue_ptr 0
		.amdhsa_user_sgpr_kernarg_segment_ptr 1
		.amdhsa_user_sgpr_dispatch_id 0
		.amdhsa_user_sgpr_flat_scratch_init 0
		.amdhsa_user_sgpr_kernarg_preload_length 0
		.amdhsa_user_sgpr_kernarg_preload_offset 0
		.amdhsa_user_sgpr_private_segment_size 0
		.amdhsa_uses_dynamic_stack 0
		.amdhsa_system_sgpr_private_segment_wavefront_offset 0
		.amdhsa_system_sgpr_workgroup_id_x 1
		.amdhsa_system_sgpr_workgroup_id_y 0
		.amdhsa_system_sgpr_workgroup_id_z 0
		.amdhsa_system_sgpr_workgroup_info 0
		.amdhsa_system_vgpr_workitem_id 0
		.amdhsa_next_free_vgpr 1
		.amdhsa_next_free_sgpr 0
		.amdhsa_accum_offset 4
		.amdhsa_reserve_vcc 0
		.amdhsa_reserve_flat_scratch 0
		.amdhsa_float_round_mode_32 0
		.amdhsa_float_round_mode_16_64 0
		.amdhsa_float_denorm_mode_32 3
		.amdhsa_float_denorm_mode_16_64 3
		.amdhsa_dx10_clamp 1
		.amdhsa_ieee_mode 1
		.amdhsa_fp16_overflow 0
		.amdhsa_tg_split 0
		.amdhsa_exception_fp_ieee_invalid_op 0
		.amdhsa_exception_fp_denorm_src 0
		.amdhsa_exception_fp_ieee_div_zero 0
		.amdhsa_exception_fp_ieee_overflow 0
		.amdhsa_exception_fp_ieee_underflow 0
		.amdhsa_exception_fp_ieee_inexact 0
		.amdhsa_exception_int_div_zero 0
	.end_amdhsa_kernel
	.section	.text._ZN7rocprim17ROCPRIM_400000_NS6detail17trampoline_kernelINS0_14default_configENS1_25transform_config_selectorIhLb0EEEZNS1_14transform_implILb0ES3_S5_NS0_18transform_iteratorINS0_17counting_iteratorImlEEZNS1_24adjacent_difference_implIS3_Lb1ELb0EPhSB_N6thrust23THRUST_200600_302600_NS4plusIhEEEE10hipError_tPvRmT2_T3_mT4_P12ihipStream_tbEUlmE_hEESB_NS0_8identityIvEEEESG_SJ_SK_mSL_SN_bEUlT_E_NS1_11comp_targetILNS1_3genE2ELNS1_11target_archE906ELNS1_3gpuE6ELNS1_3repE0EEENS1_30default_config_static_selectorELNS0_4arch9wavefront6targetE1EEEvT1_,"axG",@progbits,_ZN7rocprim17ROCPRIM_400000_NS6detail17trampoline_kernelINS0_14default_configENS1_25transform_config_selectorIhLb0EEEZNS1_14transform_implILb0ES3_S5_NS0_18transform_iteratorINS0_17counting_iteratorImlEEZNS1_24adjacent_difference_implIS3_Lb1ELb0EPhSB_N6thrust23THRUST_200600_302600_NS4plusIhEEEE10hipError_tPvRmT2_T3_mT4_P12ihipStream_tbEUlmE_hEESB_NS0_8identityIvEEEESG_SJ_SK_mSL_SN_bEUlT_E_NS1_11comp_targetILNS1_3genE2ELNS1_11target_archE906ELNS1_3gpuE6ELNS1_3repE0EEENS1_30default_config_static_selectorELNS0_4arch9wavefront6targetE1EEEvT1_,comdat
.Lfunc_end300:
	.size	_ZN7rocprim17ROCPRIM_400000_NS6detail17trampoline_kernelINS0_14default_configENS1_25transform_config_selectorIhLb0EEEZNS1_14transform_implILb0ES3_S5_NS0_18transform_iteratorINS0_17counting_iteratorImlEEZNS1_24adjacent_difference_implIS3_Lb1ELb0EPhSB_N6thrust23THRUST_200600_302600_NS4plusIhEEEE10hipError_tPvRmT2_T3_mT4_P12ihipStream_tbEUlmE_hEESB_NS0_8identityIvEEEESG_SJ_SK_mSL_SN_bEUlT_E_NS1_11comp_targetILNS1_3genE2ELNS1_11target_archE906ELNS1_3gpuE6ELNS1_3repE0EEENS1_30default_config_static_selectorELNS0_4arch9wavefront6targetE1EEEvT1_, .Lfunc_end300-_ZN7rocprim17ROCPRIM_400000_NS6detail17trampoline_kernelINS0_14default_configENS1_25transform_config_selectorIhLb0EEEZNS1_14transform_implILb0ES3_S5_NS0_18transform_iteratorINS0_17counting_iteratorImlEEZNS1_24adjacent_difference_implIS3_Lb1ELb0EPhSB_N6thrust23THRUST_200600_302600_NS4plusIhEEEE10hipError_tPvRmT2_T3_mT4_P12ihipStream_tbEUlmE_hEESB_NS0_8identityIvEEEESG_SJ_SK_mSL_SN_bEUlT_E_NS1_11comp_targetILNS1_3genE2ELNS1_11target_archE906ELNS1_3gpuE6ELNS1_3repE0EEENS1_30default_config_static_selectorELNS0_4arch9wavefront6targetE1EEEvT1_
                                        ; -- End function
	.section	.AMDGPU.csdata,"",@progbits
; Kernel info:
; codeLenInByte = 0
; NumSgprs: 4
; NumVgprs: 0
; NumAgprs: 0
; TotalNumVgprs: 0
; ScratchSize: 0
; MemoryBound: 0
; FloatMode: 240
; IeeeMode: 1
; LDSByteSize: 0 bytes/workgroup (compile time only)
; SGPRBlocks: 0
; VGPRBlocks: 0
; NumSGPRsForWavesPerEU: 4
; NumVGPRsForWavesPerEU: 1
; AccumOffset: 4
; Occupancy: 8
; WaveLimiterHint : 0
; COMPUTE_PGM_RSRC2:SCRATCH_EN: 0
; COMPUTE_PGM_RSRC2:USER_SGPR: 6
; COMPUTE_PGM_RSRC2:TRAP_HANDLER: 0
; COMPUTE_PGM_RSRC2:TGID_X_EN: 1
; COMPUTE_PGM_RSRC2:TGID_Y_EN: 0
; COMPUTE_PGM_RSRC2:TGID_Z_EN: 0
; COMPUTE_PGM_RSRC2:TIDIG_COMP_CNT: 0
; COMPUTE_PGM_RSRC3_GFX90A:ACCUM_OFFSET: 0
; COMPUTE_PGM_RSRC3_GFX90A:TG_SPLIT: 0
	.section	.text._ZN7rocprim17ROCPRIM_400000_NS6detail17trampoline_kernelINS0_14default_configENS1_25transform_config_selectorIhLb0EEEZNS1_14transform_implILb0ES3_S5_NS0_18transform_iteratorINS0_17counting_iteratorImlEEZNS1_24adjacent_difference_implIS3_Lb1ELb0EPhSB_N6thrust23THRUST_200600_302600_NS4plusIhEEEE10hipError_tPvRmT2_T3_mT4_P12ihipStream_tbEUlmE_hEESB_NS0_8identityIvEEEESG_SJ_SK_mSL_SN_bEUlT_E_NS1_11comp_targetILNS1_3genE10ELNS1_11target_archE1201ELNS1_3gpuE5ELNS1_3repE0EEENS1_30default_config_static_selectorELNS0_4arch9wavefront6targetE1EEEvT1_,"axG",@progbits,_ZN7rocprim17ROCPRIM_400000_NS6detail17trampoline_kernelINS0_14default_configENS1_25transform_config_selectorIhLb0EEEZNS1_14transform_implILb0ES3_S5_NS0_18transform_iteratorINS0_17counting_iteratorImlEEZNS1_24adjacent_difference_implIS3_Lb1ELb0EPhSB_N6thrust23THRUST_200600_302600_NS4plusIhEEEE10hipError_tPvRmT2_T3_mT4_P12ihipStream_tbEUlmE_hEESB_NS0_8identityIvEEEESG_SJ_SK_mSL_SN_bEUlT_E_NS1_11comp_targetILNS1_3genE10ELNS1_11target_archE1201ELNS1_3gpuE5ELNS1_3repE0EEENS1_30default_config_static_selectorELNS0_4arch9wavefront6targetE1EEEvT1_,comdat
	.protected	_ZN7rocprim17ROCPRIM_400000_NS6detail17trampoline_kernelINS0_14default_configENS1_25transform_config_selectorIhLb0EEEZNS1_14transform_implILb0ES3_S5_NS0_18transform_iteratorINS0_17counting_iteratorImlEEZNS1_24adjacent_difference_implIS3_Lb1ELb0EPhSB_N6thrust23THRUST_200600_302600_NS4plusIhEEEE10hipError_tPvRmT2_T3_mT4_P12ihipStream_tbEUlmE_hEESB_NS0_8identityIvEEEESG_SJ_SK_mSL_SN_bEUlT_E_NS1_11comp_targetILNS1_3genE10ELNS1_11target_archE1201ELNS1_3gpuE5ELNS1_3repE0EEENS1_30default_config_static_selectorELNS0_4arch9wavefront6targetE1EEEvT1_ ; -- Begin function _ZN7rocprim17ROCPRIM_400000_NS6detail17trampoline_kernelINS0_14default_configENS1_25transform_config_selectorIhLb0EEEZNS1_14transform_implILb0ES3_S5_NS0_18transform_iteratorINS0_17counting_iteratorImlEEZNS1_24adjacent_difference_implIS3_Lb1ELb0EPhSB_N6thrust23THRUST_200600_302600_NS4plusIhEEEE10hipError_tPvRmT2_T3_mT4_P12ihipStream_tbEUlmE_hEESB_NS0_8identityIvEEEESG_SJ_SK_mSL_SN_bEUlT_E_NS1_11comp_targetILNS1_3genE10ELNS1_11target_archE1201ELNS1_3gpuE5ELNS1_3repE0EEENS1_30default_config_static_selectorELNS0_4arch9wavefront6targetE1EEEvT1_
	.globl	_ZN7rocprim17ROCPRIM_400000_NS6detail17trampoline_kernelINS0_14default_configENS1_25transform_config_selectorIhLb0EEEZNS1_14transform_implILb0ES3_S5_NS0_18transform_iteratorINS0_17counting_iteratorImlEEZNS1_24adjacent_difference_implIS3_Lb1ELb0EPhSB_N6thrust23THRUST_200600_302600_NS4plusIhEEEE10hipError_tPvRmT2_T3_mT4_P12ihipStream_tbEUlmE_hEESB_NS0_8identityIvEEEESG_SJ_SK_mSL_SN_bEUlT_E_NS1_11comp_targetILNS1_3genE10ELNS1_11target_archE1201ELNS1_3gpuE5ELNS1_3repE0EEENS1_30default_config_static_selectorELNS0_4arch9wavefront6targetE1EEEvT1_
	.p2align	8
	.type	_ZN7rocprim17ROCPRIM_400000_NS6detail17trampoline_kernelINS0_14default_configENS1_25transform_config_selectorIhLb0EEEZNS1_14transform_implILb0ES3_S5_NS0_18transform_iteratorINS0_17counting_iteratorImlEEZNS1_24adjacent_difference_implIS3_Lb1ELb0EPhSB_N6thrust23THRUST_200600_302600_NS4plusIhEEEE10hipError_tPvRmT2_T3_mT4_P12ihipStream_tbEUlmE_hEESB_NS0_8identityIvEEEESG_SJ_SK_mSL_SN_bEUlT_E_NS1_11comp_targetILNS1_3genE10ELNS1_11target_archE1201ELNS1_3gpuE5ELNS1_3repE0EEENS1_30default_config_static_selectorELNS0_4arch9wavefront6targetE1EEEvT1_,@function
_ZN7rocprim17ROCPRIM_400000_NS6detail17trampoline_kernelINS0_14default_configENS1_25transform_config_selectorIhLb0EEEZNS1_14transform_implILb0ES3_S5_NS0_18transform_iteratorINS0_17counting_iteratorImlEEZNS1_24adjacent_difference_implIS3_Lb1ELb0EPhSB_N6thrust23THRUST_200600_302600_NS4plusIhEEEE10hipError_tPvRmT2_T3_mT4_P12ihipStream_tbEUlmE_hEESB_NS0_8identityIvEEEESG_SJ_SK_mSL_SN_bEUlT_E_NS1_11comp_targetILNS1_3genE10ELNS1_11target_archE1201ELNS1_3gpuE5ELNS1_3repE0EEENS1_30default_config_static_selectorELNS0_4arch9wavefront6targetE1EEEvT1_: ; @_ZN7rocprim17ROCPRIM_400000_NS6detail17trampoline_kernelINS0_14default_configENS1_25transform_config_selectorIhLb0EEEZNS1_14transform_implILb0ES3_S5_NS0_18transform_iteratorINS0_17counting_iteratorImlEEZNS1_24adjacent_difference_implIS3_Lb1ELb0EPhSB_N6thrust23THRUST_200600_302600_NS4plusIhEEEE10hipError_tPvRmT2_T3_mT4_P12ihipStream_tbEUlmE_hEESB_NS0_8identityIvEEEESG_SJ_SK_mSL_SN_bEUlT_E_NS1_11comp_targetILNS1_3genE10ELNS1_11target_archE1201ELNS1_3gpuE5ELNS1_3repE0EEENS1_30default_config_static_selectorELNS0_4arch9wavefront6targetE1EEEvT1_
; %bb.0:
	.section	.rodata,"a",@progbits
	.p2align	6, 0x0
	.amdhsa_kernel _ZN7rocprim17ROCPRIM_400000_NS6detail17trampoline_kernelINS0_14default_configENS1_25transform_config_selectorIhLb0EEEZNS1_14transform_implILb0ES3_S5_NS0_18transform_iteratorINS0_17counting_iteratorImlEEZNS1_24adjacent_difference_implIS3_Lb1ELb0EPhSB_N6thrust23THRUST_200600_302600_NS4plusIhEEEE10hipError_tPvRmT2_T3_mT4_P12ihipStream_tbEUlmE_hEESB_NS0_8identityIvEEEESG_SJ_SK_mSL_SN_bEUlT_E_NS1_11comp_targetILNS1_3genE10ELNS1_11target_archE1201ELNS1_3gpuE5ELNS1_3repE0EEENS1_30default_config_static_selectorELNS0_4arch9wavefront6targetE1EEEvT1_
		.amdhsa_group_segment_fixed_size 0
		.amdhsa_private_segment_fixed_size 0
		.amdhsa_kernarg_size 56
		.amdhsa_user_sgpr_count 6
		.amdhsa_user_sgpr_private_segment_buffer 1
		.amdhsa_user_sgpr_dispatch_ptr 0
		.amdhsa_user_sgpr_queue_ptr 0
		.amdhsa_user_sgpr_kernarg_segment_ptr 1
		.amdhsa_user_sgpr_dispatch_id 0
		.amdhsa_user_sgpr_flat_scratch_init 0
		.amdhsa_user_sgpr_kernarg_preload_length 0
		.amdhsa_user_sgpr_kernarg_preload_offset 0
		.amdhsa_user_sgpr_private_segment_size 0
		.amdhsa_uses_dynamic_stack 0
		.amdhsa_system_sgpr_private_segment_wavefront_offset 0
		.amdhsa_system_sgpr_workgroup_id_x 1
		.amdhsa_system_sgpr_workgroup_id_y 0
		.amdhsa_system_sgpr_workgroup_id_z 0
		.amdhsa_system_sgpr_workgroup_info 0
		.amdhsa_system_vgpr_workitem_id 0
		.amdhsa_next_free_vgpr 1
		.amdhsa_next_free_sgpr 0
		.amdhsa_accum_offset 4
		.amdhsa_reserve_vcc 0
		.amdhsa_reserve_flat_scratch 0
		.amdhsa_float_round_mode_32 0
		.amdhsa_float_round_mode_16_64 0
		.amdhsa_float_denorm_mode_32 3
		.amdhsa_float_denorm_mode_16_64 3
		.amdhsa_dx10_clamp 1
		.amdhsa_ieee_mode 1
		.amdhsa_fp16_overflow 0
		.amdhsa_tg_split 0
		.amdhsa_exception_fp_ieee_invalid_op 0
		.amdhsa_exception_fp_denorm_src 0
		.amdhsa_exception_fp_ieee_div_zero 0
		.amdhsa_exception_fp_ieee_overflow 0
		.amdhsa_exception_fp_ieee_underflow 0
		.amdhsa_exception_fp_ieee_inexact 0
		.amdhsa_exception_int_div_zero 0
	.end_amdhsa_kernel
	.section	.text._ZN7rocprim17ROCPRIM_400000_NS6detail17trampoline_kernelINS0_14default_configENS1_25transform_config_selectorIhLb0EEEZNS1_14transform_implILb0ES3_S5_NS0_18transform_iteratorINS0_17counting_iteratorImlEEZNS1_24adjacent_difference_implIS3_Lb1ELb0EPhSB_N6thrust23THRUST_200600_302600_NS4plusIhEEEE10hipError_tPvRmT2_T3_mT4_P12ihipStream_tbEUlmE_hEESB_NS0_8identityIvEEEESG_SJ_SK_mSL_SN_bEUlT_E_NS1_11comp_targetILNS1_3genE10ELNS1_11target_archE1201ELNS1_3gpuE5ELNS1_3repE0EEENS1_30default_config_static_selectorELNS0_4arch9wavefront6targetE1EEEvT1_,"axG",@progbits,_ZN7rocprim17ROCPRIM_400000_NS6detail17trampoline_kernelINS0_14default_configENS1_25transform_config_selectorIhLb0EEEZNS1_14transform_implILb0ES3_S5_NS0_18transform_iteratorINS0_17counting_iteratorImlEEZNS1_24adjacent_difference_implIS3_Lb1ELb0EPhSB_N6thrust23THRUST_200600_302600_NS4plusIhEEEE10hipError_tPvRmT2_T3_mT4_P12ihipStream_tbEUlmE_hEESB_NS0_8identityIvEEEESG_SJ_SK_mSL_SN_bEUlT_E_NS1_11comp_targetILNS1_3genE10ELNS1_11target_archE1201ELNS1_3gpuE5ELNS1_3repE0EEENS1_30default_config_static_selectorELNS0_4arch9wavefront6targetE1EEEvT1_,comdat
.Lfunc_end301:
	.size	_ZN7rocprim17ROCPRIM_400000_NS6detail17trampoline_kernelINS0_14default_configENS1_25transform_config_selectorIhLb0EEEZNS1_14transform_implILb0ES3_S5_NS0_18transform_iteratorINS0_17counting_iteratorImlEEZNS1_24adjacent_difference_implIS3_Lb1ELb0EPhSB_N6thrust23THRUST_200600_302600_NS4plusIhEEEE10hipError_tPvRmT2_T3_mT4_P12ihipStream_tbEUlmE_hEESB_NS0_8identityIvEEEESG_SJ_SK_mSL_SN_bEUlT_E_NS1_11comp_targetILNS1_3genE10ELNS1_11target_archE1201ELNS1_3gpuE5ELNS1_3repE0EEENS1_30default_config_static_selectorELNS0_4arch9wavefront6targetE1EEEvT1_, .Lfunc_end301-_ZN7rocprim17ROCPRIM_400000_NS6detail17trampoline_kernelINS0_14default_configENS1_25transform_config_selectorIhLb0EEEZNS1_14transform_implILb0ES3_S5_NS0_18transform_iteratorINS0_17counting_iteratorImlEEZNS1_24adjacent_difference_implIS3_Lb1ELb0EPhSB_N6thrust23THRUST_200600_302600_NS4plusIhEEEE10hipError_tPvRmT2_T3_mT4_P12ihipStream_tbEUlmE_hEESB_NS0_8identityIvEEEESG_SJ_SK_mSL_SN_bEUlT_E_NS1_11comp_targetILNS1_3genE10ELNS1_11target_archE1201ELNS1_3gpuE5ELNS1_3repE0EEENS1_30default_config_static_selectorELNS0_4arch9wavefront6targetE1EEEvT1_
                                        ; -- End function
	.section	.AMDGPU.csdata,"",@progbits
; Kernel info:
; codeLenInByte = 0
; NumSgprs: 4
; NumVgprs: 0
; NumAgprs: 0
; TotalNumVgprs: 0
; ScratchSize: 0
; MemoryBound: 0
; FloatMode: 240
; IeeeMode: 1
; LDSByteSize: 0 bytes/workgroup (compile time only)
; SGPRBlocks: 0
; VGPRBlocks: 0
; NumSGPRsForWavesPerEU: 4
; NumVGPRsForWavesPerEU: 1
; AccumOffset: 4
; Occupancy: 8
; WaveLimiterHint : 0
; COMPUTE_PGM_RSRC2:SCRATCH_EN: 0
; COMPUTE_PGM_RSRC2:USER_SGPR: 6
; COMPUTE_PGM_RSRC2:TRAP_HANDLER: 0
; COMPUTE_PGM_RSRC2:TGID_X_EN: 1
; COMPUTE_PGM_RSRC2:TGID_Y_EN: 0
; COMPUTE_PGM_RSRC2:TGID_Z_EN: 0
; COMPUTE_PGM_RSRC2:TIDIG_COMP_CNT: 0
; COMPUTE_PGM_RSRC3_GFX90A:ACCUM_OFFSET: 0
; COMPUTE_PGM_RSRC3_GFX90A:TG_SPLIT: 0
	.section	.text._ZN7rocprim17ROCPRIM_400000_NS6detail17trampoline_kernelINS0_14default_configENS1_25transform_config_selectorIhLb0EEEZNS1_14transform_implILb0ES3_S5_NS0_18transform_iteratorINS0_17counting_iteratorImlEEZNS1_24adjacent_difference_implIS3_Lb1ELb0EPhSB_N6thrust23THRUST_200600_302600_NS4plusIhEEEE10hipError_tPvRmT2_T3_mT4_P12ihipStream_tbEUlmE_hEESB_NS0_8identityIvEEEESG_SJ_SK_mSL_SN_bEUlT_E_NS1_11comp_targetILNS1_3genE10ELNS1_11target_archE1200ELNS1_3gpuE4ELNS1_3repE0EEENS1_30default_config_static_selectorELNS0_4arch9wavefront6targetE1EEEvT1_,"axG",@progbits,_ZN7rocprim17ROCPRIM_400000_NS6detail17trampoline_kernelINS0_14default_configENS1_25transform_config_selectorIhLb0EEEZNS1_14transform_implILb0ES3_S5_NS0_18transform_iteratorINS0_17counting_iteratorImlEEZNS1_24adjacent_difference_implIS3_Lb1ELb0EPhSB_N6thrust23THRUST_200600_302600_NS4plusIhEEEE10hipError_tPvRmT2_T3_mT4_P12ihipStream_tbEUlmE_hEESB_NS0_8identityIvEEEESG_SJ_SK_mSL_SN_bEUlT_E_NS1_11comp_targetILNS1_3genE10ELNS1_11target_archE1200ELNS1_3gpuE4ELNS1_3repE0EEENS1_30default_config_static_selectorELNS0_4arch9wavefront6targetE1EEEvT1_,comdat
	.protected	_ZN7rocprim17ROCPRIM_400000_NS6detail17trampoline_kernelINS0_14default_configENS1_25transform_config_selectorIhLb0EEEZNS1_14transform_implILb0ES3_S5_NS0_18transform_iteratorINS0_17counting_iteratorImlEEZNS1_24adjacent_difference_implIS3_Lb1ELb0EPhSB_N6thrust23THRUST_200600_302600_NS4plusIhEEEE10hipError_tPvRmT2_T3_mT4_P12ihipStream_tbEUlmE_hEESB_NS0_8identityIvEEEESG_SJ_SK_mSL_SN_bEUlT_E_NS1_11comp_targetILNS1_3genE10ELNS1_11target_archE1200ELNS1_3gpuE4ELNS1_3repE0EEENS1_30default_config_static_selectorELNS0_4arch9wavefront6targetE1EEEvT1_ ; -- Begin function _ZN7rocprim17ROCPRIM_400000_NS6detail17trampoline_kernelINS0_14default_configENS1_25transform_config_selectorIhLb0EEEZNS1_14transform_implILb0ES3_S5_NS0_18transform_iteratorINS0_17counting_iteratorImlEEZNS1_24adjacent_difference_implIS3_Lb1ELb0EPhSB_N6thrust23THRUST_200600_302600_NS4plusIhEEEE10hipError_tPvRmT2_T3_mT4_P12ihipStream_tbEUlmE_hEESB_NS0_8identityIvEEEESG_SJ_SK_mSL_SN_bEUlT_E_NS1_11comp_targetILNS1_3genE10ELNS1_11target_archE1200ELNS1_3gpuE4ELNS1_3repE0EEENS1_30default_config_static_selectorELNS0_4arch9wavefront6targetE1EEEvT1_
	.globl	_ZN7rocprim17ROCPRIM_400000_NS6detail17trampoline_kernelINS0_14default_configENS1_25transform_config_selectorIhLb0EEEZNS1_14transform_implILb0ES3_S5_NS0_18transform_iteratorINS0_17counting_iteratorImlEEZNS1_24adjacent_difference_implIS3_Lb1ELb0EPhSB_N6thrust23THRUST_200600_302600_NS4plusIhEEEE10hipError_tPvRmT2_T3_mT4_P12ihipStream_tbEUlmE_hEESB_NS0_8identityIvEEEESG_SJ_SK_mSL_SN_bEUlT_E_NS1_11comp_targetILNS1_3genE10ELNS1_11target_archE1200ELNS1_3gpuE4ELNS1_3repE0EEENS1_30default_config_static_selectorELNS0_4arch9wavefront6targetE1EEEvT1_
	.p2align	8
	.type	_ZN7rocprim17ROCPRIM_400000_NS6detail17trampoline_kernelINS0_14default_configENS1_25transform_config_selectorIhLb0EEEZNS1_14transform_implILb0ES3_S5_NS0_18transform_iteratorINS0_17counting_iteratorImlEEZNS1_24adjacent_difference_implIS3_Lb1ELb0EPhSB_N6thrust23THRUST_200600_302600_NS4plusIhEEEE10hipError_tPvRmT2_T3_mT4_P12ihipStream_tbEUlmE_hEESB_NS0_8identityIvEEEESG_SJ_SK_mSL_SN_bEUlT_E_NS1_11comp_targetILNS1_3genE10ELNS1_11target_archE1200ELNS1_3gpuE4ELNS1_3repE0EEENS1_30default_config_static_selectorELNS0_4arch9wavefront6targetE1EEEvT1_,@function
_ZN7rocprim17ROCPRIM_400000_NS6detail17trampoline_kernelINS0_14default_configENS1_25transform_config_selectorIhLb0EEEZNS1_14transform_implILb0ES3_S5_NS0_18transform_iteratorINS0_17counting_iteratorImlEEZNS1_24adjacent_difference_implIS3_Lb1ELb0EPhSB_N6thrust23THRUST_200600_302600_NS4plusIhEEEE10hipError_tPvRmT2_T3_mT4_P12ihipStream_tbEUlmE_hEESB_NS0_8identityIvEEEESG_SJ_SK_mSL_SN_bEUlT_E_NS1_11comp_targetILNS1_3genE10ELNS1_11target_archE1200ELNS1_3gpuE4ELNS1_3repE0EEENS1_30default_config_static_selectorELNS0_4arch9wavefront6targetE1EEEvT1_: ; @_ZN7rocprim17ROCPRIM_400000_NS6detail17trampoline_kernelINS0_14default_configENS1_25transform_config_selectorIhLb0EEEZNS1_14transform_implILb0ES3_S5_NS0_18transform_iteratorINS0_17counting_iteratorImlEEZNS1_24adjacent_difference_implIS3_Lb1ELb0EPhSB_N6thrust23THRUST_200600_302600_NS4plusIhEEEE10hipError_tPvRmT2_T3_mT4_P12ihipStream_tbEUlmE_hEESB_NS0_8identityIvEEEESG_SJ_SK_mSL_SN_bEUlT_E_NS1_11comp_targetILNS1_3genE10ELNS1_11target_archE1200ELNS1_3gpuE4ELNS1_3repE0EEENS1_30default_config_static_selectorELNS0_4arch9wavefront6targetE1EEEvT1_
; %bb.0:
	.section	.rodata,"a",@progbits
	.p2align	6, 0x0
	.amdhsa_kernel _ZN7rocprim17ROCPRIM_400000_NS6detail17trampoline_kernelINS0_14default_configENS1_25transform_config_selectorIhLb0EEEZNS1_14transform_implILb0ES3_S5_NS0_18transform_iteratorINS0_17counting_iteratorImlEEZNS1_24adjacent_difference_implIS3_Lb1ELb0EPhSB_N6thrust23THRUST_200600_302600_NS4plusIhEEEE10hipError_tPvRmT2_T3_mT4_P12ihipStream_tbEUlmE_hEESB_NS0_8identityIvEEEESG_SJ_SK_mSL_SN_bEUlT_E_NS1_11comp_targetILNS1_3genE10ELNS1_11target_archE1200ELNS1_3gpuE4ELNS1_3repE0EEENS1_30default_config_static_selectorELNS0_4arch9wavefront6targetE1EEEvT1_
		.amdhsa_group_segment_fixed_size 0
		.amdhsa_private_segment_fixed_size 0
		.amdhsa_kernarg_size 56
		.amdhsa_user_sgpr_count 6
		.amdhsa_user_sgpr_private_segment_buffer 1
		.amdhsa_user_sgpr_dispatch_ptr 0
		.amdhsa_user_sgpr_queue_ptr 0
		.amdhsa_user_sgpr_kernarg_segment_ptr 1
		.amdhsa_user_sgpr_dispatch_id 0
		.amdhsa_user_sgpr_flat_scratch_init 0
		.amdhsa_user_sgpr_kernarg_preload_length 0
		.amdhsa_user_sgpr_kernarg_preload_offset 0
		.amdhsa_user_sgpr_private_segment_size 0
		.amdhsa_uses_dynamic_stack 0
		.amdhsa_system_sgpr_private_segment_wavefront_offset 0
		.amdhsa_system_sgpr_workgroup_id_x 1
		.amdhsa_system_sgpr_workgroup_id_y 0
		.amdhsa_system_sgpr_workgroup_id_z 0
		.amdhsa_system_sgpr_workgroup_info 0
		.amdhsa_system_vgpr_workitem_id 0
		.amdhsa_next_free_vgpr 1
		.amdhsa_next_free_sgpr 0
		.amdhsa_accum_offset 4
		.amdhsa_reserve_vcc 0
		.amdhsa_reserve_flat_scratch 0
		.amdhsa_float_round_mode_32 0
		.amdhsa_float_round_mode_16_64 0
		.amdhsa_float_denorm_mode_32 3
		.amdhsa_float_denorm_mode_16_64 3
		.amdhsa_dx10_clamp 1
		.amdhsa_ieee_mode 1
		.amdhsa_fp16_overflow 0
		.amdhsa_tg_split 0
		.amdhsa_exception_fp_ieee_invalid_op 0
		.amdhsa_exception_fp_denorm_src 0
		.amdhsa_exception_fp_ieee_div_zero 0
		.amdhsa_exception_fp_ieee_overflow 0
		.amdhsa_exception_fp_ieee_underflow 0
		.amdhsa_exception_fp_ieee_inexact 0
		.amdhsa_exception_int_div_zero 0
	.end_amdhsa_kernel
	.section	.text._ZN7rocprim17ROCPRIM_400000_NS6detail17trampoline_kernelINS0_14default_configENS1_25transform_config_selectorIhLb0EEEZNS1_14transform_implILb0ES3_S5_NS0_18transform_iteratorINS0_17counting_iteratorImlEEZNS1_24adjacent_difference_implIS3_Lb1ELb0EPhSB_N6thrust23THRUST_200600_302600_NS4plusIhEEEE10hipError_tPvRmT2_T3_mT4_P12ihipStream_tbEUlmE_hEESB_NS0_8identityIvEEEESG_SJ_SK_mSL_SN_bEUlT_E_NS1_11comp_targetILNS1_3genE10ELNS1_11target_archE1200ELNS1_3gpuE4ELNS1_3repE0EEENS1_30default_config_static_selectorELNS0_4arch9wavefront6targetE1EEEvT1_,"axG",@progbits,_ZN7rocprim17ROCPRIM_400000_NS6detail17trampoline_kernelINS0_14default_configENS1_25transform_config_selectorIhLb0EEEZNS1_14transform_implILb0ES3_S5_NS0_18transform_iteratorINS0_17counting_iteratorImlEEZNS1_24adjacent_difference_implIS3_Lb1ELb0EPhSB_N6thrust23THRUST_200600_302600_NS4plusIhEEEE10hipError_tPvRmT2_T3_mT4_P12ihipStream_tbEUlmE_hEESB_NS0_8identityIvEEEESG_SJ_SK_mSL_SN_bEUlT_E_NS1_11comp_targetILNS1_3genE10ELNS1_11target_archE1200ELNS1_3gpuE4ELNS1_3repE0EEENS1_30default_config_static_selectorELNS0_4arch9wavefront6targetE1EEEvT1_,comdat
.Lfunc_end302:
	.size	_ZN7rocprim17ROCPRIM_400000_NS6detail17trampoline_kernelINS0_14default_configENS1_25transform_config_selectorIhLb0EEEZNS1_14transform_implILb0ES3_S5_NS0_18transform_iteratorINS0_17counting_iteratorImlEEZNS1_24adjacent_difference_implIS3_Lb1ELb0EPhSB_N6thrust23THRUST_200600_302600_NS4plusIhEEEE10hipError_tPvRmT2_T3_mT4_P12ihipStream_tbEUlmE_hEESB_NS0_8identityIvEEEESG_SJ_SK_mSL_SN_bEUlT_E_NS1_11comp_targetILNS1_3genE10ELNS1_11target_archE1200ELNS1_3gpuE4ELNS1_3repE0EEENS1_30default_config_static_selectorELNS0_4arch9wavefront6targetE1EEEvT1_, .Lfunc_end302-_ZN7rocprim17ROCPRIM_400000_NS6detail17trampoline_kernelINS0_14default_configENS1_25transform_config_selectorIhLb0EEEZNS1_14transform_implILb0ES3_S5_NS0_18transform_iteratorINS0_17counting_iteratorImlEEZNS1_24adjacent_difference_implIS3_Lb1ELb0EPhSB_N6thrust23THRUST_200600_302600_NS4plusIhEEEE10hipError_tPvRmT2_T3_mT4_P12ihipStream_tbEUlmE_hEESB_NS0_8identityIvEEEESG_SJ_SK_mSL_SN_bEUlT_E_NS1_11comp_targetILNS1_3genE10ELNS1_11target_archE1200ELNS1_3gpuE4ELNS1_3repE0EEENS1_30default_config_static_selectorELNS0_4arch9wavefront6targetE1EEEvT1_
                                        ; -- End function
	.section	.AMDGPU.csdata,"",@progbits
; Kernel info:
; codeLenInByte = 0
; NumSgprs: 4
; NumVgprs: 0
; NumAgprs: 0
; TotalNumVgprs: 0
; ScratchSize: 0
; MemoryBound: 0
; FloatMode: 240
; IeeeMode: 1
; LDSByteSize: 0 bytes/workgroup (compile time only)
; SGPRBlocks: 0
; VGPRBlocks: 0
; NumSGPRsForWavesPerEU: 4
; NumVGPRsForWavesPerEU: 1
; AccumOffset: 4
; Occupancy: 8
; WaveLimiterHint : 0
; COMPUTE_PGM_RSRC2:SCRATCH_EN: 0
; COMPUTE_PGM_RSRC2:USER_SGPR: 6
; COMPUTE_PGM_RSRC2:TRAP_HANDLER: 0
; COMPUTE_PGM_RSRC2:TGID_X_EN: 1
; COMPUTE_PGM_RSRC2:TGID_Y_EN: 0
; COMPUTE_PGM_RSRC2:TGID_Z_EN: 0
; COMPUTE_PGM_RSRC2:TIDIG_COMP_CNT: 0
; COMPUTE_PGM_RSRC3_GFX90A:ACCUM_OFFSET: 0
; COMPUTE_PGM_RSRC3_GFX90A:TG_SPLIT: 0
	.section	.text._ZN7rocprim17ROCPRIM_400000_NS6detail17trampoline_kernelINS0_14default_configENS1_25transform_config_selectorIhLb0EEEZNS1_14transform_implILb0ES3_S5_NS0_18transform_iteratorINS0_17counting_iteratorImlEEZNS1_24adjacent_difference_implIS3_Lb1ELb0EPhSB_N6thrust23THRUST_200600_302600_NS4plusIhEEEE10hipError_tPvRmT2_T3_mT4_P12ihipStream_tbEUlmE_hEESB_NS0_8identityIvEEEESG_SJ_SK_mSL_SN_bEUlT_E_NS1_11comp_targetILNS1_3genE9ELNS1_11target_archE1100ELNS1_3gpuE3ELNS1_3repE0EEENS1_30default_config_static_selectorELNS0_4arch9wavefront6targetE1EEEvT1_,"axG",@progbits,_ZN7rocprim17ROCPRIM_400000_NS6detail17trampoline_kernelINS0_14default_configENS1_25transform_config_selectorIhLb0EEEZNS1_14transform_implILb0ES3_S5_NS0_18transform_iteratorINS0_17counting_iteratorImlEEZNS1_24adjacent_difference_implIS3_Lb1ELb0EPhSB_N6thrust23THRUST_200600_302600_NS4plusIhEEEE10hipError_tPvRmT2_T3_mT4_P12ihipStream_tbEUlmE_hEESB_NS0_8identityIvEEEESG_SJ_SK_mSL_SN_bEUlT_E_NS1_11comp_targetILNS1_3genE9ELNS1_11target_archE1100ELNS1_3gpuE3ELNS1_3repE0EEENS1_30default_config_static_selectorELNS0_4arch9wavefront6targetE1EEEvT1_,comdat
	.protected	_ZN7rocprim17ROCPRIM_400000_NS6detail17trampoline_kernelINS0_14default_configENS1_25transform_config_selectorIhLb0EEEZNS1_14transform_implILb0ES3_S5_NS0_18transform_iteratorINS0_17counting_iteratorImlEEZNS1_24adjacent_difference_implIS3_Lb1ELb0EPhSB_N6thrust23THRUST_200600_302600_NS4plusIhEEEE10hipError_tPvRmT2_T3_mT4_P12ihipStream_tbEUlmE_hEESB_NS0_8identityIvEEEESG_SJ_SK_mSL_SN_bEUlT_E_NS1_11comp_targetILNS1_3genE9ELNS1_11target_archE1100ELNS1_3gpuE3ELNS1_3repE0EEENS1_30default_config_static_selectorELNS0_4arch9wavefront6targetE1EEEvT1_ ; -- Begin function _ZN7rocprim17ROCPRIM_400000_NS6detail17trampoline_kernelINS0_14default_configENS1_25transform_config_selectorIhLb0EEEZNS1_14transform_implILb0ES3_S5_NS0_18transform_iteratorINS0_17counting_iteratorImlEEZNS1_24adjacent_difference_implIS3_Lb1ELb0EPhSB_N6thrust23THRUST_200600_302600_NS4plusIhEEEE10hipError_tPvRmT2_T3_mT4_P12ihipStream_tbEUlmE_hEESB_NS0_8identityIvEEEESG_SJ_SK_mSL_SN_bEUlT_E_NS1_11comp_targetILNS1_3genE9ELNS1_11target_archE1100ELNS1_3gpuE3ELNS1_3repE0EEENS1_30default_config_static_selectorELNS0_4arch9wavefront6targetE1EEEvT1_
	.globl	_ZN7rocprim17ROCPRIM_400000_NS6detail17trampoline_kernelINS0_14default_configENS1_25transform_config_selectorIhLb0EEEZNS1_14transform_implILb0ES3_S5_NS0_18transform_iteratorINS0_17counting_iteratorImlEEZNS1_24adjacent_difference_implIS3_Lb1ELb0EPhSB_N6thrust23THRUST_200600_302600_NS4plusIhEEEE10hipError_tPvRmT2_T3_mT4_P12ihipStream_tbEUlmE_hEESB_NS0_8identityIvEEEESG_SJ_SK_mSL_SN_bEUlT_E_NS1_11comp_targetILNS1_3genE9ELNS1_11target_archE1100ELNS1_3gpuE3ELNS1_3repE0EEENS1_30default_config_static_selectorELNS0_4arch9wavefront6targetE1EEEvT1_
	.p2align	8
	.type	_ZN7rocprim17ROCPRIM_400000_NS6detail17trampoline_kernelINS0_14default_configENS1_25transform_config_selectorIhLb0EEEZNS1_14transform_implILb0ES3_S5_NS0_18transform_iteratorINS0_17counting_iteratorImlEEZNS1_24adjacent_difference_implIS3_Lb1ELb0EPhSB_N6thrust23THRUST_200600_302600_NS4plusIhEEEE10hipError_tPvRmT2_T3_mT4_P12ihipStream_tbEUlmE_hEESB_NS0_8identityIvEEEESG_SJ_SK_mSL_SN_bEUlT_E_NS1_11comp_targetILNS1_3genE9ELNS1_11target_archE1100ELNS1_3gpuE3ELNS1_3repE0EEENS1_30default_config_static_selectorELNS0_4arch9wavefront6targetE1EEEvT1_,@function
_ZN7rocprim17ROCPRIM_400000_NS6detail17trampoline_kernelINS0_14default_configENS1_25transform_config_selectorIhLb0EEEZNS1_14transform_implILb0ES3_S5_NS0_18transform_iteratorINS0_17counting_iteratorImlEEZNS1_24adjacent_difference_implIS3_Lb1ELb0EPhSB_N6thrust23THRUST_200600_302600_NS4plusIhEEEE10hipError_tPvRmT2_T3_mT4_P12ihipStream_tbEUlmE_hEESB_NS0_8identityIvEEEESG_SJ_SK_mSL_SN_bEUlT_E_NS1_11comp_targetILNS1_3genE9ELNS1_11target_archE1100ELNS1_3gpuE3ELNS1_3repE0EEENS1_30default_config_static_selectorELNS0_4arch9wavefront6targetE1EEEvT1_: ; @_ZN7rocprim17ROCPRIM_400000_NS6detail17trampoline_kernelINS0_14default_configENS1_25transform_config_selectorIhLb0EEEZNS1_14transform_implILb0ES3_S5_NS0_18transform_iteratorINS0_17counting_iteratorImlEEZNS1_24adjacent_difference_implIS3_Lb1ELb0EPhSB_N6thrust23THRUST_200600_302600_NS4plusIhEEEE10hipError_tPvRmT2_T3_mT4_P12ihipStream_tbEUlmE_hEESB_NS0_8identityIvEEEESG_SJ_SK_mSL_SN_bEUlT_E_NS1_11comp_targetILNS1_3genE9ELNS1_11target_archE1100ELNS1_3gpuE3ELNS1_3repE0EEENS1_30default_config_static_selectorELNS0_4arch9wavefront6targetE1EEEvT1_
; %bb.0:
	.section	.rodata,"a",@progbits
	.p2align	6, 0x0
	.amdhsa_kernel _ZN7rocprim17ROCPRIM_400000_NS6detail17trampoline_kernelINS0_14default_configENS1_25transform_config_selectorIhLb0EEEZNS1_14transform_implILb0ES3_S5_NS0_18transform_iteratorINS0_17counting_iteratorImlEEZNS1_24adjacent_difference_implIS3_Lb1ELb0EPhSB_N6thrust23THRUST_200600_302600_NS4plusIhEEEE10hipError_tPvRmT2_T3_mT4_P12ihipStream_tbEUlmE_hEESB_NS0_8identityIvEEEESG_SJ_SK_mSL_SN_bEUlT_E_NS1_11comp_targetILNS1_3genE9ELNS1_11target_archE1100ELNS1_3gpuE3ELNS1_3repE0EEENS1_30default_config_static_selectorELNS0_4arch9wavefront6targetE1EEEvT1_
		.amdhsa_group_segment_fixed_size 0
		.amdhsa_private_segment_fixed_size 0
		.amdhsa_kernarg_size 56
		.amdhsa_user_sgpr_count 6
		.amdhsa_user_sgpr_private_segment_buffer 1
		.amdhsa_user_sgpr_dispatch_ptr 0
		.amdhsa_user_sgpr_queue_ptr 0
		.amdhsa_user_sgpr_kernarg_segment_ptr 1
		.amdhsa_user_sgpr_dispatch_id 0
		.amdhsa_user_sgpr_flat_scratch_init 0
		.amdhsa_user_sgpr_kernarg_preload_length 0
		.amdhsa_user_sgpr_kernarg_preload_offset 0
		.amdhsa_user_sgpr_private_segment_size 0
		.amdhsa_uses_dynamic_stack 0
		.amdhsa_system_sgpr_private_segment_wavefront_offset 0
		.amdhsa_system_sgpr_workgroup_id_x 1
		.amdhsa_system_sgpr_workgroup_id_y 0
		.amdhsa_system_sgpr_workgroup_id_z 0
		.amdhsa_system_sgpr_workgroup_info 0
		.amdhsa_system_vgpr_workitem_id 0
		.amdhsa_next_free_vgpr 1
		.amdhsa_next_free_sgpr 0
		.amdhsa_accum_offset 4
		.amdhsa_reserve_vcc 0
		.amdhsa_reserve_flat_scratch 0
		.amdhsa_float_round_mode_32 0
		.amdhsa_float_round_mode_16_64 0
		.amdhsa_float_denorm_mode_32 3
		.amdhsa_float_denorm_mode_16_64 3
		.amdhsa_dx10_clamp 1
		.amdhsa_ieee_mode 1
		.amdhsa_fp16_overflow 0
		.amdhsa_tg_split 0
		.amdhsa_exception_fp_ieee_invalid_op 0
		.amdhsa_exception_fp_denorm_src 0
		.amdhsa_exception_fp_ieee_div_zero 0
		.amdhsa_exception_fp_ieee_overflow 0
		.amdhsa_exception_fp_ieee_underflow 0
		.amdhsa_exception_fp_ieee_inexact 0
		.amdhsa_exception_int_div_zero 0
	.end_amdhsa_kernel
	.section	.text._ZN7rocprim17ROCPRIM_400000_NS6detail17trampoline_kernelINS0_14default_configENS1_25transform_config_selectorIhLb0EEEZNS1_14transform_implILb0ES3_S5_NS0_18transform_iteratorINS0_17counting_iteratorImlEEZNS1_24adjacent_difference_implIS3_Lb1ELb0EPhSB_N6thrust23THRUST_200600_302600_NS4plusIhEEEE10hipError_tPvRmT2_T3_mT4_P12ihipStream_tbEUlmE_hEESB_NS0_8identityIvEEEESG_SJ_SK_mSL_SN_bEUlT_E_NS1_11comp_targetILNS1_3genE9ELNS1_11target_archE1100ELNS1_3gpuE3ELNS1_3repE0EEENS1_30default_config_static_selectorELNS0_4arch9wavefront6targetE1EEEvT1_,"axG",@progbits,_ZN7rocprim17ROCPRIM_400000_NS6detail17trampoline_kernelINS0_14default_configENS1_25transform_config_selectorIhLb0EEEZNS1_14transform_implILb0ES3_S5_NS0_18transform_iteratorINS0_17counting_iteratorImlEEZNS1_24adjacent_difference_implIS3_Lb1ELb0EPhSB_N6thrust23THRUST_200600_302600_NS4plusIhEEEE10hipError_tPvRmT2_T3_mT4_P12ihipStream_tbEUlmE_hEESB_NS0_8identityIvEEEESG_SJ_SK_mSL_SN_bEUlT_E_NS1_11comp_targetILNS1_3genE9ELNS1_11target_archE1100ELNS1_3gpuE3ELNS1_3repE0EEENS1_30default_config_static_selectorELNS0_4arch9wavefront6targetE1EEEvT1_,comdat
.Lfunc_end303:
	.size	_ZN7rocprim17ROCPRIM_400000_NS6detail17trampoline_kernelINS0_14default_configENS1_25transform_config_selectorIhLb0EEEZNS1_14transform_implILb0ES3_S5_NS0_18transform_iteratorINS0_17counting_iteratorImlEEZNS1_24adjacent_difference_implIS3_Lb1ELb0EPhSB_N6thrust23THRUST_200600_302600_NS4plusIhEEEE10hipError_tPvRmT2_T3_mT4_P12ihipStream_tbEUlmE_hEESB_NS0_8identityIvEEEESG_SJ_SK_mSL_SN_bEUlT_E_NS1_11comp_targetILNS1_3genE9ELNS1_11target_archE1100ELNS1_3gpuE3ELNS1_3repE0EEENS1_30default_config_static_selectorELNS0_4arch9wavefront6targetE1EEEvT1_, .Lfunc_end303-_ZN7rocprim17ROCPRIM_400000_NS6detail17trampoline_kernelINS0_14default_configENS1_25transform_config_selectorIhLb0EEEZNS1_14transform_implILb0ES3_S5_NS0_18transform_iteratorINS0_17counting_iteratorImlEEZNS1_24adjacent_difference_implIS3_Lb1ELb0EPhSB_N6thrust23THRUST_200600_302600_NS4plusIhEEEE10hipError_tPvRmT2_T3_mT4_P12ihipStream_tbEUlmE_hEESB_NS0_8identityIvEEEESG_SJ_SK_mSL_SN_bEUlT_E_NS1_11comp_targetILNS1_3genE9ELNS1_11target_archE1100ELNS1_3gpuE3ELNS1_3repE0EEENS1_30default_config_static_selectorELNS0_4arch9wavefront6targetE1EEEvT1_
                                        ; -- End function
	.section	.AMDGPU.csdata,"",@progbits
; Kernel info:
; codeLenInByte = 0
; NumSgprs: 4
; NumVgprs: 0
; NumAgprs: 0
; TotalNumVgprs: 0
; ScratchSize: 0
; MemoryBound: 0
; FloatMode: 240
; IeeeMode: 1
; LDSByteSize: 0 bytes/workgroup (compile time only)
; SGPRBlocks: 0
; VGPRBlocks: 0
; NumSGPRsForWavesPerEU: 4
; NumVGPRsForWavesPerEU: 1
; AccumOffset: 4
; Occupancy: 8
; WaveLimiterHint : 0
; COMPUTE_PGM_RSRC2:SCRATCH_EN: 0
; COMPUTE_PGM_RSRC2:USER_SGPR: 6
; COMPUTE_PGM_RSRC2:TRAP_HANDLER: 0
; COMPUTE_PGM_RSRC2:TGID_X_EN: 1
; COMPUTE_PGM_RSRC2:TGID_Y_EN: 0
; COMPUTE_PGM_RSRC2:TGID_Z_EN: 0
; COMPUTE_PGM_RSRC2:TIDIG_COMP_CNT: 0
; COMPUTE_PGM_RSRC3_GFX90A:ACCUM_OFFSET: 0
; COMPUTE_PGM_RSRC3_GFX90A:TG_SPLIT: 0
	.section	.text._ZN7rocprim17ROCPRIM_400000_NS6detail17trampoline_kernelINS0_14default_configENS1_25transform_config_selectorIhLb0EEEZNS1_14transform_implILb0ES3_S5_NS0_18transform_iteratorINS0_17counting_iteratorImlEEZNS1_24adjacent_difference_implIS3_Lb1ELb0EPhSB_N6thrust23THRUST_200600_302600_NS4plusIhEEEE10hipError_tPvRmT2_T3_mT4_P12ihipStream_tbEUlmE_hEESB_NS0_8identityIvEEEESG_SJ_SK_mSL_SN_bEUlT_E_NS1_11comp_targetILNS1_3genE8ELNS1_11target_archE1030ELNS1_3gpuE2ELNS1_3repE0EEENS1_30default_config_static_selectorELNS0_4arch9wavefront6targetE1EEEvT1_,"axG",@progbits,_ZN7rocprim17ROCPRIM_400000_NS6detail17trampoline_kernelINS0_14default_configENS1_25transform_config_selectorIhLb0EEEZNS1_14transform_implILb0ES3_S5_NS0_18transform_iteratorINS0_17counting_iteratorImlEEZNS1_24adjacent_difference_implIS3_Lb1ELb0EPhSB_N6thrust23THRUST_200600_302600_NS4plusIhEEEE10hipError_tPvRmT2_T3_mT4_P12ihipStream_tbEUlmE_hEESB_NS0_8identityIvEEEESG_SJ_SK_mSL_SN_bEUlT_E_NS1_11comp_targetILNS1_3genE8ELNS1_11target_archE1030ELNS1_3gpuE2ELNS1_3repE0EEENS1_30default_config_static_selectorELNS0_4arch9wavefront6targetE1EEEvT1_,comdat
	.protected	_ZN7rocprim17ROCPRIM_400000_NS6detail17trampoline_kernelINS0_14default_configENS1_25transform_config_selectorIhLb0EEEZNS1_14transform_implILb0ES3_S5_NS0_18transform_iteratorINS0_17counting_iteratorImlEEZNS1_24adjacent_difference_implIS3_Lb1ELb0EPhSB_N6thrust23THRUST_200600_302600_NS4plusIhEEEE10hipError_tPvRmT2_T3_mT4_P12ihipStream_tbEUlmE_hEESB_NS0_8identityIvEEEESG_SJ_SK_mSL_SN_bEUlT_E_NS1_11comp_targetILNS1_3genE8ELNS1_11target_archE1030ELNS1_3gpuE2ELNS1_3repE0EEENS1_30default_config_static_selectorELNS0_4arch9wavefront6targetE1EEEvT1_ ; -- Begin function _ZN7rocprim17ROCPRIM_400000_NS6detail17trampoline_kernelINS0_14default_configENS1_25transform_config_selectorIhLb0EEEZNS1_14transform_implILb0ES3_S5_NS0_18transform_iteratorINS0_17counting_iteratorImlEEZNS1_24adjacent_difference_implIS3_Lb1ELb0EPhSB_N6thrust23THRUST_200600_302600_NS4plusIhEEEE10hipError_tPvRmT2_T3_mT4_P12ihipStream_tbEUlmE_hEESB_NS0_8identityIvEEEESG_SJ_SK_mSL_SN_bEUlT_E_NS1_11comp_targetILNS1_3genE8ELNS1_11target_archE1030ELNS1_3gpuE2ELNS1_3repE0EEENS1_30default_config_static_selectorELNS0_4arch9wavefront6targetE1EEEvT1_
	.globl	_ZN7rocprim17ROCPRIM_400000_NS6detail17trampoline_kernelINS0_14default_configENS1_25transform_config_selectorIhLb0EEEZNS1_14transform_implILb0ES3_S5_NS0_18transform_iteratorINS0_17counting_iteratorImlEEZNS1_24adjacent_difference_implIS3_Lb1ELb0EPhSB_N6thrust23THRUST_200600_302600_NS4plusIhEEEE10hipError_tPvRmT2_T3_mT4_P12ihipStream_tbEUlmE_hEESB_NS0_8identityIvEEEESG_SJ_SK_mSL_SN_bEUlT_E_NS1_11comp_targetILNS1_3genE8ELNS1_11target_archE1030ELNS1_3gpuE2ELNS1_3repE0EEENS1_30default_config_static_selectorELNS0_4arch9wavefront6targetE1EEEvT1_
	.p2align	8
	.type	_ZN7rocprim17ROCPRIM_400000_NS6detail17trampoline_kernelINS0_14default_configENS1_25transform_config_selectorIhLb0EEEZNS1_14transform_implILb0ES3_S5_NS0_18transform_iteratorINS0_17counting_iteratorImlEEZNS1_24adjacent_difference_implIS3_Lb1ELb0EPhSB_N6thrust23THRUST_200600_302600_NS4plusIhEEEE10hipError_tPvRmT2_T3_mT4_P12ihipStream_tbEUlmE_hEESB_NS0_8identityIvEEEESG_SJ_SK_mSL_SN_bEUlT_E_NS1_11comp_targetILNS1_3genE8ELNS1_11target_archE1030ELNS1_3gpuE2ELNS1_3repE0EEENS1_30default_config_static_selectorELNS0_4arch9wavefront6targetE1EEEvT1_,@function
_ZN7rocprim17ROCPRIM_400000_NS6detail17trampoline_kernelINS0_14default_configENS1_25transform_config_selectorIhLb0EEEZNS1_14transform_implILb0ES3_S5_NS0_18transform_iteratorINS0_17counting_iteratorImlEEZNS1_24adjacent_difference_implIS3_Lb1ELb0EPhSB_N6thrust23THRUST_200600_302600_NS4plusIhEEEE10hipError_tPvRmT2_T3_mT4_P12ihipStream_tbEUlmE_hEESB_NS0_8identityIvEEEESG_SJ_SK_mSL_SN_bEUlT_E_NS1_11comp_targetILNS1_3genE8ELNS1_11target_archE1030ELNS1_3gpuE2ELNS1_3repE0EEENS1_30default_config_static_selectorELNS0_4arch9wavefront6targetE1EEEvT1_: ; @_ZN7rocprim17ROCPRIM_400000_NS6detail17trampoline_kernelINS0_14default_configENS1_25transform_config_selectorIhLb0EEEZNS1_14transform_implILb0ES3_S5_NS0_18transform_iteratorINS0_17counting_iteratorImlEEZNS1_24adjacent_difference_implIS3_Lb1ELb0EPhSB_N6thrust23THRUST_200600_302600_NS4plusIhEEEE10hipError_tPvRmT2_T3_mT4_P12ihipStream_tbEUlmE_hEESB_NS0_8identityIvEEEESG_SJ_SK_mSL_SN_bEUlT_E_NS1_11comp_targetILNS1_3genE8ELNS1_11target_archE1030ELNS1_3gpuE2ELNS1_3repE0EEENS1_30default_config_static_selectorELNS0_4arch9wavefront6targetE1EEEvT1_
; %bb.0:
	.section	.rodata,"a",@progbits
	.p2align	6, 0x0
	.amdhsa_kernel _ZN7rocprim17ROCPRIM_400000_NS6detail17trampoline_kernelINS0_14default_configENS1_25transform_config_selectorIhLb0EEEZNS1_14transform_implILb0ES3_S5_NS0_18transform_iteratorINS0_17counting_iteratorImlEEZNS1_24adjacent_difference_implIS3_Lb1ELb0EPhSB_N6thrust23THRUST_200600_302600_NS4plusIhEEEE10hipError_tPvRmT2_T3_mT4_P12ihipStream_tbEUlmE_hEESB_NS0_8identityIvEEEESG_SJ_SK_mSL_SN_bEUlT_E_NS1_11comp_targetILNS1_3genE8ELNS1_11target_archE1030ELNS1_3gpuE2ELNS1_3repE0EEENS1_30default_config_static_selectorELNS0_4arch9wavefront6targetE1EEEvT1_
		.amdhsa_group_segment_fixed_size 0
		.amdhsa_private_segment_fixed_size 0
		.amdhsa_kernarg_size 56
		.amdhsa_user_sgpr_count 6
		.amdhsa_user_sgpr_private_segment_buffer 1
		.amdhsa_user_sgpr_dispatch_ptr 0
		.amdhsa_user_sgpr_queue_ptr 0
		.amdhsa_user_sgpr_kernarg_segment_ptr 1
		.amdhsa_user_sgpr_dispatch_id 0
		.amdhsa_user_sgpr_flat_scratch_init 0
		.amdhsa_user_sgpr_kernarg_preload_length 0
		.amdhsa_user_sgpr_kernarg_preload_offset 0
		.amdhsa_user_sgpr_private_segment_size 0
		.amdhsa_uses_dynamic_stack 0
		.amdhsa_system_sgpr_private_segment_wavefront_offset 0
		.amdhsa_system_sgpr_workgroup_id_x 1
		.amdhsa_system_sgpr_workgroup_id_y 0
		.amdhsa_system_sgpr_workgroup_id_z 0
		.amdhsa_system_sgpr_workgroup_info 0
		.amdhsa_system_vgpr_workitem_id 0
		.amdhsa_next_free_vgpr 1
		.amdhsa_next_free_sgpr 0
		.amdhsa_accum_offset 4
		.amdhsa_reserve_vcc 0
		.amdhsa_reserve_flat_scratch 0
		.amdhsa_float_round_mode_32 0
		.amdhsa_float_round_mode_16_64 0
		.amdhsa_float_denorm_mode_32 3
		.amdhsa_float_denorm_mode_16_64 3
		.amdhsa_dx10_clamp 1
		.amdhsa_ieee_mode 1
		.amdhsa_fp16_overflow 0
		.amdhsa_tg_split 0
		.amdhsa_exception_fp_ieee_invalid_op 0
		.amdhsa_exception_fp_denorm_src 0
		.amdhsa_exception_fp_ieee_div_zero 0
		.amdhsa_exception_fp_ieee_overflow 0
		.amdhsa_exception_fp_ieee_underflow 0
		.amdhsa_exception_fp_ieee_inexact 0
		.amdhsa_exception_int_div_zero 0
	.end_amdhsa_kernel
	.section	.text._ZN7rocprim17ROCPRIM_400000_NS6detail17trampoline_kernelINS0_14default_configENS1_25transform_config_selectorIhLb0EEEZNS1_14transform_implILb0ES3_S5_NS0_18transform_iteratorINS0_17counting_iteratorImlEEZNS1_24adjacent_difference_implIS3_Lb1ELb0EPhSB_N6thrust23THRUST_200600_302600_NS4plusIhEEEE10hipError_tPvRmT2_T3_mT4_P12ihipStream_tbEUlmE_hEESB_NS0_8identityIvEEEESG_SJ_SK_mSL_SN_bEUlT_E_NS1_11comp_targetILNS1_3genE8ELNS1_11target_archE1030ELNS1_3gpuE2ELNS1_3repE0EEENS1_30default_config_static_selectorELNS0_4arch9wavefront6targetE1EEEvT1_,"axG",@progbits,_ZN7rocprim17ROCPRIM_400000_NS6detail17trampoline_kernelINS0_14default_configENS1_25transform_config_selectorIhLb0EEEZNS1_14transform_implILb0ES3_S5_NS0_18transform_iteratorINS0_17counting_iteratorImlEEZNS1_24adjacent_difference_implIS3_Lb1ELb0EPhSB_N6thrust23THRUST_200600_302600_NS4plusIhEEEE10hipError_tPvRmT2_T3_mT4_P12ihipStream_tbEUlmE_hEESB_NS0_8identityIvEEEESG_SJ_SK_mSL_SN_bEUlT_E_NS1_11comp_targetILNS1_3genE8ELNS1_11target_archE1030ELNS1_3gpuE2ELNS1_3repE0EEENS1_30default_config_static_selectorELNS0_4arch9wavefront6targetE1EEEvT1_,comdat
.Lfunc_end304:
	.size	_ZN7rocprim17ROCPRIM_400000_NS6detail17trampoline_kernelINS0_14default_configENS1_25transform_config_selectorIhLb0EEEZNS1_14transform_implILb0ES3_S5_NS0_18transform_iteratorINS0_17counting_iteratorImlEEZNS1_24adjacent_difference_implIS3_Lb1ELb0EPhSB_N6thrust23THRUST_200600_302600_NS4plusIhEEEE10hipError_tPvRmT2_T3_mT4_P12ihipStream_tbEUlmE_hEESB_NS0_8identityIvEEEESG_SJ_SK_mSL_SN_bEUlT_E_NS1_11comp_targetILNS1_3genE8ELNS1_11target_archE1030ELNS1_3gpuE2ELNS1_3repE0EEENS1_30default_config_static_selectorELNS0_4arch9wavefront6targetE1EEEvT1_, .Lfunc_end304-_ZN7rocprim17ROCPRIM_400000_NS6detail17trampoline_kernelINS0_14default_configENS1_25transform_config_selectorIhLb0EEEZNS1_14transform_implILb0ES3_S5_NS0_18transform_iteratorINS0_17counting_iteratorImlEEZNS1_24adjacent_difference_implIS3_Lb1ELb0EPhSB_N6thrust23THRUST_200600_302600_NS4plusIhEEEE10hipError_tPvRmT2_T3_mT4_P12ihipStream_tbEUlmE_hEESB_NS0_8identityIvEEEESG_SJ_SK_mSL_SN_bEUlT_E_NS1_11comp_targetILNS1_3genE8ELNS1_11target_archE1030ELNS1_3gpuE2ELNS1_3repE0EEENS1_30default_config_static_selectorELNS0_4arch9wavefront6targetE1EEEvT1_
                                        ; -- End function
	.section	.AMDGPU.csdata,"",@progbits
; Kernel info:
; codeLenInByte = 0
; NumSgprs: 4
; NumVgprs: 0
; NumAgprs: 0
; TotalNumVgprs: 0
; ScratchSize: 0
; MemoryBound: 0
; FloatMode: 240
; IeeeMode: 1
; LDSByteSize: 0 bytes/workgroup (compile time only)
; SGPRBlocks: 0
; VGPRBlocks: 0
; NumSGPRsForWavesPerEU: 4
; NumVGPRsForWavesPerEU: 1
; AccumOffset: 4
; Occupancy: 8
; WaveLimiterHint : 0
; COMPUTE_PGM_RSRC2:SCRATCH_EN: 0
; COMPUTE_PGM_RSRC2:USER_SGPR: 6
; COMPUTE_PGM_RSRC2:TRAP_HANDLER: 0
; COMPUTE_PGM_RSRC2:TGID_X_EN: 1
; COMPUTE_PGM_RSRC2:TGID_Y_EN: 0
; COMPUTE_PGM_RSRC2:TGID_Z_EN: 0
; COMPUTE_PGM_RSRC2:TIDIG_COMP_CNT: 0
; COMPUTE_PGM_RSRC3_GFX90A:ACCUM_OFFSET: 0
; COMPUTE_PGM_RSRC3_GFX90A:TG_SPLIT: 0
	.section	.text._ZN7rocprim17ROCPRIM_400000_NS6detail17trampoline_kernelINS0_14default_configENS1_35adjacent_difference_config_selectorILb1EhEEZNS1_24adjacent_difference_implIS3_Lb1ELb0EPhS7_N6thrust23THRUST_200600_302600_NS4plusIhEEEE10hipError_tPvRmT2_T3_mT4_P12ihipStream_tbEUlT_E_NS1_11comp_targetILNS1_3genE0ELNS1_11target_archE4294967295ELNS1_3gpuE0ELNS1_3repE0EEENS1_30default_config_static_selectorELNS0_4arch9wavefront6targetE1EEEvT1_,"axG",@progbits,_ZN7rocprim17ROCPRIM_400000_NS6detail17trampoline_kernelINS0_14default_configENS1_35adjacent_difference_config_selectorILb1EhEEZNS1_24adjacent_difference_implIS3_Lb1ELb0EPhS7_N6thrust23THRUST_200600_302600_NS4plusIhEEEE10hipError_tPvRmT2_T3_mT4_P12ihipStream_tbEUlT_E_NS1_11comp_targetILNS1_3genE0ELNS1_11target_archE4294967295ELNS1_3gpuE0ELNS1_3repE0EEENS1_30default_config_static_selectorELNS0_4arch9wavefront6targetE1EEEvT1_,comdat
	.protected	_ZN7rocprim17ROCPRIM_400000_NS6detail17trampoline_kernelINS0_14default_configENS1_35adjacent_difference_config_selectorILb1EhEEZNS1_24adjacent_difference_implIS3_Lb1ELb0EPhS7_N6thrust23THRUST_200600_302600_NS4plusIhEEEE10hipError_tPvRmT2_T3_mT4_P12ihipStream_tbEUlT_E_NS1_11comp_targetILNS1_3genE0ELNS1_11target_archE4294967295ELNS1_3gpuE0ELNS1_3repE0EEENS1_30default_config_static_selectorELNS0_4arch9wavefront6targetE1EEEvT1_ ; -- Begin function _ZN7rocprim17ROCPRIM_400000_NS6detail17trampoline_kernelINS0_14default_configENS1_35adjacent_difference_config_selectorILb1EhEEZNS1_24adjacent_difference_implIS3_Lb1ELb0EPhS7_N6thrust23THRUST_200600_302600_NS4plusIhEEEE10hipError_tPvRmT2_T3_mT4_P12ihipStream_tbEUlT_E_NS1_11comp_targetILNS1_3genE0ELNS1_11target_archE4294967295ELNS1_3gpuE0ELNS1_3repE0EEENS1_30default_config_static_selectorELNS0_4arch9wavefront6targetE1EEEvT1_
	.globl	_ZN7rocprim17ROCPRIM_400000_NS6detail17trampoline_kernelINS0_14default_configENS1_35adjacent_difference_config_selectorILb1EhEEZNS1_24adjacent_difference_implIS3_Lb1ELb0EPhS7_N6thrust23THRUST_200600_302600_NS4plusIhEEEE10hipError_tPvRmT2_T3_mT4_P12ihipStream_tbEUlT_E_NS1_11comp_targetILNS1_3genE0ELNS1_11target_archE4294967295ELNS1_3gpuE0ELNS1_3repE0EEENS1_30default_config_static_selectorELNS0_4arch9wavefront6targetE1EEEvT1_
	.p2align	8
	.type	_ZN7rocprim17ROCPRIM_400000_NS6detail17trampoline_kernelINS0_14default_configENS1_35adjacent_difference_config_selectorILb1EhEEZNS1_24adjacent_difference_implIS3_Lb1ELb0EPhS7_N6thrust23THRUST_200600_302600_NS4plusIhEEEE10hipError_tPvRmT2_T3_mT4_P12ihipStream_tbEUlT_E_NS1_11comp_targetILNS1_3genE0ELNS1_11target_archE4294967295ELNS1_3gpuE0ELNS1_3repE0EEENS1_30default_config_static_selectorELNS0_4arch9wavefront6targetE1EEEvT1_,@function
_ZN7rocprim17ROCPRIM_400000_NS6detail17trampoline_kernelINS0_14default_configENS1_35adjacent_difference_config_selectorILb1EhEEZNS1_24adjacent_difference_implIS3_Lb1ELb0EPhS7_N6thrust23THRUST_200600_302600_NS4plusIhEEEE10hipError_tPvRmT2_T3_mT4_P12ihipStream_tbEUlT_E_NS1_11comp_targetILNS1_3genE0ELNS1_11target_archE4294967295ELNS1_3gpuE0ELNS1_3repE0EEENS1_30default_config_static_selectorELNS0_4arch9wavefront6targetE1EEEvT1_: ; @_ZN7rocprim17ROCPRIM_400000_NS6detail17trampoline_kernelINS0_14default_configENS1_35adjacent_difference_config_selectorILb1EhEEZNS1_24adjacent_difference_implIS3_Lb1ELb0EPhS7_N6thrust23THRUST_200600_302600_NS4plusIhEEEE10hipError_tPvRmT2_T3_mT4_P12ihipStream_tbEUlT_E_NS1_11comp_targetILNS1_3genE0ELNS1_11target_archE4294967295ELNS1_3gpuE0ELNS1_3repE0EEENS1_30default_config_static_selectorELNS0_4arch9wavefront6targetE1EEEvT1_
; %bb.0:
	.section	.rodata,"a",@progbits
	.p2align	6, 0x0
	.amdhsa_kernel _ZN7rocprim17ROCPRIM_400000_NS6detail17trampoline_kernelINS0_14default_configENS1_35adjacent_difference_config_selectorILb1EhEEZNS1_24adjacent_difference_implIS3_Lb1ELb0EPhS7_N6thrust23THRUST_200600_302600_NS4plusIhEEEE10hipError_tPvRmT2_T3_mT4_P12ihipStream_tbEUlT_E_NS1_11comp_targetILNS1_3genE0ELNS1_11target_archE4294967295ELNS1_3gpuE0ELNS1_3repE0EEENS1_30default_config_static_selectorELNS0_4arch9wavefront6targetE1EEEvT1_
		.amdhsa_group_segment_fixed_size 0
		.amdhsa_private_segment_fixed_size 0
		.amdhsa_kernarg_size 56
		.amdhsa_user_sgpr_count 6
		.amdhsa_user_sgpr_private_segment_buffer 1
		.amdhsa_user_sgpr_dispatch_ptr 0
		.amdhsa_user_sgpr_queue_ptr 0
		.amdhsa_user_sgpr_kernarg_segment_ptr 1
		.amdhsa_user_sgpr_dispatch_id 0
		.amdhsa_user_sgpr_flat_scratch_init 0
		.amdhsa_user_sgpr_kernarg_preload_length 0
		.amdhsa_user_sgpr_kernarg_preload_offset 0
		.amdhsa_user_sgpr_private_segment_size 0
		.amdhsa_uses_dynamic_stack 0
		.amdhsa_system_sgpr_private_segment_wavefront_offset 0
		.amdhsa_system_sgpr_workgroup_id_x 1
		.amdhsa_system_sgpr_workgroup_id_y 0
		.amdhsa_system_sgpr_workgroup_id_z 0
		.amdhsa_system_sgpr_workgroup_info 0
		.amdhsa_system_vgpr_workitem_id 0
		.amdhsa_next_free_vgpr 1
		.amdhsa_next_free_sgpr 0
		.amdhsa_accum_offset 4
		.amdhsa_reserve_vcc 0
		.amdhsa_reserve_flat_scratch 0
		.amdhsa_float_round_mode_32 0
		.amdhsa_float_round_mode_16_64 0
		.amdhsa_float_denorm_mode_32 3
		.amdhsa_float_denorm_mode_16_64 3
		.amdhsa_dx10_clamp 1
		.amdhsa_ieee_mode 1
		.amdhsa_fp16_overflow 0
		.amdhsa_tg_split 0
		.amdhsa_exception_fp_ieee_invalid_op 0
		.amdhsa_exception_fp_denorm_src 0
		.amdhsa_exception_fp_ieee_div_zero 0
		.amdhsa_exception_fp_ieee_overflow 0
		.amdhsa_exception_fp_ieee_underflow 0
		.amdhsa_exception_fp_ieee_inexact 0
		.amdhsa_exception_int_div_zero 0
	.end_amdhsa_kernel
	.section	.text._ZN7rocprim17ROCPRIM_400000_NS6detail17trampoline_kernelINS0_14default_configENS1_35adjacent_difference_config_selectorILb1EhEEZNS1_24adjacent_difference_implIS3_Lb1ELb0EPhS7_N6thrust23THRUST_200600_302600_NS4plusIhEEEE10hipError_tPvRmT2_T3_mT4_P12ihipStream_tbEUlT_E_NS1_11comp_targetILNS1_3genE0ELNS1_11target_archE4294967295ELNS1_3gpuE0ELNS1_3repE0EEENS1_30default_config_static_selectorELNS0_4arch9wavefront6targetE1EEEvT1_,"axG",@progbits,_ZN7rocprim17ROCPRIM_400000_NS6detail17trampoline_kernelINS0_14default_configENS1_35adjacent_difference_config_selectorILb1EhEEZNS1_24adjacent_difference_implIS3_Lb1ELb0EPhS7_N6thrust23THRUST_200600_302600_NS4plusIhEEEE10hipError_tPvRmT2_T3_mT4_P12ihipStream_tbEUlT_E_NS1_11comp_targetILNS1_3genE0ELNS1_11target_archE4294967295ELNS1_3gpuE0ELNS1_3repE0EEENS1_30default_config_static_selectorELNS0_4arch9wavefront6targetE1EEEvT1_,comdat
.Lfunc_end305:
	.size	_ZN7rocprim17ROCPRIM_400000_NS6detail17trampoline_kernelINS0_14default_configENS1_35adjacent_difference_config_selectorILb1EhEEZNS1_24adjacent_difference_implIS3_Lb1ELb0EPhS7_N6thrust23THRUST_200600_302600_NS4plusIhEEEE10hipError_tPvRmT2_T3_mT4_P12ihipStream_tbEUlT_E_NS1_11comp_targetILNS1_3genE0ELNS1_11target_archE4294967295ELNS1_3gpuE0ELNS1_3repE0EEENS1_30default_config_static_selectorELNS0_4arch9wavefront6targetE1EEEvT1_, .Lfunc_end305-_ZN7rocprim17ROCPRIM_400000_NS6detail17trampoline_kernelINS0_14default_configENS1_35adjacent_difference_config_selectorILb1EhEEZNS1_24adjacent_difference_implIS3_Lb1ELb0EPhS7_N6thrust23THRUST_200600_302600_NS4plusIhEEEE10hipError_tPvRmT2_T3_mT4_P12ihipStream_tbEUlT_E_NS1_11comp_targetILNS1_3genE0ELNS1_11target_archE4294967295ELNS1_3gpuE0ELNS1_3repE0EEENS1_30default_config_static_selectorELNS0_4arch9wavefront6targetE1EEEvT1_
                                        ; -- End function
	.section	.AMDGPU.csdata,"",@progbits
; Kernel info:
; codeLenInByte = 0
; NumSgprs: 4
; NumVgprs: 0
; NumAgprs: 0
; TotalNumVgprs: 0
; ScratchSize: 0
; MemoryBound: 0
; FloatMode: 240
; IeeeMode: 1
; LDSByteSize: 0 bytes/workgroup (compile time only)
; SGPRBlocks: 0
; VGPRBlocks: 0
; NumSGPRsForWavesPerEU: 4
; NumVGPRsForWavesPerEU: 1
; AccumOffset: 4
; Occupancy: 8
; WaveLimiterHint : 0
; COMPUTE_PGM_RSRC2:SCRATCH_EN: 0
; COMPUTE_PGM_RSRC2:USER_SGPR: 6
; COMPUTE_PGM_RSRC2:TRAP_HANDLER: 0
; COMPUTE_PGM_RSRC2:TGID_X_EN: 1
; COMPUTE_PGM_RSRC2:TGID_Y_EN: 0
; COMPUTE_PGM_RSRC2:TGID_Z_EN: 0
; COMPUTE_PGM_RSRC2:TIDIG_COMP_CNT: 0
; COMPUTE_PGM_RSRC3_GFX90A:ACCUM_OFFSET: 0
; COMPUTE_PGM_RSRC3_GFX90A:TG_SPLIT: 0
	.section	.text._ZN7rocprim17ROCPRIM_400000_NS6detail17trampoline_kernelINS0_14default_configENS1_35adjacent_difference_config_selectorILb1EhEEZNS1_24adjacent_difference_implIS3_Lb1ELb0EPhS7_N6thrust23THRUST_200600_302600_NS4plusIhEEEE10hipError_tPvRmT2_T3_mT4_P12ihipStream_tbEUlT_E_NS1_11comp_targetILNS1_3genE10ELNS1_11target_archE1201ELNS1_3gpuE5ELNS1_3repE0EEENS1_30default_config_static_selectorELNS0_4arch9wavefront6targetE1EEEvT1_,"axG",@progbits,_ZN7rocprim17ROCPRIM_400000_NS6detail17trampoline_kernelINS0_14default_configENS1_35adjacent_difference_config_selectorILb1EhEEZNS1_24adjacent_difference_implIS3_Lb1ELb0EPhS7_N6thrust23THRUST_200600_302600_NS4plusIhEEEE10hipError_tPvRmT2_T3_mT4_P12ihipStream_tbEUlT_E_NS1_11comp_targetILNS1_3genE10ELNS1_11target_archE1201ELNS1_3gpuE5ELNS1_3repE0EEENS1_30default_config_static_selectorELNS0_4arch9wavefront6targetE1EEEvT1_,comdat
	.protected	_ZN7rocprim17ROCPRIM_400000_NS6detail17trampoline_kernelINS0_14default_configENS1_35adjacent_difference_config_selectorILb1EhEEZNS1_24adjacent_difference_implIS3_Lb1ELb0EPhS7_N6thrust23THRUST_200600_302600_NS4plusIhEEEE10hipError_tPvRmT2_T3_mT4_P12ihipStream_tbEUlT_E_NS1_11comp_targetILNS1_3genE10ELNS1_11target_archE1201ELNS1_3gpuE5ELNS1_3repE0EEENS1_30default_config_static_selectorELNS0_4arch9wavefront6targetE1EEEvT1_ ; -- Begin function _ZN7rocprim17ROCPRIM_400000_NS6detail17trampoline_kernelINS0_14default_configENS1_35adjacent_difference_config_selectorILb1EhEEZNS1_24adjacent_difference_implIS3_Lb1ELb0EPhS7_N6thrust23THRUST_200600_302600_NS4plusIhEEEE10hipError_tPvRmT2_T3_mT4_P12ihipStream_tbEUlT_E_NS1_11comp_targetILNS1_3genE10ELNS1_11target_archE1201ELNS1_3gpuE5ELNS1_3repE0EEENS1_30default_config_static_selectorELNS0_4arch9wavefront6targetE1EEEvT1_
	.globl	_ZN7rocprim17ROCPRIM_400000_NS6detail17trampoline_kernelINS0_14default_configENS1_35adjacent_difference_config_selectorILb1EhEEZNS1_24adjacent_difference_implIS3_Lb1ELb0EPhS7_N6thrust23THRUST_200600_302600_NS4plusIhEEEE10hipError_tPvRmT2_T3_mT4_P12ihipStream_tbEUlT_E_NS1_11comp_targetILNS1_3genE10ELNS1_11target_archE1201ELNS1_3gpuE5ELNS1_3repE0EEENS1_30default_config_static_selectorELNS0_4arch9wavefront6targetE1EEEvT1_
	.p2align	8
	.type	_ZN7rocprim17ROCPRIM_400000_NS6detail17trampoline_kernelINS0_14default_configENS1_35adjacent_difference_config_selectorILb1EhEEZNS1_24adjacent_difference_implIS3_Lb1ELb0EPhS7_N6thrust23THRUST_200600_302600_NS4plusIhEEEE10hipError_tPvRmT2_T3_mT4_P12ihipStream_tbEUlT_E_NS1_11comp_targetILNS1_3genE10ELNS1_11target_archE1201ELNS1_3gpuE5ELNS1_3repE0EEENS1_30default_config_static_selectorELNS0_4arch9wavefront6targetE1EEEvT1_,@function
_ZN7rocprim17ROCPRIM_400000_NS6detail17trampoline_kernelINS0_14default_configENS1_35adjacent_difference_config_selectorILb1EhEEZNS1_24adjacent_difference_implIS3_Lb1ELb0EPhS7_N6thrust23THRUST_200600_302600_NS4plusIhEEEE10hipError_tPvRmT2_T3_mT4_P12ihipStream_tbEUlT_E_NS1_11comp_targetILNS1_3genE10ELNS1_11target_archE1201ELNS1_3gpuE5ELNS1_3repE0EEENS1_30default_config_static_selectorELNS0_4arch9wavefront6targetE1EEEvT1_: ; @_ZN7rocprim17ROCPRIM_400000_NS6detail17trampoline_kernelINS0_14default_configENS1_35adjacent_difference_config_selectorILb1EhEEZNS1_24adjacent_difference_implIS3_Lb1ELb0EPhS7_N6thrust23THRUST_200600_302600_NS4plusIhEEEE10hipError_tPvRmT2_T3_mT4_P12ihipStream_tbEUlT_E_NS1_11comp_targetILNS1_3genE10ELNS1_11target_archE1201ELNS1_3gpuE5ELNS1_3repE0EEENS1_30default_config_static_selectorELNS0_4arch9wavefront6targetE1EEEvT1_
; %bb.0:
	.section	.rodata,"a",@progbits
	.p2align	6, 0x0
	.amdhsa_kernel _ZN7rocprim17ROCPRIM_400000_NS6detail17trampoline_kernelINS0_14default_configENS1_35adjacent_difference_config_selectorILb1EhEEZNS1_24adjacent_difference_implIS3_Lb1ELb0EPhS7_N6thrust23THRUST_200600_302600_NS4plusIhEEEE10hipError_tPvRmT2_T3_mT4_P12ihipStream_tbEUlT_E_NS1_11comp_targetILNS1_3genE10ELNS1_11target_archE1201ELNS1_3gpuE5ELNS1_3repE0EEENS1_30default_config_static_selectorELNS0_4arch9wavefront6targetE1EEEvT1_
		.amdhsa_group_segment_fixed_size 0
		.amdhsa_private_segment_fixed_size 0
		.amdhsa_kernarg_size 56
		.amdhsa_user_sgpr_count 6
		.amdhsa_user_sgpr_private_segment_buffer 1
		.amdhsa_user_sgpr_dispatch_ptr 0
		.amdhsa_user_sgpr_queue_ptr 0
		.amdhsa_user_sgpr_kernarg_segment_ptr 1
		.amdhsa_user_sgpr_dispatch_id 0
		.amdhsa_user_sgpr_flat_scratch_init 0
		.amdhsa_user_sgpr_kernarg_preload_length 0
		.amdhsa_user_sgpr_kernarg_preload_offset 0
		.amdhsa_user_sgpr_private_segment_size 0
		.amdhsa_uses_dynamic_stack 0
		.amdhsa_system_sgpr_private_segment_wavefront_offset 0
		.amdhsa_system_sgpr_workgroup_id_x 1
		.amdhsa_system_sgpr_workgroup_id_y 0
		.amdhsa_system_sgpr_workgroup_id_z 0
		.amdhsa_system_sgpr_workgroup_info 0
		.amdhsa_system_vgpr_workitem_id 0
		.amdhsa_next_free_vgpr 1
		.amdhsa_next_free_sgpr 0
		.amdhsa_accum_offset 4
		.amdhsa_reserve_vcc 0
		.amdhsa_reserve_flat_scratch 0
		.amdhsa_float_round_mode_32 0
		.amdhsa_float_round_mode_16_64 0
		.amdhsa_float_denorm_mode_32 3
		.amdhsa_float_denorm_mode_16_64 3
		.amdhsa_dx10_clamp 1
		.amdhsa_ieee_mode 1
		.amdhsa_fp16_overflow 0
		.amdhsa_tg_split 0
		.amdhsa_exception_fp_ieee_invalid_op 0
		.amdhsa_exception_fp_denorm_src 0
		.amdhsa_exception_fp_ieee_div_zero 0
		.amdhsa_exception_fp_ieee_overflow 0
		.amdhsa_exception_fp_ieee_underflow 0
		.amdhsa_exception_fp_ieee_inexact 0
		.amdhsa_exception_int_div_zero 0
	.end_amdhsa_kernel
	.section	.text._ZN7rocprim17ROCPRIM_400000_NS6detail17trampoline_kernelINS0_14default_configENS1_35adjacent_difference_config_selectorILb1EhEEZNS1_24adjacent_difference_implIS3_Lb1ELb0EPhS7_N6thrust23THRUST_200600_302600_NS4plusIhEEEE10hipError_tPvRmT2_T3_mT4_P12ihipStream_tbEUlT_E_NS1_11comp_targetILNS1_3genE10ELNS1_11target_archE1201ELNS1_3gpuE5ELNS1_3repE0EEENS1_30default_config_static_selectorELNS0_4arch9wavefront6targetE1EEEvT1_,"axG",@progbits,_ZN7rocprim17ROCPRIM_400000_NS6detail17trampoline_kernelINS0_14default_configENS1_35adjacent_difference_config_selectorILb1EhEEZNS1_24adjacent_difference_implIS3_Lb1ELb0EPhS7_N6thrust23THRUST_200600_302600_NS4plusIhEEEE10hipError_tPvRmT2_T3_mT4_P12ihipStream_tbEUlT_E_NS1_11comp_targetILNS1_3genE10ELNS1_11target_archE1201ELNS1_3gpuE5ELNS1_3repE0EEENS1_30default_config_static_selectorELNS0_4arch9wavefront6targetE1EEEvT1_,comdat
.Lfunc_end306:
	.size	_ZN7rocprim17ROCPRIM_400000_NS6detail17trampoline_kernelINS0_14default_configENS1_35adjacent_difference_config_selectorILb1EhEEZNS1_24adjacent_difference_implIS3_Lb1ELb0EPhS7_N6thrust23THRUST_200600_302600_NS4plusIhEEEE10hipError_tPvRmT2_T3_mT4_P12ihipStream_tbEUlT_E_NS1_11comp_targetILNS1_3genE10ELNS1_11target_archE1201ELNS1_3gpuE5ELNS1_3repE0EEENS1_30default_config_static_selectorELNS0_4arch9wavefront6targetE1EEEvT1_, .Lfunc_end306-_ZN7rocprim17ROCPRIM_400000_NS6detail17trampoline_kernelINS0_14default_configENS1_35adjacent_difference_config_selectorILb1EhEEZNS1_24adjacent_difference_implIS3_Lb1ELb0EPhS7_N6thrust23THRUST_200600_302600_NS4plusIhEEEE10hipError_tPvRmT2_T3_mT4_P12ihipStream_tbEUlT_E_NS1_11comp_targetILNS1_3genE10ELNS1_11target_archE1201ELNS1_3gpuE5ELNS1_3repE0EEENS1_30default_config_static_selectorELNS0_4arch9wavefront6targetE1EEEvT1_
                                        ; -- End function
	.section	.AMDGPU.csdata,"",@progbits
; Kernel info:
; codeLenInByte = 0
; NumSgprs: 4
; NumVgprs: 0
; NumAgprs: 0
; TotalNumVgprs: 0
; ScratchSize: 0
; MemoryBound: 0
; FloatMode: 240
; IeeeMode: 1
; LDSByteSize: 0 bytes/workgroup (compile time only)
; SGPRBlocks: 0
; VGPRBlocks: 0
; NumSGPRsForWavesPerEU: 4
; NumVGPRsForWavesPerEU: 1
; AccumOffset: 4
; Occupancy: 8
; WaveLimiterHint : 0
; COMPUTE_PGM_RSRC2:SCRATCH_EN: 0
; COMPUTE_PGM_RSRC2:USER_SGPR: 6
; COMPUTE_PGM_RSRC2:TRAP_HANDLER: 0
; COMPUTE_PGM_RSRC2:TGID_X_EN: 1
; COMPUTE_PGM_RSRC2:TGID_Y_EN: 0
; COMPUTE_PGM_RSRC2:TGID_Z_EN: 0
; COMPUTE_PGM_RSRC2:TIDIG_COMP_CNT: 0
; COMPUTE_PGM_RSRC3_GFX90A:ACCUM_OFFSET: 0
; COMPUTE_PGM_RSRC3_GFX90A:TG_SPLIT: 0
	.section	.text._ZN7rocprim17ROCPRIM_400000_NS6detail17trampoline_kernelINS0_14default_configENS1_35adjacent_difference_config_selectorILb1EhEEZNS1_24adjacent_difference_implIS3_Lb1ELb0EPhS7_N6thrust23THRUST_200600_302600_NS4plusIhEEEE10hipError_tPvRmT2_T3_mT4_P12ihipStream_tbEUlT_E_NS1_11comp_targetILNS1_3genE5ELNS1_11target_archE942ELNS1_3gpuE9ELNS1_3repE0EEENS1_30default_config_static_selectorELNS0_4arch9wavefront6targetE1EEEvT1_,"axG",@progbits,_ZN7rocprim17ROCPRIM_400000_NS6detail17trampoline_kernelINS0_14default_configENS1_35adjacent_difference_config_selectorILb1EhEEZNS1_24adjacent_difference_implIS3_Lb1ELb0EPhS7_N6thrust23THRUST_200600_302600_NS4plusIhEEEE10hipError_tPvRmT2_T3_mT4_P12ihipStream_tbEUlT_E_NS1_11comp_targetILNS1_3genE5ELNS1_11target_archE942ELNS1_3gpuE9ELNS1_3repE0EEENS1_30default_config_static_selectorELNS0_4arch9wavefront6targetE1EEEvT1_,comdat
	.protected	_ZN7rocprim17ROCPRIM_400000_NS6detail17trampoline_kernelINS0_14default_configENS1_35adjacent_difference_config_selectorILb1EhEEZNS1_24adjacent_difference_implIS3_Lb1ELb0EPhS7_N6thrust23THRUST_200600_302600_NS4plusIhEEEE10hipError_tPvRmT2_T3_mT4_P12ihipStream_tbEUlT_E_NS1_11comp_targetILNS1_3genE5ELNS1_11target_archE942ELNS1_3gpuE9ELNS1_3repE0EEENS1_30default_config_static_selectorELNS0_4arch9wavefront6targetE1EEEvT1_ ; -- Begin function _ZN7rocprim17ROCPRIM_400000_NS6detail17trampoline_kernelINS0_14default_configENS1_35adjacent_difference_config_selectorILb1EhEEZNS1_24adjacent_difference_implIS3_Lb1ELb0EPhS7_N6thrust23THRUST_200600_302600_NS4plusIhEEEE10hipError_tPvRmT2_T3_mT4_P12ihipStream_tbEUlT_E_NS1_11comp_targetILNS1_3genE5ELNS1_11target_archE942ELNS1_3gpuE9ELNS1_3repE0EEENS1_30default_config_static_selectorELNS0_4arch9wavefront6targetE1EEEvT1_
	.globl	_ZN7rocprim17ROCPRIM_400000_NS6detail17trampoline_kernelINS0_14default_configENS1_35adjacent_difference_config_selectorILb1EhEEZNS1_24adjacent_difference_implIS3_Lb1ELb0EPhS7_N6thrust23THRUST_200600_302600_NS4plusIhEEEE10hipError_tPvRmT2_T3_mT4_P12ihipStream_tbEUlT_E_NS1_11comp_targetILNS1_3genE5ELNS1_11target_archE942ELNS1_3gpuE9ELNS1_3repE0EEENS1_30default_config_static_selectorELNS0_4arch9wavefront6targetE1EEEvT1_
	.p2align	8
	.type	_ZN7rocprim17ROCPRIM_400000_NS6detail17trampoline_kernelINS0_14default_configENS1_35adjacent_difference_config_selectorILb1EhEEZNS1_24adjacent_difference_implIS3_Lb1ELb0EPhS7_N6thrust23THRUST_200600_302600_NS4plusIhEEEE10hipError_tPvRmT2_T3_mT4_P12ihipStream_tbEUlT_E_NS1_11comp_targetILNS1_3genE5ELNS1_11target_archE942ELNS1_3gpuE9ELNS1_3repE0EEENS1_30default_config_static_selectorELNS0_4arch9wavefront6targetE1EEEvT1_,@function
_ZN7rocprim17ROCPRIM_400000_NS6detail17trampoline_kernelINS0_14default_configENS1_35adjacent_difference_config_selectorILb1EhEEZNS1_24adjacent_difference_implIS3_Lb1ELb0EPhS7_N6thrust23THRUST_200600_302600_NS4plusIhEEEE10hipError_tPvRmT2_T3_mT4_P12ihipStream_tbEUlT_E_NS1_11comp_targetILNS1_3genE5ELNS1_11target_archE942ELNS1_3gpuE9ELNS1_3repE0EEENS1_30default_config_static_selectorELNS0_4arch9wavefront6targetE1EEEvT1_: ; @_ZN7rocprim17ROCPRIM_400000_NS6detail17trampoline_kernelINS0_14default_configENS1_35adjacent_difference_config_selectorILb1EhEEZNS1_24adjacent_difference_implIS3_Lb1ELb0EPhS7_N6thrust23THRUST_200600_302600_NS4plusIhEEEE10hipError_tPvRmT2_T3_mT4_P12ihipStream_tbEUlT_E_NS1_11comp_targetILNS1_3genE5ELNS1_11target_archE942ELNS1_3gpuE9ELNS1_3repE0EEENS1_30default_config_static_selectorELNS0_4arch9wavefront6targetE1EEEvT1_
; %bb.0:
	.section	.rodata,"a",@progbits
	.p2align	6, 0x0
	.amdhsa_kernel _ZN7rocprim17ROCPRIM_400000_NS6detail17trampoline_kernelINS0_14default_configENS1_35adjacent_difference_config_selectorILb1EhEEZNS1_24adjacent_difference_implIS3_Lb1ELb0EPhS7_N6thrust23THRUST_200600_302600_NS4plusIhEEEE10hipError_tPvRmT2_T3_mT4_P12ihipStream_tbEUlT_E_NS1_11comp_targetILNS1_3genE5ELNS1_11target_archE942ELNS1_3gpuE9ELNS1_3repE0EEENS1_30default_config_static_selectorELNS0_4arch9wavefront6targetE1EEEvT1_
		.amdhsa_group_segment_fixed_size 0
		.amdhsa_private_segment_fixed_size 0
		.amdhsa_kernarg_size 56
		.amdhsa_user_sgpr_count 6
		.amdhsa_user_sgpr_private_segment_buffer 1
		.amdhsa_user_sgpr_dispatch_ptr 0
		.amdhsa_user_sgpr_queue_ptr 0
		.amdhsa_user_sgpr_kernarg_segment_ptr 1
		.amdhsa_user_sgpr_dispatch_id 0
		.amdhsa_user_sgpr_flat_scratch_init 0
		.amdhsa_user_sgpr_kernarg_preload_length 0
		.amdhsa_user_sgpr_kernarg_preload_offset 0
		.amdhsa_user_sgpr_private_segment_size 0
		.amdhsa_uses_dynamic_stack 0
		.amdhsa_system_sgpr_private_segment_wavefront_offset 0
		.amdhsa_system_sgpr_workgroup_id_x 1
		.amdhsa_system_sgpr_workgroup_id_y 0
		.amdhsa_system_sgpr_workgroup_id_z 0
		.amdhsa_system_sgpr_workgroup_info 0
		.amdhsa_system_vgpr_workitem_id 0
		.amdhsa_next_free_vgpr 1
		.amdhsa_next_free_sgpr 0
		.amdhsa_accum_offset 4
		.amdhsa_reserve_vcc 0
		.amdhsa_reserve_flat_scratch 0
		.amdhsa_float_round_mode_32 0
		.amdhsa_float_round_mode_16_64 0
		.amdhsa_float_denorm_mode_32 3
		.amdhsa_float_denorm_mode_16_64 3
		.amdhsa_dx10_clamp 1
		.amdhsa_ieee_mode 1
		.amdhsa_fp16_overflow 0
		.amdhsa_tg_split 0
		.amdhsa_exception_fp_ieee_invalid_op 0
		.amdhsa_exception_fp_denorm_src 0
		.amdhsa_exception_fp_ieee_div_zero 0
		.amdhsa_exception_fp_ieee_overflow 0
		.amdhsa_exception_fp_ieee_underflow 0
		.amdhsa_exception_fp_ieee_inexact 0
		.amdhsa_exception_int_div_zero 0
	.end_amdhsa_kernel
	.section	.text._ZN7rocprim17ROCPRIM_400000_NS6detail17trampoline_kernelINS0_14default_configENS1_35adjacent_difference_config_selectorILb1EhEEZNS1_24adjacent_difference_implIS3_Lb1ELb0EPhS7_N6thrust23THRUST_200600_302600_NS4plusIhEEEE10hipError_tPvRmT2_T3_mT4_P12ihipStream_tbEUlT_E_NS1_11comp_targetILNS1_3genE5ELNS1_11target_archE942ELNS1_3gpuE9ELNS1_3repE0EEENS1_30default_config_static_selectorELNS0_4arch9wavefront6targetE1EEEvT1_,"axG",@progbits,_ZN7rocprim17ROCPRIM_400000_NS6detail17trampoline_kernelINS0_14default_configENS1_35adjacent_difference_config_selectorILb1EhEEZNS1_24adjacent_difference_implIS3_Lb1ELb0EPhS7_N6thrust23THRUST_200600_302600_NS4plusIhEEEE10hipError_tPvRmT2_T3_mT4_P12ihipStream_tbEUlT_E_NS1_11comp_targetILNS1_3genE5ELNS1_11target_archE942ELNS1_3gpuE9ELNS1_3repE0EEENS1_30default_config_static_selectorELNS0_4arch9wavefront6targetE1EEEvT1_,comdat
.Lfunc_end307:
	.size	_ZN7rocprim17ROCPRIM_400000_NS6detail17trampoline_kernelINS0_14default_configENS1_35adjacent_difference_config_selectorILb1EhEEZNS1_24adjacent_difference_implIS3_Lb1ELb0EPhS7_N6thrust23THRUST_200600_302600_NS4plusIhEEEE10hipError_tPvRmT2_T3_mT4_P12ihipStream_tbEUlT_E_NS1_11comp_targetILNS1_3genE5ELNS1_11target_archE942ELNS1_3gpuE9ELNS1_3repE0EEENS1_30default_config_static_selectorELNS0_4arch9wavefront6targetE1EEEvT1_, .Lfunc_end307-_ZN7rocprim17ROCPRIM_400000_NS6detail17trampoline_kernelINS0_14default_configENS1_35adjacent_difference_config_selectorILb1EhEEZNS1_24adjacent_difference_implIS3_Lb1ELb0EPhS7_N6thrust23THRUST_200600_302600_NS4plusIhEEEE10hipError_tPvRmT2_T3_mT4_P12ihipStream_tbEUlT_E_NS1_11comp_targetILNS1_3genE5ELNS1_11target_archE942ELNS1_3gpuE9ELNS1_3repE0EEENS1_30default_config_static_selectorELNS0_4arch9wavefront6targetE1EEEvT1_
                                        ; -- End function
	.section	.AMDGPU.csdata,"",@progbits
; Kernel info:
; codeLenInByte = 0
; NumSgprs: 4
; NumVgprs: 0
; NumAgprs: 0
; TotalNumVgprs: 0
; ScratchSize: 0
; MemoryBound: 0
; FloatMode: 240
; IeeeMode: 1
; LDSByteSize: 0 bytes/workgroup (compile time only)
; SGPRBlocks: 0
; VGPRBlocks: 0
; NumSGPRsForWavesPerEU: 4
; NumVGPRsForWavesPerEU: 1
; AccumOffset: 4
; Occupancy: 8
; WaveLimiterHint : 0
; COMPUTE_PGM_RSRC2:SCRATCH_EN: 0
; COMPUTE_PGM_RSRC2:USER_SGPR: 6
; COMPUTE_PGM_RSRC2:TRAP_HANDLER: 0
; COMPUTE_PGM_RSRC2:TGID_X_EN: 1
; COMPUTE_PGM_RSRC2:TGID_Y_EN: 0
; COMPUTE_PGM_RSRC2:TGID_Z_EN: 0
; COMPUTE_PGM_RSRC2:TIDIG_COMP_CNT: 0
; COMPUTE_PGM_RSRC3_GFX90A:ACCUM_OFFSET: 0
; COMPUTE_PGM_RSRC3_GFX90A:TG_SPLIT: 0
	.section	.text._ZN7rocprim17ROCPRIM_400000_NS6detail17trampoline_kernelINS0_14default_configENS1_35adjacent_difference_config_selectorILb1EhEEZNS1_24adjacent_difference_implIS3_Lb1ELb0EPhS7_N6thrust23THRUST_200600_302600_NS4plusIhEEEE10hipError_tPvRmT2_T3_mT4_P12ihipStream_tbEUlT_E_NS1_11comp_targetILNS1_3genE4ELNS1_11target_archE910ELNS1_3gpuE8ELNS1_3repE0EEENS1_30default_config_static_selectorELNS0_4arch9wavefront6targetE1EEEvT1_,"axG",@progbits,_ZN7rocprim17ROCPRIM_400000_NS6detail17trampoline_kernelINS0_14default_configENS1_35adjacent_difference_config_selectorILb1EhEEZNS1_24adjacent_difference_implIS3_Lb1ELb0EPhS7_N6thrust23THRUST_200600_302600_NS4plusIhEEEE10hipError_tPvRmT2_T3_mT4_P12ihipStream_tbEUlT_E_NS1_11comp_targetILNS1_3genE4ELNS1_11target_archE910ELNS1_3gpuE8ELNS1_3repE0EEENS1_30default_config_static_selectorELNS0_4arch9wavefront6targetE1EEEvT1_,comdat
	.protected	_ZN7rocprim17ROCPRIM_400000_NS6detail17trampoline_kernelINS0_14default_configENS1_35adjacent_difference_config_selectorILb1EhEEZNS1_24adjacent_difference_implIS3_Lb1ELb0EPhS7_N6thrust23THRUST_200600_302600_NS4plusIhEEEE10hipError_tPvRmT2_T3_mT4_P12ihipStream_tbEUlT_E_NS1_11comp_targetILNS1_3genE4ELNS1_11target_archE910ELNS1_3gpuE8ELNS1_3repE0EEENS1_30default_config_static_selectorELNS0_4arch9wavefront6targetE1EEEvT1_ ; -- Begin function _ZN7rocprim17ROCPRIM_400000_NS6detail17trampoline_kernelINS0_14default_configENS1_35adjacent_difference_config_selectorILb1EhEEZNS1_24adjacent_difference_implIS3_Lb1ELb0EPhS7_N6thrust23THRUST_200600_302600_NS4plusIhEEEE10hipError_tPvRmT2_T3_mT4_P12ihipStream_tbEUlT_E_NS1_11comp_targetILNS1_3genE4ELNS1_11target_archE910ELNS1_3gpuE8ELNS1_3repE0EEENS1_30default_config_static_selectorELNS0_4arch9wavefront6targetE1EEEvT1_
	.globl	_ZN7rocprim17ROCPRIM_400000_NS6detail17trampoline_kernelINS0_14default_configENS1_35adjacent_difference_config_selectorILb1EhEEZNS1_24adjacent_difference_implIS3_Lb1ELb0EPhS7_N6thrust23THRUST_200600_302600_NS4plusIhEEEE10hipError_tPvRmT2_T3_mT4_P12ihipStream_tbEUlT_E_NS1_11comp_targetILNS1_3genE4ELNS1_11target_archE910ELNS1_3gpuE8ELNS1_3repE0EEENS1_30default_config_static_selectorELNS0_4arch9wavefront6targetE1EEEvT1_
	.p2align	8
	.type	_ZN7rocprim17ROCPRIM_400000_NS6detail17trampoline_kernelINS0_14default_configENS1_35adjacent_difference_config_selectorILb1EhEEZNS1_24adjacent_difference_implIS3_Lb1ELb0EPhS7_N6thrust23THRUST_200600_302600_NS4plusIhEEEE10hipError_tPvRmT2_T3_mT4_P12ihipStream_tbEUlT_E_NS1_11comp_targetILNS1_3genE4ELNS1_11target_archE910ELNS1_3gpuE8ELNS1_3repE0EEENS1_30default_config_static_selectorELNS0_4arch9wavefront6targetE1EEEvT1_,@function
_ZN7rocprim17ROCPRIM_400000_NS6detail17trampoline_kernelINS0_14default_configENS1_35adjacent_difference_config_selectorILb1EhEEZNS1_24adjacent_difference_implIS3_Lb1ELb0EPhS7_N6thrust23THRUST_200600_302600_NS4plusIhEEEE10hipError_tPvRmT2_T3_mT4_P12ihipStream_tbEUlT_E_NS1_11comp_targetILNS1_3genE4ELNS1_11target_archE910ELNS1_3gpuE8ELNS1_3repE0EEENS1_30default_config_static_selectorELNS0_4arch9wavefront6targetE1EEEvT1_: ; @_ZN7rocprim17ROCPRIM_400000_NS6detail17trampoline_kernelINS0_14default_configENS1_35adjacent_difference_config_selectorILb1EhEEZNS1_24adjacent_difference_implIS3_Lb1ELb0EPhS7_N6thrust23THRUST_200600_302600_NS4plusIhEEEE10hipError_tPvRmT2_T3_mT4_P12ihipStream_tbEUlT_E_NS1_11comp_targetILNS1_3genE4ELNS1_11target_archE910ELNS1_3gpuE8ELNS1_3repE0EEENS1_30default_config_static_selectorELNS0_4arch9wavefront6targetE1EEEvT1_
; %bb.0:
	s_load_dwordx8 s[40:47], s[4:5], 0x0
	s_mov_b32 s1, 0x5ca1aca0
	v_bfrev_b32_e32 v1, 6
	s_load_dwordx4 s[8:11], s[4:5], 0x28
	s_movk_i32 s0, 0x980
	s_waitcnt lgkmcnt(0)
	s_add_u32 s7, s40, s42
	s_addc_u32 s18, s41, s43
	s_add_u32 s1, 0x14a, s1
	s_addc_u32 s2, 0, 0
	v_add_co_u32_e32 v1, vcc, s1, v1
	s_cmp_lg_u64 vcc, 0
	v_readfirstlane_b32 s3, v1
	s_addc_u32 s1, s2, 0x1af286
	s_mul_hi_u32 s4, s3, 0xfffff680
	s_mul_i32 s2, s1, 0xfffff680
	s_sub_i32 s4, s4, s3
	s_add_i32 s4, s4, s2
	s_mul_i32 s12, s3, 0xfffff680
	s_mul_hi_u32 s2, s3, s4
	s_mul_i32 s5, s3, s4
	s_mul_hi_u32 s3, s3, s12
	s_add_u32 s3, s3, s5
	s_addc_u32 s2, 0, s2
	s_mul_hi_u32 s13, s1, s12
	s_mul_i32 s12, s1, s12
	s_add_u32 s3, s3, s12
	s_mul_hi_u32 s5, s1, s4
	s_addc_u32 s2, s2, s13
	s_addc_u32 s3, s5, 0
	s_mul_i32 s4, s1, s4
	s_add_u32 s2, s2, s4
	s_addc_u32 s3, 0, s3
	v_add_co_u32_e32 v1, vcc, s2, v1
	s_cmp_lg_u64 vcc, 0
	s_addc_u32 s1, s1, s3
	v_readfirstlane_b32 s4, v1
	s_mul_i32 s3, s46, s1
	s_mul_hi_u32 s5, s46, s4
	s_mul_hi_u32 s2, s46, s1
	s_add_u32 s3, s5, s3
	s_addc_u32 s2, 0, s2
	s_mul_hi_u32 s12, s47, s4
	s_mul_i32 s4, s47, s4
	s_add_u32 s3, s3, s4
	s_mul_hi_u32 s5, s47, s1
	s_addc_u32 s2, s2, s12
	s_addc_u32 s3, s5, 0
	s_mul_i32 s1, s47, s1
	s_add_u32 s1, s2, s1
	s_addc_u32 s2, 0, s3
	s_add_u32 s3, s1, 1
	s_addc_u32 s4, s2, 0
	s_add_u32 s5, s1, 2
	s_mul_i32 s13, s2, 0x980
	s_mul_hi_u32 s14, s1, 0x980
	s_addc_u32 s12, s2, 0
	s_add_i32 s14, s14, s13
	s_mul_i32 s13, s1, 0x980
	v_mov_b32_e32 v1, s13
	v_sub_co_u32_e32 v1, vcc, s46, v1
	s_cmp_lg_u64 vcc, 0
	s_subb_u32 s13, s47, s14
	v_subrev_co_u32_e32 v2, vcc, s0, v1
	s_cmp_lg_u64 vcc, 0
	s_subb_u32 s0, s13, 0
	v_readfirstlane_b32 s14, v2
	s_cmpk_gt_u32 s14, 0x97f
	s_cselect_b32 s14, -1, 0
	s_cmp_eq_u32 s0, 0
	s_cselect_b32 s0, s14, -1
	s_cmp_lg_u32 s0, 0
	s_cselect_b32 s0, s5, s3
	s_cselect_b32 s3, s12, s4
	v_readfirstlane_b32 s4, v1
	s_cmpk_gt_u32 s4, 0x97f
	s_cselect_b32 s4, -1, 0
	s_cmp_eq_u32 s13, 0
	s_cselect_b32 s4, s4, -1
	s_cmp_lg_u32 s4, 0
	s_cselect_b32 s3, s3, s2
	s_cselect_b32 s2, s0, s1
	s_mul_i32 s0, s3, 0x980
	s_mul_hi_u32 s1, s2, 0x980
	s_add_i32 s1, s1, s0
	s_mul_i32 s0, s2, 0x980
	s_sub_u32 s0, s46, s0
	s_subb_u32 s1, s47, s1
	s_cmp_lg_u64 s[0:1], 0
	s_cselect_b64 s[0:1], -1, 0
	v_cndmask_b32_e64 v1, 0, 1, s[0:1]
	v_readfirstlane_b32 s0, v1
	s_add_u32 s2, s2, s0
	s_addc_u32 s3, s3, 0
	s_add_u32 s4, s10, s6
	s_addc_u32 s5, s11, 0
	s_add_u32 s12, s2, -1
	s_addc_u32 s13, s3, -1
	v_pk_mov_b32 v[2:3], s[12:13], s[12:13] op_sel:[0,1]
	v_cmp_ge_u64_e64 s[0:1], s[4:5], v[2:3]
	s_mul_i32 s33, s6, 0x980
	s_mov_b64 s[14:15], -1
	s_and_b64 vcc, exec, s[0:1]
	s_mul_i32 s47, s12, 0xfffff680
	s_cbranch_vccz .LBB308_40
; %bb.1:
	s_add_i32 s19, s47, s46
	s_add_u32 s14, s7, s33
	s_addc_u32 s15, s18, 0
	v_cmp_gt_u32_e32 vcc, s19, v0
                                        ; implicit-def: $vgpr1
	s_and_saveexec_b64 s[16:17], vcc
	s_cbranch_execz .LBB308_3
; %bb.2:
	global_load_ubyte v1, v0, s[14:15]
.LBB308_3:
	s_or_b64 exec, exec, s[16:17]
	v_or_b32_e32 v2, 0x80, v0
	v_cmp_gt_u32_e32 vcc, s19, v2
                                        ; implicit-def: $vgpr2
	s_and_saveexec_b64 s[16:17], vcc
	s_cbranch_execz .LBB308_5
; %bb.4:
	global_load_ubyte v2, v0, s[14:15] offset:128
.LBB308_5:
	s_or_b64 exec, exec, s[16:17]
	v_or_b32_e32 v3, 0x100, v0
	v_cmp_gt_u32_e32 vcc, s19, v3
                                        ; implicit-def: $vgpr3
	s_and_saveexec_b64 s[16:17], vcc
	s_cbranch_execz .LBB308_7
; %bb.6:
	global_load_ubyte v3, v0, s[14:15] offset:256
.LBB308_7:
	s_or_b64 exec, exec, s[16:17]
	v_or_b32_e32 v4, 0x180, v0
	v_cmp_gt_u32_e32 vcc, s19, v4
                                        ; implicit-def: $vgpr4
	s_and_saveexec_b64 s[16:17], vcc
	s_cbranch_execz .LBB308_9
; %bb.8:
	global_load_ubyte v4, v0, s[14:15] offset:384
.LBB308_9:
	s_or_b64 exec, exec, s[16:17]
	v_or_b32_e32 v5, 0x200, v0
	v_cmp_gt_u32_e32 vcc, s19, v5
                                        ; implicit-def: $vgpr5
	s_and_saveexec_b64 s[16:17], vcc
	s_cbranch_execz .LBB308_11
; %bb.10:
	global_load_ubyte v5, v0, s[14:15] offset:512
.LBB308_11:
	s_or_b64 exec, exec, s[16:17]
	v_or_b32_e32 v6, 0x280, v0
	v_cmp_gt_u32_e32 vcc, s19, v6
                                        ; implicit-def: $vgpr6
	s_and_saveexec_b64 s[16:17], vcc
	s_cbranch_execz .LBB308_13
; %bb.12:
	global_load_ubyte v6, v0, s[14:15] offset:640
.LBB308_13:
	s_or_b64 exec, exec, s[16:17]
	v_or_b32_e32 v7, 0x300, v0
	v_cmp_gt_u32_e32 vcc, s19, v7
                                        ; implicit-def: $vgpr7
	s_and_saveexec_b64 s[16:17], vcc
	s_cbranch_execz .LBB308_15
; %bb.14:
	global_load_ubyte v7, v0, s[14:15] offset:768
.LBB308_15:
	s_or_b64 exec, exec, s[16:17]
	v_or_b32_e32 v8, 0x380, v0
	v_cmp_gt_u32_e32 vcc, s19, v8
                                        ; implicit-def: $vgpr8
	s_and_saveexec_b64 s[16:17], vcc
	s_cbranch_execz .LBB308_17
; %bb.16:
	global_load_ubyte v8, v0, s[14:15] offset:896
.LBB308_17:
	s_or_b64 exec, exec, s[16:17]
	v_or_b32_e32 v9, 0x400, v0
	v_cmp_gt_u32_e32 vcc, s19, v9
                                        ; implicit-def: $vgpr9
	s_and_saveexec_b64 s[16:17], vcc
	s_cbranch_execz .LBB308_19
; %bb.18:
	global_load_ubyte v9, v0, s[14:15] offset:1024
.LBB308_19:
	s_or_b64 exec, exec, s[16:17]
	v_or_b32_e32 v10, 0x480, v0
	v_cmp_gt_u32_e32 vcc, s19, v10
                                        ; implicit-def: $vgpr10
	s_and_saveexec_b64 s[16:17], vcc
	s_cbranch_execz .LBB308_21
; %bb.20:
	global_load_ubyte v10, v0, s[14:15] offset:1152
.LBB308_21:
	s_or_b64 exec, exec, s[16:17]
	v_or_b32_e32 v11, 0x500, v0
	v_cmp_gt_u32_e32 vcc, s19, v11
                                        ; implicit-def: $vgpr11
	s_and_saveexec_b64 s[16:17], vcc
	s_cbranch_execz .LBB308_23
; %bb.22:
	global_load_ubyte v11, v0, s[14:15] offset:1280
.LBB308_23:
	s_or_b64 exec, exec, s[16:17]
	v_or_b32_e32 v12, 0x580, v0
	v_cmp_gt_u32_e32 vcc, s19, v12
                                        ; implicit-def: $vgpr12
	s_and_saveexec_b64 s[16:17], vcc
	s_cbranch_execz .LBB308_25
; %bb.24:
	global_load_ubyte v12, v0, s[14:15] offset:1408
.LBB308_25:
	s_or_b64 exec, exec, s[16:17]
	v_or_b32_e32 v13, 0x600, v0
	v_cmp_gt_u32_e32 vcc, s19, v13
                                        ; implicit-def: $vgpr13
	s_and_saveexec_b64 s[16:17], vcc
	s_cbranch_execz .LBB308_27
; %bb.26:
	global_load_ubyte v13, v0, s[14:15] offset:1536
.LBB308_27:
	s_or_b64 exec, exec, s[16:17]
	v_or_b32_e32 v14, 0x680, v0
	v_cmp_gt_u32_e32 vcc, s19, v14
                                        ; implicit-def: $vgpr14
	s_and_saveexec_b64 s[16:17], vcc
	s_cbranch_execz .LBB308_29
; %bb.28:
	global_load_ubyte v14, v0, s[14:15] offset:1664
.LBB308_29:
	s_or_b64 exec, exec, s[16:17]
	v_or_b32_e32 v15, 0x700, v0
	v_cmp_gt_u32_e32 vcc, s19, v15
                                        ; implicit-def: $vgpr15
	s_and_saveexec_b64 s[16:17], vcc
	s_cbranch_execz .LBB308_31
; %bb.30:
	global_load_ubyte v15, v0, s[14:15] offset:1792
.LBB308_31:
	s_or_b64 exec, exec, s[16:17]
	v_or_b32_e32 v16, 0x780, v0
	v_cmp_gt_u32_e32 vcc, s19, v16
                                        ; implicit-def: $vgpr16
	s_and_saveexec_b64 s[16:17], vcc
	s_cbranch_execz .LBB308_33
; %bb.32:
	global_load_ubyte v16, v0, s[14:15] offset:1920
.LBB308_33:
	s_or_b64 exec, exec, s[16:17]
	v_or_b32_e32 v17, 0x800, v0
	v_cmp_gt_u32_e32 vcc, s19, v17
                                        ; implicit-def: $vgpr17
	s_and_saveexec_b64 s[16:17], vcc
	s_cbranch_execz .LBB308_35
; %bb.34:
	global_load_ubyte v17, v0, s[14:15] offset:2048
.LBB308_35:
	s_or_b64 exec, exec, s[16:17]
	v_or_b32_e32 v18, 0x880, v0
	v_cmp_gt_u32_e32 vcc, s19, v18
                                        ; implicit-def: $vgpr18
	s_and_saveexec_b64 s[16:17], vcc
	s_cbranch_execz .LBB308_37
; %bb.36:
	global_load_ubyte v18, v0, s[14:15] offset:2176
.LBB308_37:
	s_or_b64 exec, exec, s[16:17]
	v_or_b32_e32 v19, 0x900, v0
	v_cmp_gt_u32_e32 vcc, s19, v19
                                        ; implicit-def: $vgpr19
	s_and_saveexec_b64 s[16:17], vcc
	s_cbranch_execz .LBB308_39
; %bb.38:
	global_load_ubyte v19, v0, s[14:15] offset:2304
.LBB308_39:
	s_or_b64 exec, exec, s[16:17]
	s_mov_b64 s[14:15], 0
	s_waitcnt vmcnt(0)
	ds_write_b8 v0, v1
	ds_write_b8 v0, v2 offset:128
	ds_write_b8 v0, v3 offset:256
	;; [unrolled: 1-line block ×18, first 2 shown]
	s_waitcnt lgkmcnt(0)
	s_barrier
.LBB308_40:
	s_and_b64 vcc, exec, s[14:15]
	s_cbranch_vccz .LBB308_42
; %bb.41:
	s_add_u32 s14, s7, s33
	s_addc_u32 s15, s18, 0
	global_load_ubyte v1, v0, s[14:15]
	global_load_ubyte v2, v0, s[14:15] offset:128
	global_load_ubyte v3, v0, s[14:15] offset:256
	;; [unrolled: 1-line block ×18, first 2 shown]
	s_waitcnt vmcnt(18)
	ds_write_b8 v0, v1
	s_waitcnt vmcnt(17)
	ds_write_b8 v0, v2 offset:128
	s_waitcnt vmcnt(16)
	ds_write_b8 v0, v3 offset:256
	;; [unrolled: 2-line block ×18, first 2 shown]
	s_waitcnt lgkmcnt(0)
	s_barrier
.LBB308_42:
	v_mul_u32_u24_e32 v1, 19, v0
	ds_read_b128 v[2:5], v1
	ds_read_u8 v6, v1 offset:16
	ds_read_u8 v7, v1 offset:17
	;; [unrolled: 1-line block ×3, first 2 shown]
	s_cmp_eq_u64 s[4:5], 0
	s_waitcnt lgkmcnt(3)
	v_lshrrev_b32_e32 v9, 8, v2
	v_lshrrev_b32_e32 v10, 16, v2
	;; [unrolled: 1-line block ×12, first 2 shown]
	s_waitcnt lgkmcnt(0)
	s_barrier
	s_cbranch_scc1 .LBB308_47
; %bb.43:
	s_add_u32 s7, s8, s10
	s_addc_u32 s8, s9, s11
	s_add_u32 s6, s7, s6
	s_addc_u32 s7, s8, 0
	v_mov_b32_e32 v1, 0
	global_load_ubyte v38, v1, s[6:7] offset:-1
	s_cmp_eq_u64 s[4:5], s[12:13]
	s_cbranch_scc1 .LBB308_48
; %bb.44:
	v_cmp_ne_u32_e32 vcc, 0, v0
	s_waitcnt vmcnt(0)
	v_mov_b32_e32 v1, v38
	ds_write_b8 v0, v8
	s_waitcnt lgkmcnt(0)
	s_barrier
	s_and_saveexec_b64 s[6:7], vcc
	s_cbranch_execz .LBB308_46
; %bb.45:
	v_add_u32_e32 v1, -1, v0
	ds_read_u8 v1, v1
.LBB308_46:
	s_or_b64 exec, exec, s[6:7]
	s_waitcnt lgkmcnt(0)
	v_add_u16_e32 v1, v1, v2
	s_mov_b64 s[6:7], 0
	s_branch .LBB308_49
.LBB308_47:
                                        ; implicit-def: $vgpr1
                                        ; implicit-def: $vgpr39
                                        ; implicit-def: $vgpr37
                                        ; implicit-def: $vgpr36
                                        ; implicit-def: $vgpr35
                                        ; implicit-def: $vgpr34
                                        ; implicit-def: $vgpr33
                                        ; implicit-def: $vgpr32
                                        ; implicit-def: $vgpr31
                                        ; implicit-def: $vgpr30
                                        ; implicit-def: $vgpr28
                                        ; implicit-def: $vgpr27
                                        ; implicit-def: $vgpr26
                                        ; implicit-def: $vgpr25
                                        ; implicit-def: $vgpr24
                                        ; implicit-def: $vgpr23
                                        ; implicit-def: $vgpr22
                                        ; implicit-def: $vgpr21
                                        ; implicit-def: $vgpr29
	s_branch .LBB308_54
.LBB308_48:
	s_mov_b64 s[6:7], -1
                                        ; implicit-def: $vgpr1
.LBB308_49:
	s_and_b64 vcc, exec, s[6:7]
	v_mov_b32_e32 v39, v2
	v_mov_b32_e32 v37, v9
	;; [unrolled: 1-line block ×18, first 2 shown]
	s_cbranch_vccz .LBB308_53
; %bb.50:
	v_mul_u32_u24_e32 v1, 19, v0
	v_cmp_ne_u32_e32 vcc, 0, v0
	ds_write_b8 v0, v8
	s_waitcnt lgkmcnt(0)
	s_barrier
	s_and_saveexec_b64 s[6:7], vcc
	s_cbranch_execz .LBB308_52
; %bb.51:
	v_add_u32_e32 v21, -1, v0
	s_waitcnt vmcnt(0)
	ds_read_u8 v38, v21
.LBB308_52:
	s_or_b64 exec, exec, s[6:7]
	s_mulk_i32 s4, 0xf680
	s_add_i32 s4, s4, s46
	v_add_u32_e32 v21, 18, v1
	v_cmp_gt_u32_e32 vcc, s4, v21
	v_add_u32_e32 v21, 17, v1
	v_cndmask_b32_e32 v29, 0, v7, vcc
	v_cmp_gt_u32_e32 vcc, s4, v21
	v_add_u32_e32 v22, 16, v1
	v_cndmask_b32_e32 v21, 0, v6, vcc
	;; [unrolled: 3-line block ×17, first 2 shown]
	v_cmp_gt_u32_e32 vcc, s4, v39
	v_cndmask_b32_e32 v39, 0, v2, vcc
	v_cmp_gt_u32_e32 vcc, s4, v1
	s_waitcnt vmcnt(0) lgkmcnt(0)
	v_cndmask_b32_e32 v1, 0, v38, vcc
	v_add_u16_e32 v1, v1, v2
.LBB308_53:
	s_cbranch_execnz .LBB308_64
.LBB308_54:
	s_cmp_eq_u64 s[2:3], 1
	v_cmp_ne_u32_e32 vcc, 0, v0
	s_cbranch_scc1 .LBB308_58
; %bb.55:
	v_mov_b32_e32 v1, v2
	ds_write_b8 v0, v8
	s_waitcnt lgkmcnt(0)
	s_barrier
	s_and_saveexec_b64 s[2:3], vcc
	s_cbranch_execz .LBB308_57
; %bb.56:
	v_add_u32_e32 v1, -1, v0
	ds_read_u8 v1, v1
	s_waitcnt lgkmcnt(0)
	v_add_u16_e32 v1, v1, v2
.LBB308_57:
	s_or_b64 exec, exec, s[2:3]
	s_mov_b64 s[2:3], 0
	s_branch .LBB308_59
.LBB308_58:
	s_mov_b64 s[2:3], -1
                                        ; implicit-def: $vgpr1
.LBB308_59:
	s_andn2_b64 vcc, exec, s[2:3]
	v_mov_b32_e32 v37, v9
	v_mov_b32_e32 v36, v10
	;; [unrolled: 1-line block ×17, first 2 shown]
	s_cbranch_vccnz .LBB308_63
; %bb.60:
	v_mad_u32_u24 v21, v0, 19, 18
	v_cmp_gt_u32_e32 vcc, s46, v21
	v_mad_u32_u24 v21, v0, 19, 17
	v_cmp_gt_u32_e64 s[2:3], s46, v21
	v_mad_u32_u24 v21, v0, 19, 16
	v_cmp_gt_u32_e64 s[4:5], s46, v21
	;; [unrolled: 2-line block ×14, first 2 shown]
	v_mad_u32_u24 v21, v0, 19, 3
	v_mul_u32_u24_e32 v1, 19, v0
	v_cmp_gt_u32_e64 s[30:31], s46, v21
	v_mad_u32_u24 v21, v0, 19, 2
	v_cmp_gt_u32_e64 s[34:35], s46, v21
	v_mad_u32_u24 v21, v0, 19, 1
	v_cmp_ne_u32_e64 s[38:39], 0, v0
	v_cmp_gt_u32_e64 s[40:41], s46, v1
	v_cmp_gt_u32_e64 s[36:37], s46, v21
	s_and_b64 s[40:41], s[38:39], s[40:41]
	v_mov_b32_e32 v1, v2
	ds_write_b8 v0, v8
	s_waitcnt lgkmcnt(0)
	s_barrier
	s_and_saveexec_b64 s[38:39], s[40:41]
	s_cbranch_execz .LBB308_62
; %bb.61:
	v_add_u32_e32 v1, -1, v0
	ds_read_u8 v1, v1
	s_waitcnt lgkmcnt(0)
	v_add_u16_e32 v1, v1, v2
.LBB308_62:
	s_or_b64 exec, exec, s[38:39]
	v_cndmask_b32_e32 v29, 0, v7, vcc
	v_cndmask_b32_e64 v21, 0, v6, s[2:3]
	v_cndmask_b32_e64 v22, 0, v20, s[4:5]
	v_cndmask_b32_e64 v23, 0, v19, s[6:7]
	v_cndmask_b32_e64 v24, 0, v18, s[8:9]
	v_cndmask_b32_e64 v25, 0, v5, s[10:11]
	v_cndmask_b32_e64 v26, 0, v17, s[12:13]
	v_cndmask_b32_e64 v27, 0, v16, s[14:15]
	v_cndmask_b32_e64 v28, 0, v15, s[16:17]
	v_cndmask_b32_e64 v30, 0, v4, s[18:19]
	v_cndmask_b32_e64 v31, 0, v14, s[20:21]
	v_cndmask_b32_e64 v32, 0, v13, s[22:23]
	v_cndmask_b32_e64 v33, 0, v12, s[24:25]
	v_cndmask_b32_e64 v34, 0, v3, s[26:27]
	v_cndmask_b32_e64 v35, 0, v11, s[28:29]
	v_cndmask_b32_e64 v36, 0, v10, s[30:31]
	v_cndmask_b32_e64 v37, 0, v9, s[34:35]
	v_cndmask_b32_e64 v2, 0, v2, s[36:37]
.LBB308_63:
	v_mov_b32_e32 v39, v2
.LBB308_64:
	s_add_u32 s4, s44, s42
	v_add_u16_e32 v8, v29, v8
	v_add_u16_e32 v2, v39, v9
	;; [unrolled: 1-line block ×13, first 2 shown]
	s_addc_u32 s5, s45, s43
	v_add_u16_e32 v12, v31, v4
	v_add_u16_e32 v14, v26, v5
	;; [unrolled: 1-line block ×5, first 2 shown]
	s_and_b64 vcc, exec, s[0:1]
	v_mul_u32_u24_e32 v6, 19, v0
	v_lshlrev_b16_e32 v21, 8, v17
	v_lshlrev_b16_e32 v22, 8, v18
	;; [unrolled: 1-line block ×8, first 2 shown]
	s_barrier
	s_cbranch_vccz .LBB308_102
; %bb.65:
	v_or_b32_sdwa v2, v14, v21 dst_sel:DWORD dst_unused:UNUSED_PAD src0_sel:BYTE_0 src1_sel:DWORD
	v_or_b32_sdwa v3, v15, v22 dst_sel:WORD_1 dst_unused:UNUSED_PAD src0_sel:BYTE_0 src1_sel:DWORD
	v_or_b32_sdwa v27, v2, v3 dst_sel:DWORD dst_unused:UNUSED_PAD src0_sel:WORD_0 src1_sel:DWORD
	v_or_b32_sdwa v2, v12, v19 dst_sel:DWORD dst_unused:UNUSED_PAD src0_sel:BYTE_0 src1_sel:DWORD
	v_or_b32_sdwa v3, v13, v20 dst_sel:WORD_1 dst_unused:UNUSED_PAD src0_sel:BYTE_0 src1_sel:DWORD
	v_or_b32_sdwa v26, v2, v3 dst_sel:DWORD dst_unused:UNUSED_PAD src0_sel:WORD_0 src1_sel:DWORD
	;; [unrolled: 3-line block ×4, first 2 shown]
	ds_write_b128 v6, v[24:27]
	ds_write_b8 v6, v4 offset:16
	ds_write_b8 v6, v5 offset:17
	;; [unrolled: 1-line block ×3, first 2 shown]
	s_waitcnt lgkmcnt(0)
	s_barrier
	ds_read_u8 v40, v0 offset:128
	ds_read_u8 v39, v0 offset:256
	s_waitcnt vmcnt(0)
	ds_read_u8 v38, v0 offset:384
	ds_read_u8 v37, v0 offset:512
	;; [unrolled: 1-line block ×16, first 2 shown]
	s_add_i32 s47, s47, s46
	s_add_u32 s0, s4, s33
	s_addc_u32 s1, s5, 0
	v_mov_b32_e32 v3, s1
	v_add_co_u32_e32 v2, vcc, s0, v0
	v_addc_co_u32_e32 v3, vcc, 0, v3, vcc
	v_cmp_gt_u32_e32 vcc, s47, v0
	s_and_saveexec_b64 s[0:1], vcc
	s_cbranch_execz .LBB308_67
; %bb.66:
	ds_read_u8 v41, v0
	s_waitcnt lgkmcnt(0)
	global_store_byte v[2:3], v41, off
.LBB308_67:
	s_or_b64 exec, exec, s[0:1]
	v_or_b32_e32 v41, 0x80, v0
	v_cmp_gt_u32_e32 vcc, s47, v41
	s_and_saveexec_b64 s[0:1], vcc
	s_cbranch_execz .LBB308_69
; %bb.68:
	s_waitcnt lgkmcnt(14)
	global_store_byte v[2:3], v40, off offset:128
.LBB308_69:
	s_or_b64 exec, exec, s[0:1]
	s_waitcnt lgkmcnt(14)
	v_or_b32_e32 v40, 0x100, v0
	v_cmp_gt_u32_e32 vcc, s47, v40
	s_and_saveexec_b64 s[0:1], vcc
	s_cbranch_execz .LBB308_71
; %bb.70:
	global_store_byte v[2:3], v39, off offset:256
.LBB308_71:
	s_or_b64 exec, exec, s[0:1]
	v_or_b32_e32 v39, 0x180, v0
	v_cmp_gt_u32_e32 vcc, s47, v39
	s_and_saveexec_b64 s[0:1], vcc
	s_cbranch_execz .LBB308_73
; %bb.72:
	global_store_byte v[2:3], v38, off offset:384
.LBB308_73:
	s_or_b64 exec, exec, s[0:1]
	v_or_b32_e32 v38, 0x200, v0
	v_cmp_gt_u32_e32 vcc, s47, v38
	s_and_saveexec_b64 s[0:1], vcc
	s_cbranch_execz .LBB308_75
; %bb.74:
	global_store_byte v[2:3], v37, off offset:512
.LBB308_75:
	s_or_b64 exec, exec, s[0:1]
	v_or_b32_e32 v37, 0x280, v0
	v_cmp_gt_u32_e32 vcc, s47, v37
	s_and_saveexec_b64 s[0:1], vcc
	s_cbranch_execz .LBB308_77
; %bb.76:
	s_waitcnt lgkmcnt(13)
	global_store_byte v[2:3], v36, off offset:640
.LBB308_77:
	s_or_b64 exec, exec, s[0:1]
	s_waitcnt lgkmcnt(13)
	v_or_b32_e32 v36, 0x300, v0
	v_cmp_gt_u32_e32 vcc, s47, v36
	s_and_saveexec_b64 s[0:1], vcc
	s_cbranch_execz .LBB308_79
; %bb.78:
	s_waitcnt lgkmcnt(12)
	global_store_byte v[2:3], v35, off offset:768
.LBB308_79:
	s_or_b64 exec, exec, s[0:1]
	s_waitcnt lgkmcnt(12)
	;; [unrolled: 10-line block ×13, first 2 shown]
	v_or_b32_e32 v24, 0x900, v0
	v_cmp_gt_u32_e64 s[0:1], s47, v24
	s_branch .LBB308_104
.LBB308_102:
	s_mov_b64 s[0:1], 0
                                        ; implicit-def: $vgpr23
                                        ; implicit-def: $vgpr2_vgpr3
	s_cbranch_execz .LBB308_104
; %bb.103:
	v_or_b32_sdwa v2, v14, v21 dst_sel:DWORD dst_unused:UNUSED_PAD src0_sel:BYTE_0 src1_sel:DWORD
	v_or_b32_sdwa v3, v15, v22 dst_sel:WORD_1 dst_unused:UNUSED_PAD src0_sel:BYTE_0 src1_sel:DWORD
	v_or_b32_sdwa v15, v2, v3 dst_sel:DWORD dst_unused:UNUSED_PAD src0_sel:WORD_0 src1_sel:DWORD
	v_or_b32_sdwa v2, v12, v19 dst_sel:DWORD dst_unused:UNUSED_PAD src0_sel:BYTE_0 src1_sel:DWORD
	v_or_b32_sdwa v3, v13, v20 dst_sel:WORD_1 dst_unused:UNUSED_PAD src0_sel:BYTE_0 src1_sel:DWORD
	v_or_b32_sdwa v14, v2, v3 dst_sel:DWORD dst_unused:UNUSED_PAD src0_sel:WORD_0 src1_sel:DWORD
	;; [unrolled: 3-line block ×4, first 2 shown]
	s_add_u32 s2, s4, s33
	ds_write_b128 v6, v[12:15]
	ds_write_b8 v6, v4 offset:16
	ds_write_b8 v6, v5 offset:17
	;; [unrolled: 1-line block ×3, first 2 shown]
	s_waitcnt lgkmcnt(0)
	s_barrier
	ds_read_u8 v1, v0
	ds_read_u8 v4, v0 offset:128
	ds_read_u8 v5, v0 offset:256
	;; [unrolled: 1-line block ×18, first 2 shown]
	s_addc_u32 s3, s5, 0
	v_mov_b32_e32 v3, s3
	v_add_co_u32_e32 v2, vcc, s2, v0
	v_addc_co_u32_e32 v3, vcc, 0, v3, vcc
	s_or_b64 s[0:1], s[0:1], exec
	s_waitcnt lgkmcnt(14)
	global_store_byte v0, v1, s[2:3]
	global_store_byte v0, v4, s[2:3] offset:128
	global_store_byte v0, v5, s[2:3] offset:256
	global_store_byte v0, v6, s[2:3] offset:384
	global_store_byte v0, v7, s[2:3] offset:512
	s_waitcnt lgkmcnt(13)
	global_store_byte v0, v8, s[2:3] offset:640
	s_waitcnt lgkmcnt(12)
	global_store_byte v0, v9, s[2:3] offset:768
	;; [unrolled: 2-line block ×13, first 2 shown]
.LBB308_104:
	s_and_saveexec_b64 s[2:3], s[0:1]
	s_cbranch_execnz .LBB308_106
; %bb.105:
	s_endpgm
.LBB308_106:
	s_waitcnt lgkmcnt(0)
	global_store_byte v[2:3], v23, off offset:2304
	s_endpgm
	.section	.rodata,"a",@progbits
	.p2align	6, 0x0
	.amdhsa_kernel _ZN7rocprim17ROCPRIM_400000_NS6detail17trampoline_kernelINS0_14default_configENS1_35adjacent_difference_config_selectorILb1EhEEZNS1_24adjacent_difference_implIS3_Lb1ELb0EPhS7_N6thrust23THRUST_200600_302600_NS4plusIhEEEE10hipError_tPvRmT2_T3_mT4_P12ihipStream_tbEUlT_E_NS1_11comp_targetILNS1_3genE4ELNS1_11target_archE910ELNS1_3gpuE8ELNS1_3repE0EEENS1_30default_config_static_selectorELNS0_4arch9wavefront6targetE1EEEvT1_
		.amdhsa_group_segment_fixed_size 2432
		.amdhsa_private_segment_fixed_size 0
		.amdhsa_kernarg_size 56
		.amdhsa_user_sgpr_count 6
		.amdhsa_user_sgpr_private_segment_buffer 1
		.amdhsa_user_sgpr_dispatch_ptr 0
		.amdhsa_user_sgpr_queue_ptr 0
		.amdhsa_user_sgpr_kernarg_segment_ptr 1
		.amdhsa_user_sgpr_dispatch_id 0
		.amdhsa_user_sgpr_flat_scratch_init 0
		.amdhsa_user_sgpr_kernarg_preload_length 0
		.amdhsa_user_sgpr_kernarg_preload_offset 0
		.amdhsa_user_sgpr_private_segment_size 0
		.amdhsa_uses_dynamic_stack 0
		.amdhsa_system_sgpr_private_segment_wavefront_offset 0
		.amdhsa_system_sgpr_workgroup_id_x 1
		.amdhsa_system_sgpr_workgroup_id_y 0
		.amdhsa_system_sgpr_workgroup_id_z 0
		.amdhsa_system_sgpr_workgroup_info 0
		.amdhsa_system_vgpr_workitem_id 0
		.amdhsa_next_free_vgpr 42
		.amdhsa_next_free_sgpr 48
		.amdhsa_accum_offset 44
		.amdhsa_reserve_vcc 1
		.amdhsa_reserve_flat_scratch 0
		.amdhsa_float_round_mode_32 0
		.amdhsa_float_round_mode_16_64 0
		.amdhsa_float_denorm_mode_32 3
		.amdhsa_float_denorm_mode_16_64 3
		.amdhsa_dx10_clamp 1
		.amdhsa_ieee_mode 1
		.amdhsa_fp16_overflow 0
		.amdhsa_tg_split 0
		.amdhsa_exception_fp_ieee_invalid_op 0
		.amdhsa_exception_fp_denorm_src 0
		.amdhsa_exception_fp_ieee_div_zero 0
		.amdhsa_exception_fp_ieee_overflow 0
		.amdhsa_exception_fp_ieee_underflow 0
		.amdhsa_exception_fp_ieee_inexact 0
		.amdhsa_exception_int_div_zero 0
	.end_amdhsa_kernel
	.section	.text._ZN7rocprim17ROCPRIM_400000_NS6detail17trampoline_kernelINS0_14default_configENS1_35adjacent_difference_config_selectorILb1EhEEZNS1_24adjacent_difference_implIS3_Lb1ELb0EPhS7_N6thrust23THRUST_200600_302600_NS4plusIhEEEE10hipError_tPvRmT2_T3_mT4_P12ihipStream_tbEUlT_E_NS1_11comp_targetILNS1_3genE4ELNS1_11target_archE910ELNS1_3gpuE8ELNS1_3repE0EEENS1_30default_config_static_selectorELNS0_4arch9wavefront6targetE1EEEvT1_,"axG",@progbits,_ZN7rocprim17ROCPRIM_400000_NS6detail17trampoline_kernelINS0_14default_configENS1_35adjacent_difference_config_selectorILb1EhEEZNS1_24adjacent_difference_implIS3_Lb1ELb0EPhS7_N6thrust23THRUST_200600_302600_NS4plusIhEEEE10hipError_tPvRmT2_T3_mT4_P12ihipStream_tbEUlT_E_NS1_11comp_targetILNS1_3genE4ELNS1_11target_archE910ELNS1_3gpuE8ELNS1_3repE0EEENS1_30default_config_static_selectorELNS0_4arch9wavefront6targetE1EEEvT1_,comdat
.Lfunc_end308:
	.size	_ZN7rocprim17ROCPRIM_400000_NS6detail17trampoline_kernelINS0_14default_configENS1_35adjacent_difference_config_selectorILb1EhEEZNS1_24adjacent_difference_implIS3_Lb1ELb0EPhS7_N6thrust23THRUST_200600_302600_NS4plusIhEEEE10hipError_tPvRmT2_T3_mT4_P12ihipStream_tbEUlT_E_NS1_11comp_targetILNS1_3genE4ELNS1_11target_archE910ELNS1_3gpuE8ELNS1_3repE0EEENS1_30default_config_static_selectorELNS0_4arch9wavefront6targetE1EEEvT1_, .Lfunc_end308-_ZN7rocprim17ROCPRIM_400000_NS6detail17trampoline_kernelINS0_14default_configENS1_35adjacent_difference_config_selectorILb1EhEEZNS1_24adjacent_difference_implIS3_Lb1ELb0EPhS7_N6thrust23THRUST_200600_302600_NS4plusIhEEEE10hipError_tPvRmT2_T3_mT4_P12ihipStream_tbEUlT_E_NS1_11comp_targetILNS1_3genE4ELNS1_11target_archE910ELNS1_3gpuE8ELNS1_3repE0EEENS1_30default_config_static_selectorELNS0_4arch9wavefront6targetE1EEEvT1_
                                        ; -- End function
	.section	.AMDGPU.csdata,"",@progbits
; Kernel info:
; codeLenInByte = 4624
; NumSgprs: 52
; NumVgprs: 42
; NumAgprs: 0
; TotalNumVgprs: 42
; ScratchSize: 0
; MemoryBound: 0
; FloatMode: 240
; IeeeMode: 1
; LDSByteSize: 2432 bytes/workgroup (compile time only)
; SGPRBlocks: 6
; VGPRBlocks: 5
; NumSGPRsForWavesPerEU: 52
; NumVGPRsForWavesPerEU: 42
; AccumOffset: 44
; Occupancy: 8
; WaveLimiterHint : 1
; COMPUTE_PGM_RSRC2:SCRATCH_EN: 0
; COMPUTE_PGM_RSRC2:USER_SGPR: 6
; COMPUTE_PGM_RSRC2:TRAP_HANDLER: 0
; COMPUTE_PGM_RSRC2:TGID_X_EN: 1
; COMPUTE_PGM_RSRC2:TGID_Y_EN: 0
; COMPUTE_PGM_RSRC2:TGID_Z_EN: 0
; COMPUTE_PGM_RSRC2:TIDIG_COMP_CNT: 0
; COMPUTE_PGM_RSRC3_GFX90A:ACCUM_OFFSET: 10
; COMPUTE_PGM_RSRC3_GFX90A:TG_SPLIT: 0
	.section	.text._ZN7rocprim17ROCPRIM_400000_NS6detail17trampoline_kernelINS0_14default_configENS1_35adjacent_difference_config_selectorILb1EhEEZNS1_24adjacent_difference_implIS3_Lb1ELb0EPhS7_N6thrust23THRUST_200600_302600_NS4plusIhEEEE10hipError_tPvRmT2_T3_mT4_P12ihipStream_tbEUlT_E_NS1_11comp_targetILNS1_3genE3ELNS1_11target_archE908ELNS1_3gpuE7ELNS1_3repE0EEENS1_30default_config_static_selectorELNS0_4arch9wavefront6targetE1EEEvT1_,"axG",@progbits,_ZN7rocprim17ROCPRIM_400000_NS6detail17trampoline_kernelINS0_14default_configENS1_35adjacent_difference_config_selectorILb1EhEEZNS1_24adjacent_difference_implIS3_Lb1ELb0EPhS7_N6thrust23THRUST_200600_302600_NS4plusIhEEEE10hipError_tPvRmT2_T3_mT4_P12ihipStream_tbEUlT_E_NS1_11comp_targetILNS1_3genE3ELNS1_11target_archE908ELNS1_3gpuE7ELNS1_3repE0EEENS1_30default_config_static_selectorELNS0_4arch9wavefront6targetE1EEEvT1_,comdat
	.protected	_ZN7rocprim17ROCPRIM_400000_NS6detail17trampoline_kernelINS0_14default_configENS1_35adjacent_difference_config_selectorILb1EhEEZNS1_24adjacent_difference_implIS3_Lb1ELb0EPhS7_N6thrust23THRUST_200600_302600_NS4plusIhEEEE10hipError_tPvRmT2_T3_mT4_P12ihipStream_tbEUlT_E_NS1_11comp_targetILNS1_3genE3ELNS1_11target_archE908ELNS1_3gpuE7ELNS1_3repE0EEENS1_30default_config_static_selectorELNS0_4arch9wavefront6targetE1EEEvT1_ ; -- Begin function _ZN7rocprim17ROCPRIM_400000_NS6detail17trampoline_kernelINS0_14default_configENS1_35adjacent_difference_config_selectorILb1EhEEZNS1_24adjacent_difference_implIS3_Lb1ELb0EPhS7_N6thrust23THRUST_200600_302600_NS4plusIhEEEE10hipError_tPvRmT2_T3_mT4_P12ihipStream_tbEUlT_E_NS1_11comp_targetILNS1_3genE3ELNS1_11target_archE908ELNS1_3gpuE7ELNS1_3repE0EEENS1_30default_config_static_selectorELNS0_4arch9wavefront6targetE1EEEvT1_
	.globl	_ZN7rocprim17ROCPRIM_400000_NS6detail17trampoline_kernelINS0_14default_configENS1_35adjacent_difference_config_selectorILb1EhEEZNS1_24adjacent_difference_implIS3_Lb1ELb0EPhS7_N6thrust23THRUST_200600_302600_NS4plusIhEEEE10hipError_tPvRmT2_T3_mT4_P12ihipStream_tbEUlT_E_NS1_11comp_targetILNS1_3genE3ELNS1_11target_archE908ELNS1_3gpuE7ELNS1_3repE0EEENS1_30default_config_static_selectorELNS0_4arch9wavefront6targetE1EEEvT1_
	.p2align	8
	.type	_ZN7rocprim17ROCPRIM_400000_NS6detail17trampoline_kernelINS0_14default_configENS1_35adjacent_difference_config_selectorILb1EhEEZNS1_24adjacent_difference_implIS3_Lb1ELb0EPhS7_N6thrust23THRUST_200600_302600_NS4plusIhEEEE10hipError_tPvRmT2_T3_mT4_P12ihipStream_tbEUlT_E_NS1_11comp_targetILNS1_3genE3ELNS1_11target_archE908ELNS1_3gpuE7ELNS1_3repE0EEENS1_30default_config_static_selectorELNS0_4arch9wavefront6targetE1EEEvT1_,@function
_ZN7rocprim17ROCPRIM_400000_NS6detail17trampoline_kernelINS0_14default_configENS1_35adjacent_difference_config_selectorILb1EhEEZNS1_24adjacent_difference_implIS3_Lb1ELb0EPhS7_N6thrust23THRUST_200600_302600_NS4plusIhEEEE10hipError_tPvRmT2_T3_mT4_P12ihipStream_tbEUlT_E_NS1_11comp_targetILNS1_3genE3ELNS1_11target_archE908ELNS1_3gpuE7ELNS1_3repE0EEENS1_30default_config_static_selectorELNS0_4arch9wavefront6targetE1EEEvT1_: ; @_ZN7rocprim17ROCPRIM_400000_NS6detail17trampoline_kernelINS0_14default_configENS1_35adjacent_difference_config_selectorILb1EhEEZNS1_24adjacent_difference_implIS3_Lb1ELb0EPhS7_N6thrust23THRUST_200600_302600_NS4plusIhEEEE10hipError_tPvRmT2_T3_mT4_P12ihipStream_tbEUlT_E_NS1_11comp_targetILNS1_3genE3ELNS1_11target_archE908ELNS1_3gpuE7ELNS1_3repE0EEENS1_30default_config_static_selectorELNS0_4arch9wavefront6targetE1EEEvT1_
; %bb.0:
	.section	.rodata,"a",@progbits
	.p2align	6, 0x0
	.amdhsa_kernel _ZN7rocprim17ROCPRIM_400000_NS6detail17trampoline_kernelINS0_14default_configENS1_35adjacent_difference_config_selectorILb1EhEEZNS1_24adjacent_difference_implIS3_Lb1ELb0EPhS7_N6thrust23THRUST_200600_302600_NS4plusIhEEEE10hipError_tPvRmT2_T3_mT4_P12ihipStream_tbEUlT_E_NS1_11comp_targetILNS1_3genE3ELNS1_11target_archE908ELNS1_3gpuE7ELNS1_3repE0EEENS1_30default_config_static_selectorELNS0_4arch9wavefront6targetE1EEEvT1_
		.amdhsa_group_segment_fixed_size 0
		.amdhsa_private_segment_fixed_size 0
		.amdhsa_kernarg_size 56
		.amdhsa_user_sgpr_count 6
		.amdhsa_user_sgpr_private_segment_buffer 1
		.amdhsa_user_sgpr_dispatch_ptr 0
		.amdhsa_user_sgpr_queue_ptr 0
		.amdhsa_user_sgpr_kernarg_segment_ptr 1
		.amdhsa_user_sgpr_dispatch_id 0
		.amdhsa_user_sgpr_flat_scratch_init 0
		.amdhsa_user_sgpr_kernarg_preload_length 0
		.amdhsa_user_sgpr_kernarg_preload_offset 0
		.amdhsa_user_sgpr_private_segment_size 0
		.amdhsa_uses_dynamic_stack 0
		.amdhsa_system_sgpr_private_segment_wavefront_offset 0
		.amdhsa_system_sgpr_workgroup_id_x 1
		.amdhsa_system_sgpr_workgroup_id_y 0
		.amdhsa_system_sgpr_workgroup_id_z 0
		.amdhsa_system_sgpr_workgroup_info 0
		.amdhsa_system_vgpr_workitem_id 0
		.amdhsa_next_free_vgpr 1
		.amdhsa_next_free_sgpr 0
		.amdhsa_accum_offset 4
		.amdhsa_reserve_vcc 0
		.amdhsa_reserve_flat_scratch 0
		.amdhsa_float_round_mode_32 0
		.amdhsa_float_round_mode_16_64 0
		.amdhsa_float_denorm_mode_32 3
		.amdhsa_float_denorm_mode_16_64 3
		.amdhsa_dx10_clamp 1
		.amdhsa_ieee_mode 1
		.amdhsa_fp16_overflow 0
		.amdhsa_tg_split 0
		.amdhsa_exception_fp_ieee_invalid_op 0
		.amdhsa_exception_fp_denorm_src 0
		.amdhsa_exception_fp_ieee_div_zero 0
		.amdhsa_exception_fp_ieee_overflow 0
		.amdhsa_exception_fp_ieee_underflow 0
		.amdhsa_exception_fp_ieee_inexact 0
		.amdhsa_exception_int_div_zero 0
	.end_amdhsa_kernel
	.section	.text._ZN7rocprim17ROCPRIM_400000_NS6detail17trampoline_kernelINS0_14default_configENS1_35adjacent_difference_config_selectorILb1EhEEZNS1_24adjacent_difference_implIS3_Lb1ELb0EPhS7_N6thrust23THRUST_200600_302600_NS4plusIhEEEE10hipError_tPvRmT2_T3_mT4_P12ihipStream_tbEUlT_E_NS1_11comp_targetILNS1_3genE3ELNS1_11target_archE908ELNS1_3gpuE7ELNS1_3repE0EEENS1_30default_config_static_selectorELNS0_4arch9wavefront6targetE1EEEvT1_,"axG",@progbits,_ZN7rocprim17ROCPRIM_400000_NS6detail17trampoline_kernelINS0_14default_configENS1_35adjacent_difference_config_selectorILb1EhEEZNS1_24adjacent_difference_implIS3_Lb1ELb0EPhS7_N6thrust23THRUST_200600_302600_NS4plusIhEEEE10hipError_tPvRmT2_T3_mT4_P12ihipStream_tbEUlT_E_NS1_11comp_targetILNS1_3genE3ELNS1_11target_archE908ELNS1_3gpuE7ELNS1_3repE0EEENS1_30default_config_static_selectorELNS0_4arch9wavefront6targetE1EEEvT1_,comdat
.Lfunc_end309:
	.size	_ZN7rocprim17ROCPRIM_400000_NS6detail17trampoline_kernelINS0_14default_configENS1_35adjacent_difference_config_selectorILb1EhEEZNS1_24adjacent_difference_implIS3_Lb1ELb0EPhS7_N6thrust23THRUST_200600_302600_NS4plusIhEEEE10hipError_tPvRmT2_T3_mT4_P12ihipStream_tbEUlT_E_NS1_11comp_targetILNS1_3genE3ELNS1_11target_archE908ELNS1_3gpuE7ELNS1_3repE0EEENS1_30default_config_static_selectorELNS0_4arch9wavefront6targetE1EEEvT1_, .Lfunc_end309-_ZN7rocprim17ROCPRIM_400000_NS6detail17trampoline_kernelINS0_14default_configENS1_35adjacent_difference_config_selectorILb1EhEEZNS1_24adjacent_difference_implIS3_Lb1ELb0EPhS7_N6thrust23THRUST_200600_302600_NS4plusIhEEEE10hipError_tPvRmT2_T3_mT4_P12ihipStream_tbEUlT_E_NS1_11comp_targetILNS1_3genE3ELNS1_11target_archE908ELNS1_3gpuE7ELNS1_3repE0EEENS1_30default_config_static_selectorELNS0_4arch9wavefront6targetE1EEEvT1_
                                        ; -- End function
	.section	.AMDGPU.csdata,"",@progbits
; Kernel info:
; codeLenInByte = 0
; NumSgprs: 4
; NumVgprs: 0
; NumAgprs: 0
; TotalNumVgprs: 0
; ScratchSize: 0
; MemoryBound: 0
; FloatMode: 240
; IeeeMode: 1
; LDSByteSize: 0 bytes/workgroup (compile time only)
; SGPRBlocks: 0
; VGPRBlocks: 0
; NumSGPRsForWavesPerEU: 4
; NumVGPRsForWavesPerEU: 1
; AccumOffset: 4
; Occupancy: 8
; WaveLimiterHint : 0
; COMPUTE_PGM_RSRC2:SCRATCH_EN: 0
; COMPUTE_PGM_RSRC2:USER_SGPR: 6
; COMPUTE_PGM_RSRC2:TRAP_HANDLER: 0
; COMPUTE_PGM_RSRC2:TGID_X_EN: 1
; COMPUTE_PGM_RSRC2:TGID_Y_EN: 0
; COMPUTE_PGM_RSRC2:TGID_Z_EN: 0
; COMPUTE_PGM_RSRC2:TIDIG_COMP_CNT: 0
; COMPUTE_PGM_RSRC3_GFX90A:ACCUM_OFFSET: 0
; COMPUTE_PGM_RSRC3_GFX90A:TG_SPLIT: 0
	.section	.text._ZN7rocprim17ROCPRIM_400000_NS6detail17trampoline_kernelINS0_14default_configENS1_35adjacent_difference_config_selectorILb1EhEEZNS1_24adjacent_difference_implIS3_Lb1ELb0EPhS7_N6thrust23THRUST_200600_302600_NS4plusIhEEEE10hipError_tPvRmT2_T3_mT4_P12ihipStream_tbEUlT_E_NS1_11comp_targetILNS1_3genE2ELNS1_11target_archE906ELNS1_3gpuE6ELNS1_3repE0EEENS1_30default_config_static_selectorELNS0_4arch9wavefront6targetE1EEEvT1_,"axG",@progbits,_ZN7rocprim17ROCPRIM_400000_NS6detail17trampoline_kernelINS0_14default_configENS1_35adjacent_difference_config_selectorILb1EhEEZNS1_24adjacent_difference_implIS3_Lb1ELb0EPhS7_N6thrust23THRUST_200600_302600_NS4plusIhEEEE10hipError_tPvRmT2_T3_mT4_P12ihipStream_tbEUlT_E_NS1_11comp_targetILNS1_3genE2ELNS1_11target_archE906ELNS1_3gpuE6ELNS1_3repE0EEENS1_30default_config_static_selectorELNS0_4arch9wavefront6targetE1EEEvT1_,comdat
	.protected	_ZN7rocprim17ROCPRIM_400000_NS6detail17trampoline_kernelINS0_14default_configENS1_35adjacent_difference_config_selectorILb1EhEEZNS1_24adjacent_difference_implIS3_Lb1ELb0EPhS7_N6thrust23THRUST_200600_302600_NS4plusIhEEEE10hipError_tPvRmT2_T3_mT4_P12ihipStream_tbEUlT_E_NS1_11comp_targetILNS1_3genE2ELNS1_11target_archE906ELNS1_3gpuE6ELNS1_3repE0EEENS1_30default_config_static_selectorELNS0_4arch9wavefront6targetE1EEEvT1_ ; -- Begin function _ZN7rocprim17ROCPRIM_400000_NS6detail17trampoline_kernelINS0_14default_configENS1_35adjacent_difference_config_selectorILb1EhEEZNS1_24adjacent_difference_implIS3_Lb1ELb0EPhS7_N6thrust23THRUST_200600_302600_NS4plusIhEEEE10hipError_tPvRmT2_T3_mT4_P12ihipStream_tbEUlT_E_NS1_11comp_targetILNS1_3genE2ELNS1_11target_archE906ELNS1_3gpuE6ELNS1_3repE0EEENS1_30default_config_static_selectorELNS0_4arch9wavefront6targetE1EEEvT1_
	.globl	_ZN7rocprim17ROCPRIM_400000_NS6detail17trampoline_kernelINS0_14default_configENS1_35adjacent_difference_config_selectorILb1EhEEZNS1_24adjacent_difference_implIS3_Lb1ELb0EPhS7_N6thrust23THRUST_200600_302600_NS4plusIhEEEE10hipError_tPvRmT2_T3_mT4_P12ihipStream_tbEUlT_E_NS1_11comp_targetILNS1_3genE2ELNS1_11target_archE906ELNS1_3gpuE6ELNS1_3repE0EEENS1_30default_config_static_selectorELNS0_4arch9wavefront6targetE1EEEvT1_
	.p2align	8
	.type	_ZN7rocprim17ROCPRIM_400000_NS6detail17trampoline_kernelINS0_14default_configENS1_35adjacent_difference_config_selectorILb1EhEEZNS1_24adjacent_difference_implIS3_Lb1ELb0EPhS7_N6thrust23THRUST_200600_302600_NS4plusIhEEEE10hipError_tPvRmT2_T3_mT4_P12ihipStream_tbEUlT_E_NS1_11comp_targetILNS1_3genE2ELNS1_11target_archE906ELNS1_3gpuE6ELNS1_3repE0EEENS1_30default_config_static_selectorELNS0_4arch9wavefront6targetE1EEEvT1_,@function
_ZN7rocprim17ROCPRIM_400000_NS6detail17trampoline_kernelINS0_14default_configENS1_35adjacent_difference_config_selectorILb1EhEEZNS1_24adjacent_difference_implIS3_Lb1ELb0EPhS7_N6thrust23THRUST_200600_302600_NS4plusIhEEEE10hipError_tPvRmT2_T3_mT4_P12ihipStream_tbEUlT_E_NS1_11comp_targetILNS1_3genE2ELNS1_11target_archE906ELNS1_3gpuE6ELNS1_3repE0EEENS1_30default_config_static_selectorELNS0_4arch9wavefront6targetE1EEEvT1_: ; @_ZN7rocprim17ROCPRIM_400000_NS6detail17trampoline_kernelINS0_14default_configENS1_35adjacent_difference_config_selectorILb1EhEEZNS1_24adjacent_difference_implIS3_Lb1ELb0EPhS7_N6thrust23THRUST_200600_302600_NS4plusIhEEEE10hipError_tPvRmT2_T3_mT4_P12ihipStream_tbEUlT_E_NS1_11comp_targetILNS1_3genE2ELNS1_11target_archE906ELNS1_3gpuE6ELNS1_3repE0EEENS1_30default_config_static_selectorELNS0_4arch9wavefront6targetE1EEEvT1_
; %bb.0:
	.section	.rodata,"a",@progbits
	.p2align	6, 0x0
	.amdhsa_kernel _ZN7rocprim17ROCPRIM_400000_NS6detail17trampoline_kernelINS0_14default_configENS1_35adjacent_difference_config_selectorILb1EhEEZNS1_24adjacent_difference_implIS3_Lb1ELb0EPhS7_N6thrust23THRUST_200600_302600_NS4plusIhEEEE10hipError_tPvRmT2_T3_mT4_P12ihipStream_tbEUlT_E_NS1_11comp_targetILNS1_3genE2ELNS1_11target_archE906ELNS1_3gpuE6ELNS1_3repE0EEENS1_30default_config_static_selectorELNS0_4arch9wavefront6targetE1EEEvT1_
		.amdhsa_group_segment_fixed_size 0
		.amdhsa_private_segment_fixed_size 0
		.amdhsa_kernarg_size 56
		.amdhsa_user_sgpr_count 6
		.amdhsa_user_sgpr_private_segment_buffer 1
		.amdhsa_user_sgpr_dispatch_ptr 0
		.amdhsa_user_sgpr_queue_ptr 0
		.amdhsa_user_sgpr_kernarg_segment_ptr 1
		.amdhsa_user_sgpr_dispatch_id 0
		.amdhsa_user_sgpr_flat_scratch_init 0
		.amdhsa_user_sgpr_kernarg_preload_length 0
		.amdhsa_user_sgpr_kernarg_preload_offset 0
		.amdhsa_user_sgpr_private_segment_size 0
		.amdhsa_uses_dynamic_stack 0
		.amdhsa_system_sgpr_private_segment_wavefront_offset 0
		.amdhsa_system_sgpr_workgroup_id_x 1
		.amdhsa_system_sgpr_workgroup_id_y 0
		.amdhsa_system_sgpr_workgroup_id_z 0
		.amdhsa_system_sgpr_workgroup_info 0
		.amdhsa_system_vgpr_workitem_id 0
		.amdhsa_next_free_vgpr 1
		.amdhsa_next_free_sgpr 0
		.amdhsa_accum_offset 4
		.amdhsa_reserve_vcc 0
		.amdhsa_reserve_flat_scratch 0
		.amdhsa_float_round_mode_32 0
		.amdhsa_float_round_mode_16_64 0
		.amdhsa_float_denorm_mode_32 3
		.amdhsa_float_denorm_mode_16_64 3
		.amdhsa_dx10_clamp 1
		.amdhsa_ieee_mode 1
		.amdhsa_fp16_overflow 0
		.amdhsa_tg_split 0
		.amdhsa_exception_fp_ieee_invalid_op 0
		.amdhsa_exception_fp_denorm_src 0
		.amdhsa_exception_fp_ieee_div_zero 0
		.amdhsa_exception_fp_ieee_overflow 0
		.amdhsa_exception_fp_ieee_underflow 0
		.amdhsa_exception_fp_ieee_inexact 0
		.amdhsa_exception_int_div_zero 0
	.end_amdhsa_kernel
	.section	.text._ZN7rocprim17ROCPRIM_400000_NS6detail17trampoline_kernelINS0_14default_configENS1_35adjacent_difference_config_selectorILb1EhEEZNS1_24adjacent_difference_implIS3_Lb1ELb0EPhS7_N6thrust23THRUST_200600_302600_NS4plusIhEEEE10hipError_tPvRmT2_T3_mT4_P12ihipStream_tbEUlT_E_NS1_11comp_targetILNS1_3genE2ELNS1_11target_archE906ELNS1_3gpuE6ELNS1_3repE0EEENS1_30default_config_static_selectorELNS0_4arch9wavefront6targetE1EEEvT1_,"axG",@progbits,_ZN7rocprim17ROCPRIM_400000_NS6detail17trampoline_kernelINS0_14default_configENS1_35adjacent_difference_config_selectorILb1EhEEZNS1_24adjacent_difference_implIS3_Lb1ELb0EPhS7_N6thrust23THRUST_200600_302600_NS4plusIhEEEE10hipError_tPvRmT2_T3_mT4_P12ihipStream_tbEUlT_E_NS1_11comp_targetILNS1_3genE2ELNS1_11target_archE906ELNS1_3gpuE6ELNS1_3repE0EEENS1_30default_config_static_selectorELNS0_4arch9wavefront6targetE1EEEvT1_,comdat
.Lfunc_end310:
	.size	_ZN7rocprim17ROCPRIM_400000_NS6detail17trampoline_kernelINS0_14default_configENS1_35adjacent_difference_config_selectorILb1EhEEZNS1_24adjacent_difference_implIS3_Lb1ELb0EPhS7_N6thrust23THRUST_200600_302600_NS4plusIhEEEE10hipError_tPvRmT2_T3_mT4_P12ihipStream_tbEUlT_E_NS1_11comp_targetILNS1_3genE2ELNS1_11target_archE906ELNS1_3gpuE6ELNS1_3repE0EEENS1_30default_config_static_selectorELNS0_4arch9wavefront6targetE1EEEvT1_, .Lfunc_end310-_ZN7rocprim17ROCPRIM_400000_NS6detail17trampoline_kernelINS0_14default_configENS1_35adjacent_difference_config_selectorILb1EhEEZNS1_24adjacent_difference_implIS3_Lb1ELb0EPhS7_N6thrust23THRUST_200600_302600_NS4plusIhEEEE10hipError_tPvRmT2_T3_mT4_P12ihipStream_tbEUlT_E_NS1_11comp_targetILNS1_3genE2ELNS1_11target_archE906ELNS1_3gpuE6ELNS1_3repE0EEENS1_30default_config_static_selectorELNS0_4arch9wavefront6targetE1EEEvT1_
                                        ; -- End function
	.section	.AMDGPU.csdata,"",@progbits
; Kernel info:
; codeLenInByte = 0
; NumSgprs: 4
; NumVgprs: 0
; NumAgprs: 0
; TotalNumVgprs: 0
; ScratchSize: 0
; MemoryBound: 0
; FloatMode: 240
; IeeeMode: 1
; LDSByteSize: 0 bytes/workgroup (compile time only)
; SGPRBlocks: 0
; VGPRBlocks: 0
; NumSGPRsForWavesPerEU: 4
; NumVGPRsForWavesPerEU: 1
; AccumOffset: 4
; Occupancy: 8
; WaveLimiterHint : 0
; COMPUTE_PGM_RSRC2:SCRATCH_EN: 0
; COMPUTE_PGM_RSRC2:USER_SGPR: 6
; COMPUTE_PGM_RSRC2:TRAP_HANDLER: 0
; COMPUTE_PGM_RSRC2:TGID_X_EN: 1
; COMPUTE_PGM_RSRC2:TGID_Y_EN: 0
; COMPUTE_PGM_RSRC2:TGID_Z_EN: 0
; COMPUTE_PGM_RSRC2:TIDIG_COMP_CNT: 0
; COMPUTE_PGM_RSRC3_GFX90A:ACCUM_OFFSET: 0
; COMPUTE_PGM_RSRC3_GFX90A:TG_SPLIT: 0
	.section	.text._ZN7rocprim17ROCPRIM_400000_NS6detail17trampoline_kernelINS0_14default_configENS1_35adjacent_difference_config_selectorILb1EhEEZNS1_24adjacent_difference_implIS3_Lb1ELb0EPhS7_N6thrust23THRUST_200600_302600_NS4plusIhEEEE10hipError_tPvRmT2_T3_mT4_P12ihipStream_tbEUlT_E_NS1_11comp_targetILNS1_3genE9ELNS1_11target_archE1100ELNS1_3gpuE3ELNS1_3repE0EEENS1_30default_config_static_selectorELNS0_4arch9wavefront6targetE1EEEvT1_,"axG",@progbits,_ZN7rocprim17ROCPRIM_400000_NS6detail17trampoline_kernelINS0_14default_configENS1_35adjacent_difference_config_selectorILb1EhEEZNS1_24adjacent_difference_implIS3_Lb1ELb0EPhS7_N6thrust23THRUST_200600_302600_NS4plusIhEEEE10hipError_tPvRmT2_T3_mT4_P12ihipStream_tbEUlT_E_NS1_11comp_targetILNS1_3genE9ELNS1_11target_archE1100ELNS1_3gpuE3ELNS1_3repE0EEENS1_30default_config_static_selectorELNS0_4arch9wavefront6targetE1EEEvT1_,comdat
	.protected	_ZN7rocprim17ROCPRIM_400000_NS6detail17trampoline_kernelINS0_14default_configENS1_35adjacent_difference_config_selectorILb1EhEEZNS1_24adjacent_difference_implIS3_Lb1ELb0EPhS7_N6thrust23THRUST_200600_302600_NS4plusIhEEEE10hipError_tPvRmT2_T3_mT4_P12ihipStream_tbEUlT_E_NS1_11comp_targetILNS1_3genE9ELNS1_11target_archE1100ELNS1_3gpuE3ELNS1_3repE0EEENS1_30default_config_static_selectorELNS0_4arch9wavefront6targetE1EEEvT1_ ; -- Begin function _ZN7rocprim17ROCPRIM_400000_NS6detail17trampoline_kernelINS0_14default_configENS1_35adjacent_difference_config_selectorILb1EhEEZNS1_24adjacent_difference_implIS3_Lb1ELb0EPhS7_N6thrust23THRUST_200600_302600_NS4plusIhEEEE10hipError_tPvRmT2_T3_mT4_P12ihipStream_tbEUlT_E_NS1_11comp_targetILNS1_3genE9ELNS1_11target_archE1100ELNS1_3gpuE3ELNS1_3repE0EEENS1_30default_config_static_selectorELNS0_4arch9wavefront6targetE1EEEvT1_
	.globl	_ZN7rocprim17ROCPRIM_400000_NS6detail17trampoline_kernelINS0_14default_configENS1_35adjacent_difference_config_selectorILb1EhEEZNS1_24adjacent_difference_implIS3_Lb1ELb0EPhS7_N6thrust23THRUST_200600_302600_NS4plusIhEEEE10hipError_tPvRmT2_T3_mT4_P12ihipStream_tbEUlT_E_NS1_11comp_targetILNS1_3genE9ELNS1_11target_archE1100ELNS1_3gpuE3ELNS1_3repE0EEENS1_30default_config_static_selectorELNS0_4arch9wavefront6targetE1EEEvT1_
	.p2align	8
	.type	_ZN7rocprim17ROCPRIM_400000_NS6detail17trampoline_kernelINS0_14default_configENS1_35adjacent_difference_config_selectorILb1EhEEZNS1_24adjacent_difference_implIS3_Lb1ELb0EPhS7_N6thrust23THRUST_200600_302600_NS4plusIhEEEE10hipError_tPvRmT2_T3_mT4_P12ihipStream_tbEUlT_E_NS1_11comp_targetILNS1_3genE9ELNS1_11target_archE1100ELNS1_3gpuE3ELNS1_3repE0EEENS1_30default_config_static_selectorELNS0_4arch9wavefront6targetE1EEEvT1_,@function
_ZN7rocprim17ROCPRIM_400000_NS6detail17trampoline_kernelINS0_14default_configENS1_35adjacent_difference_config_selectorILb1EhEEZNS1_24adjacent_difference_implIS3_Lb1ELb0EPhS7_N6thrust23THRUST_200600_302600_NS4plusIhEEEE10hipError_tPvRmT2_T3_mT4_P12ihipStream_tbEUlT_E_NS1_11comp_targetILNS1_3genE9ELNS1_11target_archE1100ELNS1_3gpuE3ELNS1_3repE0EEENS1_30default_config_static_selectorELNS0_4arch9wavefront6targetE1EEEvT1_: ; @_ZN7rocprim17ROCPRIM_400000_NS6detail17trampoline_kernelINS0_14default_configENS1_35adjacent_difference_config_selectorILb1EhEEZNS1_24adjacent_difference_implIS3_Lb1ELb0EPhS7_N6thrust23THRUST_200600_302600_NS4plusIhEEEE10hipError_tPvRmT2_T3_mT4_P12ihipStream_tbEUlT_E_NS1_11comp_targetILNS1_3genE9ELNS1_11target_archE1100ELNS1_3gpuE3ELNS1_3repE0EEENS1_30default_config_static_selectorELNS0_4arch9wavefront6targetE1EEEvT1_
; %bb.0:
	.section	.rodata,"a",@progbits
	.p2align	6, 0x0
	.amdhsa_kernel _ZN7rocprim17ROCPRIM_400000_NS6detail17trampoline_kernelINS0_14default_configENS1_35adjacent_difference_config_selectorILb1EhEEZNS1_24adjacent_difference_implIS3_Lb1ELb0EPhS7_N6thrust23THRUST_200600_302600_NS4plusIhEEEE10hipError_tPvRmT2_T3_mT4_P12ihipStream_tbEUlT_E_NS1_11comp_targetILNS1_3genE9ELNS1_11target_archE1100ELNS1_3gpuE3ELNS1_3repE0EEENS1_30default_config_static_selectorELNS0_4arch9wavefront6targetE1EEEvT1_
		.amdhsa_group_segment_fixed_size 0
		.amdhsa_private_segment_fixed_size 0
		.amdhsa_kernarg_size 56
		.amdhsa_user_sgpr_count 6
		.amdhsa_user_sgpr_private_segment_buffer 1
		.amdhsa_user_sgpr_dispatch_ptr 0
		.amdhsa_user_sgpr_queue_ptr 0
		.amdhsa_user_sgpr_kernarg_segment_ptr 1
		.amdhsa_user_sgpr_dispatch_id 0
		.amdhsa_user_sgpr_flat_scratch_init 0
		.amdhsa_user_sgpr_kernarg_preload_length 0
		.amdhsa_user_sgpr_kernarg_preload_offset 0
		.amdhsa_user_sgpr_private_segment_size 0
		.amdhsa_uses_dynamic_stack 0
		.amdhsa_system_sgpr_private_segment_wavefront_offset 0
		.amdhsa_system_sgpr_workgroup_id_x 1
		.amdhsa_system_sgpr_workgroup_id_y 0
		.amdhsa_system_sgpr_workgroup_id_z 0
		.amdhsa_system_sgpr_workgroup_info 0
		.amdhsa_system_vgpr_workitem_id 0
		.amdhsa_next_free_vgpr 1
		.amdhsa_next_free_sgpr 0
		.amdhsa_accum_offset 4
		.amdhsa_reserve_vcc 0
		.amdhsa_reserve_flat_scratch 0
		.amdhsa_float_round_mode_32 0
		.amdhsa_float_round_mode_16_64 0
		.amdhsa_float_denorm_mode_32 3
		.amdhsa_float_denorm_mode_16_64 3
		.amdhsa_dx10_clamp 1
		.amdhsa_ieee_mode 1
		.amdhsa_fp16_overflow 0
		.amdhsa_tg_split 0
		.amdhsa_exception_fp_ieee_invalid_op 0
		.amdhsa_exception_fp_denorm_src 0
		.amdhsa_exception_fp_ieee_div_zero 0
		.amdhsa_exception_fp_ieee_overflow 0
		.amdhsa_exception_fp_ieee_underflow 0
		.amdhsa_exception_fp_ieee_inexact 0
		.amdhsa_exception_int_div_zero 0
	.end_amdhsa_kernel
	.section	.text._ZN7rocprim17ROCPRIM_400000_NS6detail17trampoline_kernelINS0_14default_configENS1_35adjacent_difference_config_selectorILb1EhEEZNS1_24adjacent_difference_implIS3_Lb1ELb0EPhS7_N6thrust23THRUST_200600_302600_NS4plusIhEEEE10hipError_tPvRmT2_T3_mT4_P12ihipStream_tbEUlT_E_NS1_11comp_targetILNS1_3genE9ELNS1_11target_archE1100ELNS1_3gpuE3ELNS1_3repE0EEENS1_30default_config_static_selectorELNS0_4arch9wavefront6targetE1EEEvT1_,"axG",@progbits,_ZN7rocprim17ROCPRIM_400000_NS6detail17trampoline_kernelINS0_14default_configENS1_35adjacent_difference_config_selectorILb1EhEEZNS1_24adjacent_difference_implIS3_Lb1ELb0EPhS7_N6thrust23THRUST_200600_302600_NS4plusIhEEEE10hipError_tPvRmT2_T3_mT4_P12ihipStream_tbEUlT_E_NS1_11comp_targetILNS1_3genE9ELNS1_11target_archE1100ELNS1_3gpuE3ELNS1_3repE0EEENS1_30default_config_static_selectorELNS0_4arch9wavefront6targetE1EEEvT1_,comdat
.Lfunc_end311:
	.size	_ZN7rocprim17ROCPRIM_400000_NS6detail17trampoline_kernelINS0_14default_configENS1_35adjacent_difference_config_selectorILb1EhEEZNS1_24adjacent_difference_implIS3_Lb1ELb0EPhS7_N6thrust23THRUST_200600_302600_NS4plusIhEEEE10hipError_tPvRmT2_T3_mT4_P12ihipStream_tbEUlT_E_NS1_11comp_targetILNS1_3genE9ELNS1_11target_archE1100ELNS1_3gpuE3ELNS1_3repE0EEENS1_30default_config_static_selectorELNS0_4arch9wavefront6targetE1EEEvT1_, .Lfunc_end311-_ZN7rocprim17ROCPRIM_400000_NS6detail17trampoline_kernelINS0_14default_configENS1_35adjacent_difference_config_selectorILb1EhEEZNS1_24adjacent_difference_implIS3_Lb1ELb0EPhS7_N6thrust23THRUST_200600_302600_NS4plusIhEEEE10hipError_tPvRmT2_T3_mT4_P12ihipStream_tbEUlT_E_NS1_11comp_targetILNS1_3genE9ELNS1_11target_archE1100ELNS1_3gpuE3ELNS1_3repE0EEENS1_30default_config_static_selectorELNS0_4arch9wavefront6targetE1EEEvT1_
                                        ; -- End function
	.section	.AMDGPU.csdata,"",@progbits
; Kernel info:
; codeLenInByte = 0
; NumSgprs: 4
; NumVgprs: 0
; NumAgprs: 0
; TotalNumVgprs: 0
; ScratchSize: 0
; MemoryBound: 0
; FloatMode: 240
; IeeeMode: 1
; LDSByteSize: 0 bytes/workgroup (compile time only)
; SGPRBlocks: 0
; VGPRBlocks: 0
; NumSGPRsForWavesPerEU: 4
; NumVGPRsForWavesPerEU: 1
; AccumOffset: 4
; Occupancy: 8
; WaveLimiterHint : 0
; COMPUTE_PGM_RSRC2:SCRATCH_EN: 0
; COMPUTE_PGM_RSRC2:USER_SGPR: 6
; COMPUTE_PGM_RSRC2:TRAP_HANDLER: 0
; COMPUTE_PGM_RSRC2:TGID_X_EN: 1
; COMPUTE_PGM_RSRC2:TGID_Y_EN: 0
; COMPUTE_PGM_RSRC2:TGID_Z_EN: 0
; COMPUTE_PGM_RSRC2:TIDIG_COMP_CNT: 0
; COMPUTE_PGM_RSRC3_GFX90A:ACCUM_OFFSET: 0
; COMPUTE_PGM_RSRC3_GFX90A:TG_SPLIT: 0
	.section	.text._ZN7rocprim17ROCPRIM_400000_NS6detail17trampoline_kernelINS0_14default_configENS1_35adjacent_difference_config_selectorILb1EhEEZNS1_24adjacent_difference_implIS3_Lb1ELb0EPhS7_N6thrust23THRUST_200600_302600_NS4plusIhEEEE10hipError_tPvRmT2_T3_mT4_P12ihipStream_tbEUlT_E_NS1_11comp_targetILNS1_3genE8ELNS1_11target_archE1030ELNS1_3gpuE2ELNS1_3repE0EEENS1_30default_config_static_selectorELNS0_4arch9wavefront6targetE1EEEvT1_,"axG",@progbits,_ZN7rocprim17ROCPRIM_400000_NS6detail17trampoline_kernelINS0_14default_configENS1_35adjacent_difference_config_selectorILb1EhEEZNS1_24adjacent_difference_implIS3_Lb1ELb0EPhS7_N6thrust23THRUST_200600_302600_NS4plusIhEEEE10hipError_tPvRmT2_T3_mT4_P12ihipStream_tbEUlT_E_NS1_11comp_targetILNS1_3genE8ELNS1_11target_archE1030ELNS1_3gpuE2ELNS1_3repE0EEENS1_30default_config_static_selectorELNS0_4arch9wavefront6targetE1EEEvT1_,comdat
	.protected	_ZN7rocprim17ROCPRIM_400000_NS6detail17trampoline_kernelINS0_14default_configENS1_35adjacent_difference_config_selectorILb1EhEEZNS1_24adjacent_difference_implIS3_Lb1ELb0EPhS7_N6thrust23THRUST_200600_302600_NS4plusIhEEEE10hipError_tPvRmT2_T3_mT4_P12ihipStream_tbEUlT_E_NS1_11comp_targetILNS1_3genE8ELNS1_11target_archE1030ELNS1_3gpuE2ELNS1_3repE0EEENS1_30default_config_static_selectorELNS0_4arch9wavefront6targetE1EEEvT1_ ; -- Begin function _ZN7rocprim17ROCPRIM_400000_NS6detail17trampoline_kernelINS0_14default_configENS1_35adjacent_difference_config_selectorILb1EhEEZNS1_24adjacent_difference_implIS3_Lb1ELb0EPhS7_N6thrust23THRUST_200600_302600_NS4plusIhEEEE10hipError_tPvRmT2_T3_mT4_P12ihipStream_tbEUlT_E_NS1_11comp_targetILNS1_3genE8ELNS1_11target_archE1030ELNS1_3gpuE2ELNS1_3repE0EEENS1_30default_config_static_selectorELNS0_4arch9wavefront6targetE1EEEvT1_
	.globl	_ZN7rocprim17ROCPRIM_400000_NS6detail17trampoline_kernelINS0_14default_configENS1_35adjacent_difference_config_selectorILb1EhEEZNS1_24adjacent_difference_implIS3_Lb1ELb0EPhS7_N6thrust23THRUST_200600_302600_NS4plusIhEEEE10hipError_tPvRmT2_T3_mT4_P12ihipStream_tbEUlT_E_NS1_11comp_targetILNS1_3genE8ELNS1_11target_archE1030ELNS1_3gpuE2ELNS1_3repE0EEENS1_30default_config_static_selectorELNS0_4arch9wavefront6targetE1EEEvT1_
	.p2align	8
	.type	_ZN7rocprim17ROCPRIM_400000_NS6detail17trampoline_kernelINS0_14default_configENS1_35adjacent_difference_config_selectorILb1EhEEZNS1_24adjacent_difference_implIS3_Lb1ELb0EPhS7_N6thrust23THRUST_200600_302600_NS4plusIhEEEE10hipError_tPvRmT2_T3_mT4_P12ihipStream_tbEUlT_E_NS1_11comp_targetILNS1_3genE8ELNS1_11target_archE1030ELNS1_3gpuE2ELNS1_3repE0EEENS1_30default_config_static_selectorELNS0_4arch9wavefront6targetE1EEEvT1_,@function
_ZN7rocprim17ROCPRIM_400000_NS6detail17trampoline_kernelINS0_14default_configENS1_35adjacent_difference_config_selectorILb1EhEEZNS1_24adjacent_difference_implIS3_Lb1ELb0EPhS7_N6thrust23THRUST_200600_302600_NS4plusIhEEEE10hipError_tPvRmT2_T3_mT4_P12ihipStream_tbEUlT_E_NS1_11comp_targetILNS1_3genE8ELNS1_11target_archE1030ELNS1_3gpuE2ELNS1_3repE0EEENS1_30default_config_static_selectorELNS0_4arch9wavefront6targetE1EEEvT1_: ; @_ZN7rocprim17ROCPRIM_400000_NS6detail17trampoline_kernelINS0_14default_configENS1_35adjacent_difference_config_selectorILb1EhEEZNS1_24adjacent_difference_implIS3_Lb1ELb0EPhS7_N6thrust23THRUST_200600_302600_NS4plusIhEEEE10hipError_tPvRmT2_T3_mT4_P12ihipStream_tbEUlT_E_NS1_11comp_targetILNS1_3genE8ELNS1_11target_archE1030ELNS1_3gpuE2ELNS1_3repE0EEENS1_30default_config_static_selectorELNS0_4arch9wavefront6targetE1EEEvT1_
; %bb.0:
	.section	.rodata,"a",@progbits
	.p2align	6, 0x0
	.amdhsa_kernel _ZN7rocprim17ROCPRIM_400000_NS6detail17trampoline_kernelINS0_14default_configENS1_35adjacent_difference_config_selectorILb1EhEEZNS1_24adjacent_difference_implIS3_Lb1ELb0EPhS7_N6thrust23THRUST_200600_302600_NS4plusIhEEEE10hipError_tPvRmT2_T3_mT4_P12ihipStream_tbEUlT_E_NS1_11comp_targetILNS1_3genE8ELNS1_11target_archE1030ELNS1_3gpuE2ELNS1_3repE0EEENS1_30default_config_static_selectorELNS0_4arch9wavefront6targetE1EEEvT1_
		.amdhsa_group_segment_fixed_size 0
		.amdhsa_private_segment_fixed_size 0
		.amdhsa_kernarg_size 56
		.amdhsa_user_sgpr_count 6
		.amdhsa_user_sgpr_private_segment_buffer 1
		.amdhsa_user_sgpr_dispatch_ptr 0
		.amdhsa_user_sgpr_queue_ptr 0
		.amdhsa_user_sgpr_kernarg_segment_ptr 1
		.amdhsa_user_sgpr_dispatch_id 0
		.amdhsa_user_sgpr_flat_scratch_init 0
		.amdhsa_user_sgpr_kernarg_preload_length 0
		.amdhsa_user_sgpr_kernarg_preload_offset 0
		.amdhsa_user_sgpr_private_segment_size 0
		.amdhsa_uses_dynamic_stack 0
		.amdhsa_system_sgpr_private_segment_wavefront_offset 0
		.amdhsa_system_sgpr_workgroup_id_x 1
		.amdhsa_system_sgpr_workgroup_id_y 0
		.amdhsa_system_sgpr_workgroup_id_z 0
		.amdhsa_system_sgpr_workgroup_info 0
		.amdhsa_system_vgpr_workitem_id 0
		.amdhsa_next_free_vgpr 1
		.amdhsa_next_free_sgpr 0
		.amdhsa_accum_offset 4
		.amdhsa_reserve_vcc 0
		.amdhsa_reserve_flat_scratch 0
		.amdhsa_float_round_mode_32 0
		.amdhsa_float_round_mode_16_64 0
		.amdhsa_float_denorm_mode_32 3
		.amdhsa_float_denorm_mode_16_64 3
		.amdhsa_dx10_clamp 1
		.amdhsa_ieee_mode 1
		.amdhsa_fp16_overflow 0
		.amdhsa_tg_split 0
		.amdhsa_exception_fp_ieee_invalid_op 0
		.amdhsa_exception_fp_denorm_src 0
		.amdhsa_exception_fp_ieee_div_zero 0
		.amdhsa_exception_fp_ieee_overflow 0
		.amdhsa_exception_fp_ieee_underflow 0
		.amdhsa_exception_fp_ieee_inexact 0
		.amdhsa_exception_int_div_zero 0
	.end_amdhsa_kernel
	.section	.text._ZN7rocprim17ROCPRIM_400000_NS6detail17trampoline_kernelINS0_14default_configENS1_35adjacent_difference_config_selectorILb1EhEEZNS1_24adjacent_difference_implIS3_Lb1ELb0EPhS7_N6thrust23THRUST_200600_302600_NS4plusIhEEEE10hipError_tPvRmT2_T3_mT4_P12ihipStream_tbEUlT_E_NS1_11comp_targetILNS1_3genE8ELNS1_11target_archE1030ELNS1_3gpuE2ELNS1_3repE0EEENS1_30default_config_static_selectorELNS0_4arch9wavefront6targetE1EEEvT1_,"axG",@progbits,_ZN7rocprim17ROCPRIM_400000_NS6detail17trampoline_kernelINS0_14default_configENS1_35adjacent_difference_config_selectorILb1EhEEZNS1_24adjacent_difference_implIS3_Lb1ELb0EPhS7_N6thrust23THRUST_200600_302600_NS4plusIhEEEE10hipError_tPvRmT2_T3_mT4_P12ihipStream_tbEUlT_E_NS1_11comp_targetILNS1_3genE8ELNS1_11target_archE1030ELNS1_3gpuE2ELNS1_3repE0EEENS1_30default_config_static_selectorELNS0_4arch9wavefront6targetE1EEEvT1_,comdat
.Lfunc_end312:
	.size	_ZN7rocprim17ROCPRIM_400000_NS6detail17trampoline_kernelINS0_14default_configENS1_35adjacent_difference_config_selectorILb1EhEEZNS1_24adjacent_difference_implIS3_Lb1ELb0EPhS7_N6thrust23THRUST_200600_302600_NS4plusIhEEEE10hipError_tPvRmT2_T3_mT4_P12ihipStream_tbEUlT_E_NS1_11comp_targetILNS1_3genE8ELNS1_11target_archE1030ELNS1_3gpuE2ELNS1_3repE0EEENS1_30default_config_static_selectorELNS0_4arch9wavefront6targetE1EEEvT1_, .Lfunc_end312-_ZN7rocprim17ROCPRIM_400000_NS6detail17trampoline_kernelINS0_14default_configENS1_35adjacent_difference_config_selectorILb1EhEEZNS1_24adjacent_difference_implIS3_Lb1ELb0EPhS7_N6thrust23THRUST_200600_302600_NS4plusIhEEEE10hipError_tPvRmT2_T3_mT4_P12ihipStream_tbEUlT_E_NS1_11comp_targetILNS1_3genE8ELNS1_11target_archE1030ELNS1_3gpuE2ELNS1_3repE0EEENS1_30default_config_static_selectorELNS0_4arch9wavefront6targetE1EEEvT1_
                                        ; -- End function
	.section	.AMDGPU.csdata,"",@progbits
; Kernel info:
; codeLenInByte = 0
; NumSgprs: 4
; NumVgprs: 0
; NumAgprs: 0
; TotalNumVgprs: 0
; ScratchSize: 0
; MemoryBound: 0
; FloatMode: 240
; IeeeMode: 1
; LDSByteSize: 0 bytes/workgroup (compile time only)
; SGPRBlocks: 0
; VGPRBlocks: 0
; NumSGPRsForWavesPerEU: 4
; NumVGPRsForWavesPerEU: 1
; AccumOffset: 4
; Occupancy: 8
; WaveLimiterHint : 0
; COMPUTE_PGM_RSRC2:SCRATCH_EN: 0
; COMPUTE_PGM_RSRC2:USER_SGPR: 6
; COMPUTE_PGM_RSRC2:TRAP_HANDLER: 0
; COMPUTE_PGM_RSRC2:TGID_X_EN: 1
; COMPUTE_PGM_RSRC2:TGID_Y_EN: 0
; COMPUTE_PGM_RSRC2:TGID_Z_EN: 0
; COMPUTE_PGM_RSRC2:TIDIG_COMP_CNT: 0
; COMPUTE_PGM_RSRC3_GFX90A:ACCUM_OFFSET: 0
; COMPUTE_PGM_RSRC3_GFX90A:TG_SPLIT: 0
	.section	.text._ZN6thrust23THRUST_200600_302600_NS11hip_rocprim14__parallel_for6kernelILj256ENS1_20__uninitialized_fill7functorINS0_10device_ptrItEEtEEmLj1EEEvT0_T1_SA_,"axG",@progbits,_ZN6thrust23THRUST_200600_302600_NS11hip_rocprim14__parallel_for6kernelILj256ENS1_20__uninitialized_fill7functorINS0_10device_ptrItEEtEEmLj1EEEvT0_T1_SA_,comdat
	.protected	_ZN6thrust23THRUST_200600_302600_NS11hip_rocprim14__parallel_for6kernelILj256ENS1_20__uninitialized_fill7functorINS0_10device_ptrItEEtEEmLj1EEEvT0_T1_SA_ ; -- Begin function _ZN6thrust23THRUST_200600_302600_NS11hip_rocprim14__parallel_for6kernelILj256ENS1_20__uninitialized_fill7functorINS0_10device_ptrItEEtEEmLj1EEEvT0_T1_SA_
	.globl	_ZN6thrust23THRUST_200600_302600_NS11hip_rocprim14__parallel_for6kernelILj256ENS1_20__uninitialized_fill7functorINS0_10device_ptrItEEtEEmLj1EEEvT0_T1_SA_
	.p2align	8
	.type	_ZN6thrust23THRUST_200600_302600_NS11hip_rocprim14__parallel_for6kernelILj256ENS1_20__uninitialized_fill7functorINS0_10device_ptrItEEtEEmLj1EEEvT0_T1_SA_,@function
_ZN6thrust23THRUST_200600_302600_NS11hip_rocprim14__parallel_for6kernelILj256ENS1_20__uninitialized_fill7functorINS0_10device_ptrItEEtEEmLj1EEEvT0_T1_SA_: ; @_ZN6thrust23THRUST_200600_302600_NS11hip_rocprim14__parallel_for6kernelILj256ENS1_20__uninitialized_fill7functorINS0_10device_ptrItEEtEEmLj1EEEvT0_T1_SA_
; %bb.0:
	s_load_dwordx4 s[8:11], s[4:5], 0x10
	s_lshl_b32 s0, s6, 8
	v_mov_b32_e32 v2, 0x100
	v_mov_b32_e32 v3, 0
	s_waitcnt lgkmcnt(0)
	s_add_u32 s0, s0, s10
	s_addc_u32 s1, 0, s11
	s_sub_u32 s2, s8, s0
	s_subb_u32 s3, s9, s1
	v_cmp_lt_u64_e32 vcc, s[2:3], v[2:3]
	s_cbranch_vccz .LBB313_2
; %bb.1:
	v_cmp_gt_u32_e32 vcc, s2, v0
	s_and_b64 s[2:3], vcc, exec
	s_cbranch_execz .LBB313_3
	s_branch .LBB313_4
.LBB313_2:
	s_mov_b64 s[2:3], 0
.LBB313_3:
	s_or_b64 s[2:3], s[2:3], exec
.LBB313_4:
	s_and_saveexec_b64 s[6:7], s[2:3]
	s_cbranch_execnz .LBB313_6
; %bb.5:
	s_endpgm
.LBB313_6:
	s_load_dwordx2 s[2:3], s[4:5], 0x0
	s_load_dword s6, s[4:5], 0x8
	s_lshl_b64 s[0:1], s[0:1], 1
	v_mov_b32_e32 v1, 0
	v_lshlrev_b64 v[0:1], 1, v[0:1]
	s_waitcnt lgkmcnt(0)
	s_add_u32 s0, s2, s0
	s_addc_u32 s1, s3, s1
	v_mov_b32_e32 v2, s1
	v_add_co_u32_e32 v0, vcc, s0, v0
	v_addc_co_u32_e32 v1, vcc, v2, v1, vcc
	v_mov_b32_e32 v2, s6
	flat_store_short v[0:1], v2
	s_endpgm
	.section	.rodata,"a",@progbits
	.p2align	6, 0x0
	.amdhsa_kernel _ZN6thrust23THRUST_200600_302600_NS11hip_rocprim14__parallel_for6kernelILj256ENS1_20__uninitialized_fill7functorINS0_10device_ptrItEEtEEmLj1EEEvT0_T1_SA_
		.amdhsa_group_segment_fixed_size 0
		.amdhsa_private_segment_fixed_size 0
		.amdhsa_kernarg_size 32
		.amdhsa_user_sgpr_count 6
		.amdhsa_user_sgpr_private_segment_buffer 1
		.amdhsa_user_sgpr_dispatch_ptr 0
		.amdhsa_user_sgpr_queue_ptr 0
		.amdhsa_user_sgpr_kernarg_segment_ptr 1
		.amdhsa_user_sgpr_dispatch_id 0
		.amdhsa_user_sgpr_flat_scratch_init 0
		.amdhsa_user_sgpr_kernarg_preload_length 0
		.amdhsa_user_sgpr_kernarg_preload_offset 0
		.amdhsa_user_sgpr_private_segment_size 0
		.amdhsa_uses_dynamic_stack 0
		.amdhsa_system_sgpr_private_segment_wavefront_offset 0
		.amdhsa_system_sgpr_workgroup_id_x 1
		.amdhsa_system_sgpr_workgroup_id_y 0
		.amdhsa_system_sgpr_workgroup_id_z 0
		.amdhsa_system_sgpr_workgroup_info 0
		.amdhsa_system_vgpr_workitem_id 0
		.amdhsa_next_free_vgpr 4
		.amdhsa_next_free_sgpr 12
		.amdhsa_accum_offset 4
		.amdhsa_reserve_vcc 1
		.amdhsa_reserve_flat_scratch 0
		.amdhsa_float_round_mode_32 0
		.amdhsa_float_round_mode_16_64 0
		.amdhsa_float_denorm_mode_32 3
		.amdhsa_float_denorm_mode_16_64 3
		.amdhsa_dx10_clamp 1
		.amdhsa_ieee_mode 1
		.amdhsa_fp16_overflow 0
		.amdhsa_tg_split 0
		.amdhsa_exception_fp_ieee_invalid_op 0
		.amdhsa_exception_fp_denorm_src 0
		.amdhsa_exception_fp_ieee_div_zero 0
		.amdhsa_exception_fp_ieee_overflow 0
		.amdhsa_exception_fp_ieee_underflow 0
		.amdhsa_exception_fp_ieee_inexact 0
		.amdhsa_exception_int_div_zero 0
	.end_amdhsa_kernel
	.section	.text._ZN6thrust23THRUST_200600_302600_NS11hip_rocprim14__parallel_for6kernelILj256ENS1_20__uninitialized_fill7functorINS0_10device_ptrItEEtEEmLj1EEEvT0_T1_SA_,"axG",@progbits,_ZN6thrust23THRUST_200600_302600_NS11hip_rocprim14__parallel_for6kernelILj256ENS1_20__uninitialized_fill7functorINS0_10device_ptrItEEtEEmLj1EEEvT0_T1_SA_,comdat
.Lfunc_end313:
	.size	_ZN6thrust23THRUST_200600_302600_NS11hip_rocprim14__parallel_for6kernelILj256ENS1_20__uninitialized_fill7functorINS0_10device_ptrItEEtEEmLj1EEEvT0_T1_SA_, .Lfunc_end313-_ZN6thrust23THRUST_200600_302600_NS11hip_rocprim14__parallel_for6kernelILj256ENS1_20__uninitialized_fill7functorINS0_10device_ptrItEEtEEmLj1EEEvT0_T1_SA_
                                        ; -- End function
	.section	.AMDGPU.csdata,"",@progbits
; Kernel info:
; codeLenInByte = 160
; NumSgprs: 16
; NumVgprs: 4
; NumAgprs: 0
; TotalNumVgprs: 4
; ScratchSize: 0
; MemoryBound: 0
; FloatMode: 240
; IeeeMode: 1
; LDSByteSize: 0 bytes/workgroup (compile time only)
; SGPRBlocks: 1
; VGPRBlocks: 0
; NumSGPRsForWavesPerEU: 16
; NumVGPRsForWavesPerEU: 4
; AccumOffset: 4
; Occupancy: 8
; WaveLimiterHint : 0
; COMPUTE_PGM_RSRC2:SCRATCH_EN: 0
; COMPUTE_PGM_RSRC2:USER_SGPR: 6
; COMPUTE_PGM_RSRC2:TRAP_HANDLER: 0
; COMPUTE_PGM_RSRC2:TGID_X_EN: 1
; COMPUTE_PGM_RSRC2:TGID_Y_EN: 0
; COMPUTE_PGM_RSRC2:TGID_Z_EN: 0
; COMPUTE_PGM_RSRC2:TIDIG_COMP_CNT: 0
; COMPUTE_PGM_RSRC3_GFX90A:ACCUM_OFFSET: 0
; COMPUTE_PGM_RSRC3_GFX90A:TG_SPLIT: 0
	.section	.text._ZN7rocprim17ROCPRIM_400000_NS6detail17trampoline_kernelINS0_14default_configENS1_35adjacent_difference_config_selectorILb0EtEEZNS1_24adjacent_difference_implIS3_Lb0ELb0EPtS7_N6thrust23THRUST_200600_302600_NS5minusItEEEE10hipError_tPvRmT2_T3_mT4_P12ihipStream_tbEUlT_E_NS1_11comp_targetILNS1_3genE0ELNS1_11target_archE4294967295ELNS1_3gpuE0ELNS1_3repE0EEENS1_30default_config_static_selectorELNS0_4arch9wavefront6targetE1EEEvT1_,"axG",@progbits,_ZN7rocprim17ROCPRIM_400000_NS6detail17trampoline_kernelINS0_14default_configENS1_35adjacent_difference_config_selectorILb0EtEEZNS1_24adjacent_difference_implIS3_Lb0ELb0EPtS7_N6thrust23THRUST_200600_302600_NS5minusItEEEE10hipError_tPvRmT2_T3_mT4_P12ihipStream_tbEUlT_E_NS1_11comp_targetILNS1_3genE0ELNS1_11target_archE4294967295ELNS1_3gpuE0ELNS1_3repE0EEENS1_30default_config_static_selectorELNS0_4arch9wavefront6targetE1EEEvT1_,comdat
	.protected	_ZN7rocprim17ROCPRIM_400000_NS6detail17trampoline_kernelINS0_14default_configENS1_35adjacent_difference_config_selectorILb0EtEEZNS1_24adjacent_difference_implIS3_Lb0ELb0EPtS7_N6thrust23THRUST_200600_302600_NS5minusItEEEE10hipError_tPvRmT2_T3_mT4_P12ihipStream_tbEUlT_E_NS1_11comp_targetILNS1_3genE0ELNS1_11target_archE4294967295ELNS1_3gpuE0ELNS1_3repE0EEENS1_30default_config_static_selectorELNS0_4arch9wavefront6targetE1EEEvT1_ ; -- Begin function _ZN7rocprim17ROCPRIM_400000_NS6detail17trampoline_kernelINS0_14default_configENS1_35adjacent_difference_config_selectorILb0EtEEZNS1_24adjacent_difference_implIS3_Lb0ELb0EPtS7_N6thrust23THRUST_200600_302600_NS5minusItEEEE10hipError_tPvRmT2_T3_mT4_P12ihipStream_tbEUlT_E_NS1_11comp_targetILNS1_3genE0ELNS1_11target_archE4294967295ELNS1_3gpuE0ELNS1_3repE0EEENS1_30default_config_static_selectorELNS0_4arch9wavefront6targetE1EEEvT1_
	.globl	_ZN7rocprim17ROCPRIM_400000_NS6detail17trampoline_kernelINS0_14default_configENS1_35adjacent_difference_config_selectorILb0EtEEZNS1_24adjacent_difference_implIS3_Lb0ELb0EPtS7_N6thrust23THRUST_200600_302600_NS5minusItEEEE10hipError_tPvRmT2_T3_mT4_P12ihipStream_tbEUlT_E_NS1_11comp_targetILNS1_3genE0ELNS1_11target_archE4294967295ELNS1_3gpuE0ELNS1_3repE0EEENS1_30default_config_static_selectorELNS0_4arch9wavefront6targetE1EEEvT1_
	.p2align	8
	.type	_ZN7rocprim17ROCPRIM_400000_NS6detail17trampoline_kernelINS0_14default_configENS1_35adjacent_difference_config_selectorILb0EtEEZNS1_24adjacent_difference_implIS3_Lb0ELb0EPtS7_N6thrust23THRUST_200600_302600_NS5minusItEEEE10hipError_tPvRmT2_T3_mT4_P12ihipStream_tbEUlT_E_NS1_11comp_targetILNS1_3genE0ELNS1_11target_archE4294967295ELNS1_3gpuE0ELNS1_3repE0EEENS1_30default_config_static_selectorELNS0_4arch9wavefront6targetE1EEEvT1_,@function
_ZN7rocprim17ROCPRIM_400000_NS6detail17trampoline_kernelINS0_14default_configENS1_35adjacent_difference_config_selectorILb0EtEEZNS1_24adjacent_difference_implIS3_Lb0ELb0EPtS7_N6thrust23THRUST_200600_302600_NS5minusItEEEE10hipError_tPvRmT2_T3_mT4_P12ihipStream_tbEUlT_E_NS1_11comp_targetILNS1_3genE0ELNS1_11target_archE4294967295ELNS1_3gpuE0ELNS1_3repE0EEENS1_30default_config_static_selectorELNS0_4arch9wavefront6targetE1EEEvT1_: ; @_ZN7rocprim17ROCPRIM_400000_NS6detail17trampoline_kernelINS0_14default_configENS1_35adjacent_difference_config_selectorILb0EtEEZNS1_24adjacent_difference_implIS3_Lb0ELb0EPtS7_N6thrust23THRUST_200600_302600_NS5minusItEEEE10hipError_tPvRmT2_T3_mT4_P12ihipStream_tbEUlT_E_NS1_11comp_targetILNS1_3genE0ELNS1_11target_archE4294967295ELNS1_3gpuE0ELNS1_3repE0EEENS1_30default_config_static_selectorELNS0_4arch9wavefront6targetE1EEEvT1_
; %bb.0:
	.section	.rodata,"a",@progbits
	.p2align	6, 0x0
	.amdhsa_kernel _ZN7rocprim17ROCPRIM_400000_NS6detail17trampoline_kernelINS0_14default_configENS1_35adjacent_difference_config_selectorILb0EtEEZNS1_24adjacent_difference_implIS3_Lb0ELb0EPtS7_N6thrust23THRUST_200600_302600_NS5minusItEEEE10hipError_tPvRmT2_T3_mT4_P12ihipStream_tbEUlT_E_NS1_11comp_targetILNS1_3genE0ELNS1_11target_archE4294967295ELNS1_3gpuE0ELNS1_3repE0EEENS1_30default_config_static_selectorELNS0_4arch9wavefront6targetE1EEEvT1_
		.amdhsa_group_segment_fixed_size 0
		.amdhsa_private_segment_fixed_size 0
		.amdhsa_kernarg_size 56
		.amdhsa_user_sgpr_count 6
		.amdhsa_user_sgpr_private_segment_buffer 1
		.amdhsa_user_sgpr_dispatch_ptr 0
		.amdhsa_user_sgpr_queue_ptr 0
		.amdhsa_user_sgpr_kernarg_segment_ptr 1
		.amdhsa_user_sgpr_dispatch_id 0
		.amdhsa_user_sgpr_flat_scratch_init 0
		.amdhsa_user_sgpr_kernarg_preload_length 0
		.amdhsa_user_sgpr_kernarg_preload_offset 0
		.amdhsa_user_sgpr_private_segment_size 0
		.amdhsa_uses_dynamic_stack 0
		.amdhsa_system_sgpr_private_segment_wavefront_offset 0
		.amdhsa_system_sgpr_workgroup_id_x 1
		.amdhsa_system_sgpr_workgroup_id_y 0
		.amdhsa_system_sgpr_workgroup_id_z 0
		.amdhsa_system_sgpr_workgroup_info 0
		.amdhsa_system_vgpr_workitem_id 0
		.amdhsa_next_free_vgpr 1
		.amdhsa_next_free_sgpr 0
		.amdhsa_accum_offset 4
		.amdhsa_reserve_vcc 0
		.amdhsa_reserve_flat_scratch 0
		.amdhsa_float_round_mode_32 0
		.amdhsa_float_round_mode_16_64 0
		.amdhsa_float_denorm_mode_32 3
		.amdhsa_float_denorm_mode_16_64 3
		.amdhsa_dx10_clamp 1
		.amdhsa_ieee_mode 1
		.amdhsa_fp16_overflow 0
		.amdhsa_tg_split 0
		.amdhsa_exception_fp_ieee_invalid_op 0
		.amdhsa_exception_fp_denorm_src 0
		.amdhsa_exception_fp_ieee_div_zero 0
		.amdhsa_exception_fp_ieee_overflow 0
		.amdhsa_exception_fp_ieee_underflow 0
		.amdhsa_exception_fp_ieee_inexact 0
		.amdhsa_exception_int_div_zero 0
	.end_amdhsa_kernel
	.section	.text._ZN7rocprim17ROCPRIM_400000_NS6detail17trampoline_kernelINS0_14default_configENS1_35adjacent_difference_config_selectorILb0EtEEZNS1_24adjacent_difference_implIS3_Lb0ELb0EPtS7_N6thrust23THRUST_200600_302600_NS5minusItEEEE10hipError_tPvRmT2_T3_mT4_P12ihipStream_tbEUlT_E_NS1_11comp_targetILNS1_3genE0ELNS1_11target_archE4294967295ELNS1_3gpuE0ELNS1_3repE0EEENS1_30default_config_static_selectorELNS0_4arch9wavefront6targetE1EEEvT1_,"axG",@progbits,_ZN7rocprim17ROCPRIM_400000_NS6detail17trampoline_kernelINS0_14default_configENS1_35adjacent_difference_config_selectorILb0EtEEZNS1_24adjacent_difference_implIS3_Lb0ELb0EPtS7_N6thrust23THRUST_200600_302600_NS5minusItEEEE10hipError_tPvRmT2_T3_mT4_P12ihipStream_tbEUlT_E_NS1_11comp_targetILNS1_3genE0ELNS1_11target_archE4294967295ELNS1_3gpuE0ELNS1_3repE0EEENS1_30default_config_static_selectorELNS0_4arch9wavefront6targetE1EEEvT1_,comdat
.Lfunc_end314:
	.size	_ZN7rocprim17ROCPRIM_400000_NS6detail17trampoline_kernelINS0_14default_configENS1_35adjacent_difference_config_selectorILb0EtEEZNS1_24adjacent_difference_implIS3_Lb0ELb0EPtS7_N6thrust23THRUST_200600_302600_NS5minusItEEEE10hipError_tPvRmT2_T3_mT4_P12ihipStream_tbEUlT_E_NS1_11comp_targetILNS1_3genE0ELNS1_11target_archE4294967295ELNS1_3gpuE0ELNS1_3repE0EEENS1_30default_config_static_selectorELNS0_4arch9wavefront6targetE1EEEvT1_, .Lfunc_end314-_ZN7rocprim17ROCPRIM_400000_NS6detail17trampoline_kernelINS0_14default_configENS1_35adjacent_difference_config_selectorILb0EtEEZNS1_24adjacent_difference_implIS3_Lb0ELb0EPtS7_N6thrust23THRUST_200600_302600_NS5minusItEEEE10hipError_tPvRmT2_T3_mT4_P12ihipStream_tbEUlT_E_NS1_11comp_targetILNS1_3genE0ELNS1_11target_archE4294967295ELNS1_3gpuE0ELNS1_3repE0EEENS1_30default_config_static_selectorELNS0_4arch9wavefront6targetE1EEEvT1_
                                        ; -- End function
	.section	.AMDGPU.csdata,"",@progbits
; Kernel info:
; codeLenInByte = 0
; NumSgprs: 4
; NumVgprs: 0
; NumAgprs: 0
; TotalNumVgprs: 0
; ScratchSize: 0
; MemoryBound: 0
; FloatMode: 240
; IeeeMode: 1
; LDSByteSize: 0 bytes/workgroup (compile time only)
; SGPRBlocks: 0
; VGPRBlocks: 0
; NumSGPRsForWavesPerEU: 4
; NumVGPRsForWavesPerEU: 1
; AccumOffset: 4
; Occupancy: 8
; WaveLimiterHint : 0
; COMPUTE_PGM_RSRC2:SCRATCH_EN: 0
; COMPUTE_PGM_RSRC2:USER_SGPR: 6
; COMPUTE_PGM_RSRC2:TRAP_HANDLER: 0
; COMPUTE_PGM_RSRC2:TGID_X_EN: 1
; COMPUTE_PGM_RSRC2:TGID_Y_EN: 0
; COMPUTE_PGM_RSRC2:TGID_Z_EN: 0
; COMPUTE_PGM_RSRC2:TIDIG_COMP_CNT: 0
; COMPUTE_PGM_RSRC3_GFX90A:ACCUM_OFFSET: 0
; COMPUTE_PGM_RSRC3_GFX90A:TG_SPLIT: 0
	.section	.text._ZN7rocprim17ROCPRIM_400000_NS6detail17trampoline_kernelINS0_14default_configENS1_35adjacent_difference_config_selectorILb0EtEEZNS1_24adjacent_difference_implIS3_Lb0ELb0EPtS7_N6thrust23THRUST_200600_302600_NS5minusItEEEE10hipError_tPvRmT2_T3_mT4_P12ihipStream_tbEUlT_E_NS1_11comp_targetILNS1_3genE10ELNS1_11target_archE1201ELNS1_3gpuE5ELNS1_3repE0EEENS1_30default_config_static_selectorELNS0_4arch9wavefront6targetE1EEEvT1_,"axG",@progbits,_ZN7rocprim17ROCPRIM_400000_NS6detail17trampoline_kernelINS0_14default_configENS1_35adjacent_difference_config_selectorILb0EtEEZNS1_24adjacent_difference_implIS3_Lb0ELb0EPtS7_N6thrust23THRUST_200600_302600_NS5minusItEEEE10hipError_tPvRmT2_T3_mT4_P12ihipStream_tbEUlT_E_NS1_11comp_targetILNS1_3genE10ELNS1_11target_archE1201ELNS1_3gpuE5ELNS1_3repE0EEENS1_30default_config_static_selectorELNS0_4arch9wavefront6targetE1EEEvT1_,comdat
	.protected	_ZN7rocprim17ROCPRIM_400000_NS6detail17trampoline_kernelINS0_14default_configENS1_35adjacent_difference_config_selectorILb0EtEEZNS1_24adjacent_difference_implIS3_Lb0ELb0EPtS7_N6thrust23THRUST_200600_302600_NS5minusItEEEE10hipError_tPvRmT2_T3_mT4_P12ihipStream_tbEUlT_E_NS1_11comp_targetILNS1_3genE10ELNS1_11target_archE1201ELNS1_3gpuE5ELNS1_3repE0EEENS1_30default_config_static_selectorELNS0_4arch9wavefront6targetE1EEEvT1_ ; -- Begin function _ZN7rocprim17ROCPRIM_400000_NS6detail17trampoline_kernelINS0_14default_configENS1_35adjacent_difference_config_selectorILb0EtEEZNS1_24adjacent_difference_implIS3_Lb0ELb0EPtS7_N6thrust23THRUST_200600_302600_NS5minusItEEEE10hipError_tPvRmT2_T3_mT4_P12ihipStream_tbEUlT_E_NS1_11comp_targetILNS1_3genE10ELNS1_11target_archE1201ELNS1_3gpuE5ELNS1_3repE0EEENS1_30default_config_static_selectorELNS0_4arch9wavefront6targetE1EEEvT1_
	.globl	_ZN7rocprim17ROCPRIM_400000_NS6detail17trampoline_kernelINS0_14default_configENS1_35adjacent_difference_config_selectorILb0EtEEZNS1_24adjacent_difference_implIS3_Lb0ELb0EPtS7_N6thrust23THRUST_200600_302600_NS5minusItEEEE10hipError_tPvRmT2_T3_mT4_P12ihipStream_tbEUlT_E_NS1_11comp_targetILNS1_3genE10ELNS1_11target_archE1201ELNS1_3gpuE5ELNS1_3repE0EEENS1_30default_config_static_selectorELNS0_4arch9wavefront6targetE1EEEvT1_
	.p2align	8
	.type	_ZN7rocprim17ROCPRIM_400000_NS6detail17trampoline_kernelINS0_14default_configENS1_35adjacent_difference_config_selectorILb0EtEEZNS1_24adjacent_difference_implIS3_Lb0ELb0EPtS7_N6thrust23THRUST_200600_302600_NS5minusItEEEE10hipError_tPvRmT2_T3_mT4_P12ihipStream_tbEUlT_E_NS1_11comp_targetILNS1_3genE10ELNS1_11target_archE1201ELNS1_3gpuE5ELNS1_3repE0EEENS1_30default_config_static_selectorELNS0_4arch9wavefront6targetE1EEEvT1_,@function
_ZN7rocprim17ROCPRIM_400000_NS6detail17trampoline_kernelINS0_14default_configENS1_35adjacent_difference_config_selectorILb0EtEEZNS1_24adjacent_difference_implIS3_Lb0ELb0EPtS7_N6thrust23THRUST_200600_302600_NS5minusItEEEE10hipError_tPvRmT2_T3_mT4_P12ihipStream_tbEUlT_E_NS1_11comp_targetILNS1_3genE10ELNS1_11target_archE1201ELNS1_3gpuE5ELNS1_3repE0EEENS1_30default_config_static_selectorELNS0_4arch9wavefront6targetE1EEEvT1_: ; @_ZN7rocprim17ROCPRIM_400000_NS6detail17trampoline_kernelINS0_14default_configENS1_35adjacent_difference_config_selectorILb0EtEEZNS1_24adjacent_difference_implIS3_Lb0ELb0EPtS7_N6thrust23THRUST_200600_302600_NS5minusItEEEE10hipError_tPvRmT2_T3_mT4_P12ihipStream_tbEUlT_E_NS1_11comp_targetILNS1_3genE10ELNS1_11target_archE1201ELNS1_3gpuE5ELNS1_3repE0EEENS1_30default_config_static_selectorELNS0_4arch9wavefront6targetE1EEEvT1_
; %bb.0:
	.section	.rodata,"a",@progbits
	.p2align	6, 0x0
	.amdhsa_kernel _ZN7rocprim17ROCPRIM_400000_NS6detail17trampoline_kernelINS0_14default_configENS1_35adjacent_difference_config_selectorILb0EtEEZNS1_24adjacent_difference_implIS3_Lb0ELb0EPtS7_N6thrust23THRUST_200600_302600_NS5minusItEEEE10hipError_tPvRmT2_T3_mT4_P12ihipStream_tbEUlT_E_NS1_11comp_targetILNS1_3genE10ELNS1_11target_archE1201ELNS1_3gpuE5ELNS1_3repE0EEENS1_30default_config_static_selectorELNS0_4arch9wavefront6targetE1EEEvT1_
		.amdhsa_group_segment_fixed_size 0
		.amdhsa_private_segment_fixed_size 0
		.amdhsa_kernarg_size 56
		.amdhsa_user_sgpr_count 6
		.amdhsa_user_sgpr_private_segment_buffer 1
		.amdhsa_user_sgpr_dispatch_ptr 0
		.amdhsa_user_sgpr_queue_ptr 0
		.amdhsa_user_sgpr_kernarg_segment_ptr 1
		.amdhsa_user_sgpr_dispatch_id 0
		.amdhsa_user_sgpr_flat_scratch_init 0
		.amdhsa_user_sgpr_kernarg_preload_length 0
		.amdhsa_user_sgpr_kernarg_preload_offset 0
		.amdhsa_user_sgpr_private_segment_size 0
		.amdhsa_uses_dynamic_stack 0
		.amdhsa_system_sgpr_private_segment_wavefront_offset 0
		.amdhsa_system_sgpr_workgroup_id_x 1
		.amdhsa_system_sgpr_workgroup_id_y 0
		.amdhsa_system_sgpr_workgroup_id_z 0
		.amdhsa_system_sgpr_workgroup_info 0
		.amdhsa_system_vgpr_workitem_id 0
		.amdhsa_next_free_vgpr 1
		.amdhsa_next_free_sgpr 0
		.amdhsa_accum_offset 4
		.amdhsa_reserve_vcc 0
		.amdhsa_reserve_flat_scratch 0
		.amdhsa_float_round_mode_32 0
		.amdhsa_float_round_mode_16_64 0
		.amdhsa_float_denorm_mode_32 3
		.amdhsa_float_denorm_mode_16_64 3
		.amdhsa_dx10_clamp 1
		.amdhsa_ieee_mode 1
		.amdhsa_fp16_overflow 0
		.amdhsa_tg_split 0
		.amdhsa_exception_fp_ieee_invalid_op 0
		.amdhsa_exception_fp_denorm_src 0
		.amdhsa_exception_fp_ieee_div_zero 0
		.amdhsa_exception_fp_ieee_overflow 0
		.amdhsa_exception_fp_ieee_underflow 0
		.amdhsa_exception_fp_ieee_inexact 0
		.amdhsa_exception_int_div_zero 0
	.end_amdhsa_kernel
	.section	.text._ZN7rocprim17ROCPRIM_400000_NS6detail17trampoline_kernelINS0_14default_configENS1_35adjacent_difference_config_selectorILb0EtEEZNS1_24adjacent_difference_implIS3_Lb0ELb0EPtS7_N6thrust23THRUST_200600_302600_NS5minusItEEEE10hipError_tPvRmT2_T3_mT4_P12ihipStream_tbEUlT_E_NS1_11comp_targetILNS1_3genE10ELNS1_11target_archE1201ELNS1_3gpuE5ELNS1_3repE0EEENS1_30default_config_static_selectorELNS0_4arch9wavefront6targetE1EEEvT1_,"axG",@progbits,_ZN7rocprim17ROCPRIM_400000_NS6detail17trampoline_kernelINS0_14default_configENS1_35adjacent_difference_config_selectorILb0EtEEZNS1_24adjacent_difference_implIS3_Lb0ELb0EPtS7_N6thrust23THRUST_200600_302600_NS5minusItEEEE10hipError_tPvRmT2_T3_mT4_P12ihipStream_tbEUlT_E_NS1_11comp_targetILNS1_3genE10ELNS1_11target_archE1201ELNS1_3gpuE5ELNS1_3repE0EEENS1_30default_config_static_selectorELNS0_4arch9wavefront6targetE1EEEvT1_,comdat
.Lfunc_end315:
	.size	_ZN7rocprim17ROCPRIM_400000_NS6detail17trampoline_kernelINS0_14default_configENS1_35adjacent_difference_config_selectorILb0EtEEZNS1_24adjacent_difference_implIS3_Lb0ELb0EPtS7_N6thrust23THRUST_200600_302600_NS5minusItEEEE10hipError_tPvRmT2_T3_mT4_P12ihipStream_tbEUlT_E_NS1_11comp_targetILNS1_3genE10ELNS1_11target_archE1201ELNS1_3gpuE5ELNS1_3repE0EEENS1_30default_config_static_selectorELNS0_4arch9wavefront6targetE1EEEvT1_, .Lfunc_end315-_ZN7rocprim17ROCPRIM_400000_NS6detail17trampoline_kernelINS0_14default_configENS1_35adjacent_difference_config_selectorILb0EtEEZNS1_24adjacent_difference_implIS3_Lb0ELb0EPtS7_N6thrust23THRUST_200600_302600_NS5minusItEEEE10hipError_tPvRmT2_T3_mT4_P12ihipStream_tbEUlT_E_NS1_11comp_targetILNS1_3genE10ELNS1_11target_archE1201ELNS1_3gpuE5ELNS1_3repE0EEENS1_30default_config_static_selectorELNS0_4arch9wavefront6targetE1EEEvT1_
                                        ; -- End function
	.section	.AMDGPU.csdata,"",@progbits
; Kernel info:
; codeLenInByte = 0
; NumSgprs: 4
; NumVgprs: 0
; NumAgprs: 0
; TotalNumVgprs: 0
; ScratchSize: 0
; MemoryBound: 0
; FloatMode: 240
; IeeeMode: 1
; LDSByteSize: 0 bytes/workgroup (compile time only)
; SGPRBlocks: 0
; VGPRBlocks: 0
; NumSGPRsForWavesPerEU: 4
; NumVGPRsForWavesPerEU: 1
; AccumOffset: 4
; Occupancy: 8
; WaveLimiterHint : 0
; COMPUTE_PGM_RSRC2:SCRATCH_EN: 0
; COMPUTE_PGM_RSRC2:USER_SGPR: 6
; COMPUTE_PGM_RSRC2:TRAP_HANDLER: 0
; COMPUTE_PGM_RSRC2:TGID_X_EN: 1
; COMPUTE_PGM_RSRC2:TGID_Y_EN: 0
; COMPUTE_PGM_RSRC2:TGID_Z_EN: 0
; COMPUTE_PGM_RSRC2:TIDIG_COMP_CNT: 0
; COMPUTE_PGM_RSRC3_GFX90A:ACCUM_OFFSET: 0
; COMPUTE_PGM_RSRC3_GFX90A:TG_SPLIT: 0
	.section	.text._ZN7rocprim17ROCPRIM_400000_NS6detail17trampoline_kernelINS0_14default_configENS1_35adjacent_difference_config_selectorILb0EtEEZNS1_24adjacent_difference_implIS3_Lb0ELb0EPtS7_N6thrust23THRUST_200600_302600_NS5minusItEEEE10hipError_tPvRmT2_T3_mT4_P12ihipStream_tbEUlT_E_NS1_11comp_targetILNS1_3genE5ELNS1_11target_archE942ELNS1_3gpuE9ELNS1_3repE0EEENS1_30default_config_static_selectorELNS0_4arch9wavefront6targetE1EEEvT1_,"axG",@progbits,_ZN7rocprim17ROCPRIM_400000_NS6detail17trampoline_kernelINS0_14default_configENS1_35adjacent_difference_config_selectorILb0EtEEZNS1_24adjacent_difference_implIS3_Lb0ELb0EPtS7_N6thrust23THRUST_200600_302600_NS5minusItEEEE10hipError_tPvRmT2_T3_mT4_P12ihipStream_tbEUlT_E_NS1_11comp_targetILNS1_3genE5ELNS1_11target_archE942ELNS1_3gpuE9ELNS1_3repE0EEENS1_30default_config_static_selectorELNS0_4arch9wavefront6targetE1EEEvT1_,comdat
	.protected	_ZN7rocprim17ROCPRIM_400000_NS6detail17trampoline_kernelINS0_14default_configENS1_35adjacent_difference_config_selectorILb0EtEEZNS1_24adjacent_difference_implIS3_Lb0ELb0EPtS7_N6thrust23THRUST_200600_302600_NS5minusItEEEE10hipError_tPvRmT2_T3_mT4_P12ihipStream_tbEUlT_E_NS1_11comp_targetILNS1_3genE5ELNS1_11target_archE942ELNS1_3gpuE9ELNS1_3repE0EEENS1_30default_config_static_selectorELNS0_4arch9wavefront6targetE1EEEvT1_ ; -- Begin function _ZN7rocprim17ROCPRIM_400000_NS6detail17trampoline_kernelINS0_14default_configENS1_35adjacent_difference_config_selectorILb0EtEEZNS1_24adjacent_difference_implIS3_Lb0ELb0EPtS7_N6thrust23THRUST_200600_302600_NS5minusItEEEE10hipError_tPvRmT2_T3_mT4_P12ihipStream_tbEUlT_E_NS1_11comp_targetILNS1_3genE5ELNS1_11target_archE942ELNS1_3gpuE9ELNS1_3repE0EEENS1_30default_config_static_selectorELNS0_4arch9wavefront6targetE1EEEvT1_
	.globl	_ZN7rocprim17ROCPRIM_400000_NS6detail17trampoline_kernelINS0_14default_configENS1_35adjacent_difference_config_selectorILb0EtEEZNS1_24adjacent_difference_implIS3_Lb0ELb0EPtS7_N6thrust23THRUST_200600_302600_NS5minusItEEEE10hipError_tPvRmT2_T3_mT4_P12ihipStream_tbEUlT_E_NS1_11comp_targetILNS1_3genE5ELNS1_11target_archE942ELNS1_3gpuE9ELNS1_3repE0EEENS1_30default_config_static_selectorELNS0_4arch9wavefront6targetE1EEEvT1_
	.p2align	8
	.type	_ZN7rocprim17ROCPRIM_400000_NS6detail17trampoline_kernelINS0_14default_configENS1_35adjacent_difference_config_selectorILb0EtEEZNS1_24adjacent_difference_implIS3_Lb0ELb0EPtS7_N6thrust23THRUST_200600_302600_NS5minusItEEEE10hipError_tPvRmT2_T3_mT4_P12ihipStream_tbEUlT_E_NS1_11comp_targetILNS1_3genE5ELNS1_11target_archE942ELNS1_3gpuE9ELNS1_3repE0EEENS1_30default_config_static_selectorELNS0_4arch9wavefront6targetE1EEEvT1_,@function
_ZN7rocprim17ROCPRIM_400000_NS6detail17trampoline_kernelINS0_14default_configENS1_35adjacent_difference_config_selectorILb0EtEEZNS1_24adjacent_difference_implIS3_Lb0ELb0EPtS7_N6thrust23THRUST_200600_302600_NS5minusItEEEE10hipError_tPvRmT2_T3_mT4_P12ihipStream_tbEUlT_E_NS1_11comp_targetILNS1_3genE5ELNS1_11target_archE942ELNS1_3gpuE9ELNS1_3repE0EEENS1_30default_config_static_selectorELNS0_4arch9wavefront6targetE1EEEvT1_: ; @_ZN7rocprim17ROCPRIM_400000_NS6detail17trampoline_kernelINS0_14default_configENS1_35adjacent_difference_config_selectorILb0EtEEZNS1_24adjacent_difference_implIS3_Lb0ELb0EPtS7_N6thrust23THRUST_200600_302600_NS5minusItEEEE10hipError_tPvRmT2_T3_mT4_P12ihipStream_tbEUlT_E_NS1_11comp_targetILNS1_3genE5ELNS1_11target_archE942ELNS1_3gpuE9ELNS1_3repE0EEENS1_30default_config_static_selectorELNS0_4arch9wavefront6targetE1EEEvT1_
; %bb.0:
	.section	.rodata,"a",@progbits
	.p2align	6, 0x0
	.amdhsa_kernel _ZN7rocprim17ROCPRIM_400000_NS6detail17trampoline_kernelINS0_14default_configENS1_35adjacent_difference_config_selectorILb0EtEEZNS1_24adjacent_difference_implIS3_Lb0ELb0EPtS7_N6thrust23THRUST_200600_302600_NS5minusItEEEE10hipError_tPvRmT2_T3_mT4_P12ihipStream_tbEUlT_E_NS1_11comp_targetILNS1_3genE5ELNS1_11target_archE942ELNS1_3gpuE9ELNS1_3repE0EEENS1_30default_config_static_selectorELNS0_4arch9wavefront6targetE1EEEvT1_
		.amdhsa_group_segment_fixed_size 0
		.amdhsa_private_segment_fixed_size 0
		.amdhsa_kernarg_size 56
		.amdhsa_user_sgpr_count 6
		.amdhsa_user_sgpr_private_segment_buffer 1
		.amdhsa_user_sgpr_dispatch_ptr 0
		.amdhsa_user_sgpr_queue_ptr 0
		.amdhsa_user_sgpr_kernarg_segment_ptr 1
		.amdhsa_user_sgpr_dispatch_id 0
		.amdhsa_user_sgpr_flat_scratch_init 0
		.amdhsa_user_sgpr_kernarg_preload_length 0
		.amdhsa_user_sgpr_kernarg_preload_offset 0
		.amdhsa_user_sgpr_private_segment_size 0
		.amdhsa_uses_dynamic_stack 0
		.amdhsa_system_sgpr_private_segment_wavefront_offset 0
		.amdhsa_system_sgpr_workgroup_id_x 1
		.amdhsa_system_sgpr_workgroup_id_y 0
		.amdhsa_system_sgpr_workgroup_id_z 0
		.amdhsa_system_sgpr_workgroup_info 0
		.amdhsa_system_vgpr_workitem_id 0
		.amdhsa_next_free_vgpr 1
		.amdhsa_next_free_sgpr 0
		.amdhsa_accum_offset 4
		.amdhsa_reserve_vcc 0
		.amdhsa_reserve_flat_scratch 0
		.amdhsa_float_round_mode_32 0
		.amdhsa_float_round_mode_16_64 0
		.amdhsa_float_denorm_mode_32 3
		.amdhsa_float_denorm_mode_16_64 3
		.amdhsa_dx10_clamp 1
		.amdhsa_ieee_mode 1
		.amdhsa_fp16_overflow 0
		.amdhsa_tg_split 0
		.amdhsa_exception_fp_ieee_invalid_op 0
		.amdhsa_exception_fp_denorm_src 0
		.amdhsa_exception_fp_ieee_div_zero 0
		.amdhsa_exception_fp_ieee_overflow 0
		.amdhsa_exception_fp_ieee_underflow 0
		.amdhsa_exception_fp_ieee_inexact 0
		.amdhsa_exception_int_div_zero 0
	.end_amdhsa_kernel
	.section	.text._ZN7rocprim17ROCPRIM_400000_NS6detail17trampoline_kernelINS0_14default_configENS1_35adjacent_difference_config_selectorILb0EtEEZNS1_24adjacent_difference_implIS3_Lb0ELb0EPtS7_N6thrust23THRUST_200600_302600_NS5minusItEEEE10hipError_tPvRmT2_T3_mT4_P12ihipStream_tbEUlT_E_NS1_11comp_targetILNS1_3genE5ELNS1_11target_archE942ELNS1_3gpuE9ELNS1_3repE0EEENS1_30default_config_static_selectorELNS0_4arch9wavefront6targetE1EEEvT1_,"axG",@progbits,_ZN7rocprim17ROCPRIM_400000_NS6detail17trampoline_kernelINS0_14default_configENS1_35adjacent_difference_config_selectorILb0EtEEZNS1_24adjacent_difference_implIS3_Lb0ELb0EPtS7_N6thrust23THRUST_200600_302600_NS5minusItEEEE10hipError_tPvRmT2_T3_mT4_P12ihipStream_tbEUlT_E_NS1_11comp_targetILNS1_3genE5ELNS1_11target_archE942ELNS1_3gpuE9ELNS1_3repE0EEENS1_30default_config_static_selectorELNS0_4arch9wavefront6targetE1EEEvT1_,comdat
.Lfunc_end316:
	.size	_ZN7rocprim17ROCPRIM_400000_NS6detail17trampoline_kernelINS0_14default_configENS1_35adjacent_difference_config_selectorILb0EtEEZNS1_24adjacent_difference_implIS3_Lb0ELb0EPtS7_N6thrust23THRUST_200600_302600_NS5minusItEEEE10hipError_tPvRmT2_T3_mT4_P12ihipStream_tbEUlT_E_NS1_11comp_targetILNS1_3genE5ELNS1_11target_archE942ELNS1_3gpuE9ELNS1_3repE0EEENS1_30default_config_static_selectorELNS0_4arch9wavefront6targetE1EEEvT1_, .Lfunc_end316-_ZN7rocprim17ROCPRIM_400000_NS6detail17trampoline_kernelINS0_14default_configENS1_35adjacent_difference_config_selectorILb0EtEEZNS1_24adjacent_difference_implIS3_Lb0ELb0EPtS7_N6thrust23THRUST_200600_302600_NS5minusItEEEE10hipError_tPvRmT2_T3_mT4_P12ihipStream_tbEUlT_E_NS1_11comp_targetILNS1_3genE5ELNS1_11target_archE942ELNS1_3gpuE9ELNS1_3repE0EEENS1_30default_config_static_selectorELNS0_4arch9wavefront6targetE1EEEvT1_
                                        ; -- End function
	.section	.AMDGPU.csdata,"",@progbits
; Kernel info:
; codeLenInByte = 0
; NumSgprs: 4
; NumVgprs: 0
; NumAgprs: 0
; TotalNumVgprs: 0
; ScratchSize: 0
; MemoryBound: 0
; FloatMode: 240
; IeeeMode: 1
; LDSByteSize: 0 bytes/workgroup (compile time only)
; SGPRBlocks: 0
; VGPRBlocks: 0
; NumSGPRsForWavesPerEU: 4
; NumVGPRsForWavesPerEU: 1
; AccumOffset: 4
; Occupancy: 8
; WaveLimiterHint : 0
; COMPUTE_PGM_RSRC2:SCRATCH_EN: 0
; COMPUTE_PGM_RSRC2:USER_SGPR: 6
; COMPUTE_PGM_RSRC2:TRAP_HANDLER: 0
; COMPUTE_PGM_RSRC2:TGID_X_EN: 1
; COMPUTE_PGM_RSRC2:TGID_Y_EN: 0
; COMPUTE_PGM_RSRC2:TGID_Z_EN: 0
; COMPUTE_PGM_RSRC2:TIDIG_COMP_CNT: 0
; COMPUTE_PGM_RSRC3_GFX90A:ACCUM_OFFSET: 0
; COMPUTE_PGM_RSRC3_GFX90A:TG_SPLIT: 0
	.section	.text._ZN7rocprim17ROCPRIM_400000_NS6detail17trampoline_kernelINS0_14default_configENS1_35adjacent_difference_config_selectorILb0EtEEZNS1_24adjacent_difference_implIS3_Lb0ELb0EPtS7_N6thrust23THRUST_200600_302600_NS5minusItEEEE10hipError_tPvRmT2_T3_mT4_P12ihipStream_tbEUlT_E_NS1_11comp_targetILNS1_3genE4ELNS1_11target_archE910ELNS1_3gpuE8ELNS1_3repE0EEENS1_30default_config_static_selectorELNS0_4arch9wavefront6targetE1EEEvT1_,"axG",@progbits,_ZN7rocprim17ROCPRIM_400000_NS6detail17trampoline_kernelINS0_14default_configENS1_35adjacent_difference_config_selectorILb0EtEEZNS1_24adjacent_difference_implIS3_Lb0ELb0EPtS7_N6thrust23THRUST_200600_302600_NS5minusItEEEE10hipError_tPvRmT2_T3_mT4_P12ihipStream_tbEUlT_E_NS1_11comp_targetILNS1_3genE4ELNS1_11target_archE910ELNS1_3gpuE8ELNS1_3repE0EEENS1_30default_config_static_selectorELNS0_4arch9wavefront6targetE1EEEvT1_,comdat
	.protected	_ZN7rocprim17ROCPRIM_400000_NS6detail17trampoline_kernelINS0_14default_configENS1_35adjacent_difference_config_selectorILb0EtEEZNS1_24adjacent_difference_implIS3_Lb0ELb0EPtS7_N6thrust23THRUST_200600_302600_NS5minusItEEEE10hipError_tPvRmT2_T3_mT4_P12ihipStream_tbEUlT_E_NS1_11comp_targetILNS1_3genE4ELNS1_11target_archE910ELNS1_3gpuE8ELNS1_3repE0EEENS1_30default_config_static_selectorELNS0_4arch9wavefront6targetE1EEEvT1_ ; -- Begin function _ZN7rocprim17ROCPRIM_400000_NS6detail17trampoline_kernelINS0_14default_configENS1_35adjacent_difference_config_selectorILb0EtEEZNS1_24adjacent_difference_implIS3_Lb0ELb0EPtS7_N6thrust23THRUST_200600_302600_NS5minusItEEEE10hipError_tPvRmT2_T3_mT4_P12ihipStream_tbEUlT_E_NS1_11comp_targetILNS1_3genE4ELNS1_11target_archE910ELNS1_3gpuE8ELNS1_3repE0EEENS1_30default_config_static_selectorELNS0_4arch9wavefront6targetE1EEEvT1_
	.globl	_ZN7rocprim17ROCPRIM_400000_NS6detail17trampoline_kernelINS0_14default_configENS1_35adjacent_difference_config_selectorILb0EtEEZNS1_24adjacent_difference_implIS3_Lb0ELb0EPtS7_N6thrust23THRUST_200600_302600_NS5minusItEEEE10hipError_tPvRmT2_T3_mT4_P12ihipStream_tbEUlT_E_NS1_11comp_targetILNS1_3genE4ELNS1_11target_archE910ELNS1_3gpuE8ELNS1_3repE0EEENS1_30default_config_static_selectorELNS0_4arch9wavefront6targetE1EEEvT1_
	.p2align	8
	.type	_ZN7rocprim17ROCPRIM_400000_NS6detail17trampoline_kernelINS0_14default_configENS1_35adjacent_difference_config_selectorILb0EtEEZNS1_24adjacent_difference_implIS3_Lb0ELb0EPtS7_N6thrust23THRUST_200600_302600_NS5minusItEEEE10hipError_tPvRmT2_T3_mT4_P12ihipStream_tbEUlT_E_NS1_11comp_targetILNS1_3genE4ELNS1_11target_archE910ELNS1_3gpuE8ELNS1_3repE0EEENS1_30default_config_static_selectorELNS0_4arch9wavefront6targetE1EEEvT1_,@function
_ZN7rocprim17ROCPRIM_400000_NS6detail17trampoline_kernelINS0_14default_configENS1_35adjacent_difference_config_selectorILb0EtEEZNS1_24adjacent_difference_implIS3_Lb0ELb0EPtS7_N6thrust23THRUST_200600_302600_NS5minusItEEEE10hipError_tPvRmT2_T3_mT4_P12ihipStream_tbEUlT_E_NS1_11comp_targetILNS1_3genE4ELNS1_11target_archE910ELNS1_3gpuE8ELNS1_3repE0EEENS1_30default_config_static_selectorELNS0_4arch9wavefront6targetE1EEEvT1_: ; @_ZN7rocprim17ROCPRIM_400000_NS6detail17trampoline_kernelINS0_14default_configENS1_35adjacent_difference_config_selectorILb0EtEEZNS1_24adjacent_difference_implIS3_Lb0ELb0EPtS7_N6thrust23THRUST_200600_302600_NS5minusItEEEE10hipError_tPvRmT2_T3_mT4_P12ihipStream_tbEUlT_E_NS1_11comp_targetILNS1_3genE4ELNS1_11target_archE910ELNS1_3gpuE8ELNS1_3repE0EEENS1_30default_config_static_selectorELNS0_4arch9wavefront6targetE1EEEvT1_
; %bb.0:
	s_load_dwordx8 s[8:15], s[4:5], 0x0
	s_mov_b32 s2, 0xfc3c3710
	s_load_dwordx2 s[0:1], s[4:5], 0x30
	s_movk_i32 s7, 0x440
	s_waitcnt lgkmcnt(0)
	s_lshl_b64 s[10:11], s[10:11], 1
	s_add_u32 s20, s8, s10
	s_addc_u32 s21, s9, s11
	s_add_u32 s2, 0x10c, s2
	s_addc_u32 s4, 0, 0
	v_add_co_u32_e64 v1, s[2:3], s2, 2.0
	s_cmp_lg_u64 s[2:3], 0
	s_addc_u32 s2, s4, 0x3c3c3b
	v_readfirstlane_b32 s4, v1
	s_mul_hi_u32 s5, s4, 0xfffffbc0
	s_mul_i32 s3, s2, 0xfffffbc0
	s_sub_i32 s5, s5, s4
	s_add_i32 s5, s5, s3
	s_mul_i32 s17, s4, 0xfffffbc0
	s_mul_hi_u32 s3, s4, s5
	s_mul_i32 s16, s4, s5
	s_mul_hi_u32 s4, s4, s17
	s_add_u32 s4, s4, s16
	s_addc_u32 s3, 0, s3
	s_mul_hi_u32 s18, s2, s17
	s_mul_i32 s17, s2, s17
	s_add_u32 s4, s4, s17
	s_mul_hi_u32 s16, s2, s5
	s_addc_u32 s3, s3, s18
	s_addc_u32 s4, s16, 0
	s_mul_i32 s5, s2, s5
	s_add_u32 s3, s3, s5
	s_addc_u32 s4, 0, s4
	v_add_co_u32_e32 v1, vcc, s3, v1
	s_cmp_lg_u64 vcc, 0
	s_addc_u32 s2, s2, s4
	v_readfirstlane_b32 s5, v1
	s_mul_i32 s4, s14, s2
	s_mul_hi_u32 s16, s14, s5
	s_mul_hi_u32 s3, s14, s2
	s_add_u32 s4, s16, s4
	s_addc_u32 s3, 0, s3
	s_mul_hi_u32 s17, s15, s5
	s_mul_i32 s5, s15, s5
	s_add_u32 s4, s4, s5
	s_mul_hi_u32 s16, s15, s2
	s_addc_u32 s3, s3, s17
	s_addc_u32 s4, s16, 0
	s_mul_i32 s2, s15, s2
	s_add_u32 s2, s3, s2
	s_addc_u32 s3, 0, s4
	s_add_u32 s4, s2, 1
	s_addc_u32 s5, s3, 0
	s_add_u32 s16, s2, 2
	s_mul_i32 s18, s3, 0x440
	s_mul_hi_u32 s19, s2, 0x440
	s_addc_u32 s17, s3, 0
	s_add_i32 s19, s19, s18
	s_mul_i32 s18, s2, 0x440
	v_mov_b32_e32 v1, s18
	v_sub_co_u32_e32 v1, vcc, s14, v1
	s_cmp_lg_u64 vcc, 0
	s_subb_u32 s18, s15, s19
	v_subrev_co_u32_e32 v2, vcc, s7, v1
	s_cmp_lg_u64 vcc, 0
	s_subb_u32 s7, s18, 0
	v_readfirstlane_b32 s19, v2
	s_cmpk_gt_u32 s19, 0x43f
	s_cselect_b32 s19, -1, 0
	s_cmp_eq_u32 s7, 0
	s_cselect_b32 s7, s19, -1
	s_cmp_lg_u32 s7, 0
	v_readfirstlane_b32 s7, v1
	s_cselect_b32 s4, s16, s4
	s_cselect_b32 s5, s17, s5
	s_cmpk_gt_u32 s7, 0x43f
	s_cselect_b32 s7, -1, 0
	s_cmp_eq_u32 s18, 0
	s_cselect_b32 s7, s7, -1
	s_cmp_lg_u32 s7, 0
	s_cselect_b32 s5, s5, s3
	s_cselect_b32 s4, s4, s2
	s_mul_i32 s2, s5, 0x440
	s_mul_hi_u32 s3, s4, 0x440
	s_add_i32 s3, s3, s2
	s_mul_i32 s2, s4, 0x440
	s_sub_u32 s2, s14, s2
	s_subb_u32 s3, s15, s3
	s_cmp_lg_u64 s[2:3], 0
	s_cselect_b64 s[2:3], -1, 0
	v_cndmask_b32_e64 v1, 0, 1, s[2:3]
	v_readfirstlane_b32 s2, v1
	s_add_u32 s2, s4, s2
	s_addc_u32 s3, s5, 0
	s_add_u32 s4, s0, s6
	s_addc_u32 s5, s1, 0
	s_mul_i32 s8, s6, 0x440
	s_add_u32 s6, s2, -1
	s_addc_u32 s7, s3, -1
	v_pk_mov_b32 v[2:3], s[6:7], s[6:7] op_sel:[0,1]
	v_cmp_ge_u64_e64 s[0:1], s[4:5], v[2:3]
	s_mov_b32 s9, 0
	s_mov_b64 s[16:17], -1
	s_and_b64 vcc, exec, s[0:1]
	s_mul_i32 s15, s6, 0xfffffbc0
	s_cbranch_vccz .LBB317_36
; %bb.1:
	s_add_i32 s22, s15, s14
	s_lshl_b64 s[16:17], s[8:9], 1
	s_add_u32 s16, s20, s16
	s_addc_u32 s17, s21, s17
	v_cmp_gt_u32_e32 vcc, s22, v0
                                        ; implicit-def: $vgpr1
	s_and_saveexec_b64 s[18:19], vcc
	s_cbranch_execz .LBB317_3
; %bb.2:
	v_lshlrev_b32_e32 v1, 1, v0
	global_load_ushort v1, v1, s[16:17]
.LBB317_3:
	s_or_b64 exec, exec, s[18:19]
	v_or_b32_e32 v2, 64, v0
	v_cmp_gt_u32_e32 vcc, s22, v2
                                        ; implicit-def: $vgpr2
	s_and_saveexec_b64 s[18:19], vcc
	s_cbranch_execz .LBB317_5
; %bb.4:
	v_lshlrev_b32_e32 v2, 1, v0
	global_load_ushort v2, v2, s[16:17] offset:128
.LBB317_5:
	s_or_b64 exec, exec, s[18:19]
	v_or_b32_e32 v3, 0x80, v0
	v_cmp_gt_u32_e32 vcc, s22, v3
                                        ; implicit-def: $vgpr3
	s_and_saveexec_b64 s[18:19], vcc
	s_cbranch_execz .LBB317_7
; %bb.6:
	v_lshlrev_b32_e32 v3, 1, v0
	global_load_ushort v3, v3, s[16:17] offset:256
.LBB317_7:
	s_or_b64 exec, exec, s[18:19]
	v_or_b32_e32 v4, 0xc0, v0
	v_cmp_gt_u32_e32 vcc, s22, v4
                                        ; implicit-def: $vgpr4
	s_and_saveexec_b64 s[18:19], vcc
	s_cbranch_execz .LBB317_9
; %bb.8:
	v_lshlrev_b32_e32 v4, 1, v0
	global_load_ushort v4, v4, s[16:17] offset:384
.LBB317_9:
	s_or_b64 exec, exec, s[18:19]
	v_or_b32_e32 v5, 0x100, v0
	v_cmp_gt_u32_e32 vcc, s22, v5
                                        ; implicit-def: $vgpr5
	s_and_saveexec_b64 s[18:19], vcc
	s_cbranch_execz .LBB317_11
; %bb.10:
	v_lshlrev_b32_e32 v5, 1, v0
	global_load_ushort v5, v5, s[16:17] offset:512
.LBB317_11:
	s_or_b64 exec, exec, s[18:19]
	v_or_b32_e32 v6, 0x140, v0
	v_cmp_gt_u32_e32 vcc, s22, v6
                                        ; implicit-def: $vgpr6
	s_and_saveexec_b64 s[18:19], vcc
	s_cbranch_execz .LBB317_13
; %bb.12:
	v_lshlrev_b32_e32 v6, 1, v0
	global_load_ushort v6, v6, s[16:17] offset:640
.LBB317_13:
	s_or_b64 exec, exec, s[18:19]
	v_or_b32_e32 v7, 0x180, v0
	v_cmp_gt_u32_e32 vcc, s22, v7
                                        ; implicit-def: $vgpr7
	s_and_saveexec_b64 s[18:19], vcc
	s_cbranch_execz .LBB317_15
; %bb.14:
	v_lshlrev_b32_e32 v7, 1, v0
	global_load_ushort v7, v7, s[16:17] offset:768
.LBB317_15:
	s_or_b64 exec, exec, s[18:19]
	v_or_b32_e32 v8, 0x1c0, v0
	v_cmp_gt_u32_e32 vcc, s22, v8
                                        ; implicit-def: $vgpr8
	s_and_saveexec_b64 s[18:19], vcc
	s_cbranch_execz .LBB317_17
; %bb.16:
	v_lshlrev_b32_e32 v8, 1, v0
	global_load_ushort v8, v8, s[16:17] offset:896
.LBB317_17:
	s_or_b64 exec, exec, s[18:19]
	v_or_b32_e32 v9, 0x200, v0
	v_cmp_gt_u32_e32 vcc, s22, v9
                                        ; implicit-def: $vgpr9
	s_and_saveexec_b64 s[18:19], vcc
	s_cbranch_execz .LBB317_19
; %bb.18:
	v_lshlrev_b32_e32 v9, 1, v0
	global_load_ushort v9, v9, s[16:17] offset:1024
.LBB317_19:
	s_or_b64 exec, exec, s[18:19]
	v_or_b32_e32 v10, 0x240, v0
	v_cmp_gt_u32_e32 vcc, s22, v10
                                        ; implicit-def: $vgpr10
	s_and_saveexec_b64 s[18:19], vcc
	s_cbranch_execz .LBB317_21
; %bb.20:
	v_lshlrev_b32_e32 v10, 1, v0
	global_load_ushort v10, v10, s[16:17] offset:1152
.LBB317_21:
	s_or_b64 exec, exec, s[18:19]
	v_or_b32_e32 v11, 0x280, v0
	v_cmp_gt_u32_e32 vcc, s22, v11
                                        ; implicit-def: $vgpr11
	s_and_saveexec_b64 s[18:19], vcc
	s_cbranch_execz .LBB317_23
; %bb.22:
	v_lshlrev_b32_e32 v11, 1, v0
	global_load_ushort v11, v11, s[16:17] offset:1280
.LBB317_23:
	s_or_b64 exec, exec, s[18:19]
	v_or_b32_e32 v12, 0x2c0, v0
	v_cmp_gt_u32_e32 vcc, s22, v12
                                        ; implicit-def: $vgpr12
	s_and_saveexec_b64 s[18:19], vcc
	s_cbranch_execz .LBB317_25
; %bb.24:
	v_lshlrev_b32_e32 v12, 1, v0
	global_load_ushort v12, v12, s[16:17] offset:1408
.LBB317_25:
	s_or_b64 exec, exec, s[18:19]
	v_or_b32_e32 v13, 0x300, v0
	v_cmp_gt_u32_e32 vcc, s22, v13
                                        ; implicit-def: $vgpr13
	s_and_saveexec_b64 s[18:19], vcc
	s_cbranch_execz .LBB317_27
; %bb.26:
	v_lshlrev_b32_e32 v13, 1, v0
	global_load_ushort v13, v13, s[16:17] offset:1536
.LBB317_27:
	s_or_b64 exec, exec, s[18:19]
	v_or_b32_e32 v14, 0x340, v0
	v_cmp_gt_u32_e32 vcc, s22, v14
                                        ; implicit-def: $vgpr14
	s_and_saveexec_b64 s[18:19], vcc
	s_cbranch_execz .LBB317_29
; %bb.28:
	v_lshlrev_b32_e32 v14, 1, v0
	global_load_ushort v14, v14, s[16:17] offset:1664
.LBB317_29:
	s_or_b64 exec, exec, s[18:19]
	v_or_b32_e32 v15, 0x380, v0
	v_cmp_gt_u32_e32 vcc, s22, v15
                                        ; implicit-def: $vgpr15
	s_and_saveexec_b64 s[18:19], vcc
	s_cbranch_execz .LBB317_31
; %bb.30:
	v_lshlrev_b32_e32 v15, 1, v0
	global_load_ushort v15, v15, s[16:17] offset:1792
.LBB317_31:
	s_or_b64 exec, exec, s[18:19]
	v_or_b32_e32 v16, 0x3c0, v0
	v_cmp_gt_u32_e32 vcc, s22, v16
                                        ; implicit-def: $vgpr16
	s_and_saveexec_b64 s[18:19], vcc
	s_cbranch_execz .LBB317_33
; %bb.32:
	v_lshlrev_b32_e32 v16, 1, v0
	global_load_ushort v16, v16, s[16:17] offset:1920
.LBB317_33:
	s_or_b64 exec, exec, s[18:19]
	v_or_b32_e32 v17, 0x400, v0
	v_cmp_gt_u32_e32 vcc, s22, v17
                                        ; implicit-def: $vgpr17
	s_and_saveexec_b64 s[18:19], vcc
	s_cbranch_execz .LBB317_35
; %bb.34:
	v_lshlrev_b32_e32 v17, 1, v0
	global_load_ushort v17, v17, s[16:17] offset:2048
.LBB317_35:
	s_or_b64 exec, exec, s[18:19]
	v_lshlrev_b32_e32 v18, 1, v0
	s_mov_b64 s[16:17], 0
	s_waitcnt vmcnt(0)
	ds_write_b16 v18, v1
	ds_write_b16 v18, v2 offset:128
	ds_write_b16 v18, v3 offset:256
	ds_write_b16 v18, v4 offset:384
	ds_write_b16 v18, v5 offset:512
	ds_write_b16 v18, v6 offset:640
	ds_write_b16 v18, v7 offset:768
	ds_write_b16 v18, v8 offset:896
	ds_write_b16 v18, v9 offset:1024
	ds_write_b16 v18, v10 offset:1152
	ds_write_b16 v18, v11 offset:1280
	ds_write_b16 v18, v12 offset:1408
	ds_write_b16 v18, v13 offset:1536
	ds_write_b16 v18, v14 offset:1664
	ds_write_b16 v18, v15 offset:1792
	ds_write_b16 v18, v16 offset:1920
	ds_write_b16 v18, v17 offset:2048
	s_waitcnt lgkmcnt(0)
	; wave barrier
.LBB317_36:
	s_and_b64 vcc, exec, s[16:17]
	v_lshlrev_b32_e32 v1, 1, v0
	s_cbranch_vccz .LBB317_38
; %bb.37:
	s_lshl_b64 s[16:17], s[8:9], 1
	s_add_u32 s16, s20, s16
	s_addc_u32 s17, s21, s17
	global_load_ushort v2, v1, s[16:17]
	global_load_ushort v3, v1, s[16:17] offset:128
	global_load_ushort v4, v1, s[16:17] offset:256
	;; [unrolled: 1-line block ×16, first 2 shown]
	s_waitcnt vmcnt(16)
	ds_write_b16 v1, v2
	s_waitcnt vmcnt(15)
	ds_write_b16 v1, v3 offset:128
	s_waitcnt vmcnt(14)
	ds_write_b16 v1, v4 offset:256
	;; [unrolled: 2-line block ×16, first 2 shown]
	s_waitcnt lgkmcnt(0)
	; wave barrier
.LBB317_38:
	v_mul_u32_u24_e32 v2, 17, v0
	v_lshlrev_b32_e32 v5, 1, v2
	s_waitcnt lgkmcnt(0)
	ds_read_b96 v[2:4], v5 offset:20
	ds_read_b96 v[6:8], v5
	ds_read_b64 v[10:11], v5 offset:12
	ds_read_u16 v5, v5 offset:32
	s_cmp_eq_u64 s[4:5], 0
	s_waitcnt lgkmcnt(3)
	v_alignbit_b32 v9, v4, v3, 16
	v_alignbit_b32 v3, v3, v2, 16
	v_lshrrev_b32_e32 v4, 16, v4
	s_waitcnt lgkmcnt(2)
	v_alignbit_b32 v12, v8, v7, 16
	v_alignbit_b32 v7, v7, v6, 16
	v_lshrrev_b32_e32 v8, 16, v8
	s_waitcnt lgkmcnt(0)
	; wave barrier
	s_waitcnt lgkmcnt(0)
	s_cbranch_scc1 .LBB317_43
; %bb.39:
	s_lshl_b64 s[16:17], s[8:9], 1
	s_add_u32 s16, s20, s16
	s_addc_u32 s17, s21, s17
	v_mov_b32_e32 v13, 0
	global_load_ushort v23, v13, s[16:17] offset:-2
	s_cmp_eq_u64 s[4:5], s[6:7]
	s_cbranch_scc1 .LBB317_44
; %bb.40:
	v_cmp_ne_u32_e32 vcc, 0, v0
	s_waitcnt vmcnt(0)
	v_mov_b32_e32 v13, v23
	ds_write_b16 v1, v5
	s_waitcnt lgkmcnt(0)
	; wave barrier
	s_waitcnt lgkmcnt(0)
	s_and_saveexec_b64 s[6:7], vcc
	s_cbranch_execz .LBB317_42
; %bb.41:
	v_add_u32_e32 v13, -2, v1
	ds_read_u16 v13, v13
.LBB317_42:
	s_or_b64 exec, exec, s[6:7]
	s_mov_b32 s5, 0x5040100
	v_perm_b32 v16, v7, v6, s5
	v_perm_b32 v20, v10, v8, s5
	;; [unrolled: 1-line block ×3, first 2 shown]
	s_mov_b32 s5, 0xffff
	s_waitcnt lgkmcnt(0)
	v_sub_u16_e32 v14, v6, v13
	v_alignbit_b32 v19, v12, v7, 16
	v_lshrrev_b32_e32 v17, 16, v12
	v_alignbit_b32 v22, v11, v10, 16
	v_lshrrev_b32_e32 v15, 16, v11
	v_alignbit_b32 v21, v9, v3, 16
	v_bfi_b32 v13, s5, v4, v9
	s_branch .LBB317_48
.LBB317_43:
                                        ; implicit-def: $vgpr21
                                        ; implicit-def: $vgpr18
                                        ; implicit-def: $vgpr22
                                        ; implicit-def: $vgpr20
                                        ; implicit-def: $vgpr19
                                        ; implicit-def: $vgpr16
                                        ; implicit-def: $vgpr13
                                        ; implicit-def: $vgpr14
                                        ; implicit-def: $vgpr17
                                        ; implicit-def: $vgpr15
	s_branch .LBB317_49
.LBB317_44:
                                        ; implicit-def: $vgpr21
                                        ; implicit-def: $vgpr18
                                        ; implicit-def: $vgpr22
                                        ; implicit-def: $vgpr20
                                        ; implicit-def: $vgpr19
                                        ; implicit-def: $vgpr16
                                        ; implicit-def: $vgpr13
                                        ; implicit-def: $vgpr14
                                        ; implicit-def: $vgpr17
                                        ; implicit-def: $vgpr15
	s_cbranch_execz .LBB317_48
; %bb.45:
	v_mul_u32_u24_e32 v14, 17, v0
	v_cmp_ne_u32_e32 vcc, 0, v0
	ds_write_b16 v1, v5
	s_waitcnt lgkmcnt(0)
	; wave barrier
	s_waitcnt lgkmcnt(0)
	s_and_saveexec_b64 s[6:7], vcc
	s_cbranch_execz .LBB317_47
; %bb.46:
	v_add_u32_e32 v13, -2, v1
	s_waitcnt vmcnt(0)
	ds_read_u16 v23, v13
.LBB317_47:
	s_or_b64 exec, exec, s[6:7]
	s_mulk_i32 s4, 0xfbc0
	s_add_i32 s4, s4, s14
	v_add_u32_e32 v13, 16, v14
	v_add_u32_e32 v15, 15, v14
	v_cmp_gt_u32_e32 vcc, s4, v13
	v_cndmask_b32_e32 v13, 0, v4, vcc
	v_lshrrev_b32_e32 v16, 16, v9
	v_cmp_gt_u32_e32 vcc, s4, v15
	v_cndmask_b32_e32 v15, 0, v16, vcc
	s_mov_b32 s5, 0x5040100
	v_perm_b32 v13, v15, v13, s5
	v_add_u32_e32 v15, 13, v14
	v_add_u32_e32 v16, 14, v14
	v_lshrrev_b32_e32 v19, 16, v3
	v_cmp_gt_u32_e32 vcc, s4, v15
	v_add_u32_e32 v17, 11, v14
	v_cndmask_b32_e32 v21, 0, v19, vcc
	v_cmp_gt_u32_e32 vcc, s4, v16
	v_add_u32_e32 v18, 12, v14
	v_cndmask_b32_e32 v24, 0, v9, vcc
	v_cmp_gt_u32_e32 vcc, s4, v17
	v_cndmask_b32_e32 v25, 0, v2, vcc
	v_cmp_gt_u32_e32 vcc, s4, v18
	v_add_u32_e32 v15, 10, v14
	v_cndmask_b32_e32 v18, 0, v3, vcc
	v_lshrrev_b32_e32 v16, 16, v11
	v_cmp_gt_u32_e32 vcc, s4, v15
	v_cndmask_b32_e32 v15, 0, v16, vcc
	v_add_u32_e32 v16, 8, v14
	v_add_u32_e32 v17, 9, v14
	v_lshrrev_b32_e32 v22, 16, v10
	v_cmp_gt_u32_e32 vcc, s4, v16
	v_add_u32_e32 v19, 6, v14
	v_cndmask_b32_e32 v22, 0, v22, vcc
	v_cmp_gt_u32_e32 vcc, s4, v17
	v_add_u32_e32 v20, 7, v14
	v_cndmask_b32_e32 v26, 0, v11, vcc
	v_cmp_gt_u32_e32 vcc, s4, v19
	v_cndmask_b32_e32 v27, 0, v8, vcc
	v_cmp_gt_u32_e32 vcc, s4, v20
	v_add_u32_e32 v16, 5, v14
	v_cndmask_b32_e32 v20, 0, v10, vcc
	v_lshrrev_b32_e32 v17, 16, v12
	v_cmp_gt_u32_e32 vcc, s4, v16
	v_add_u32_e32 v16, 3, v14
	v_cndmask_b32_e32 v17, 0, v17, vcc
	v_add_u32_e32 v19, 4, v14
	v_lshrrev_b32_e32 v30, 16, v7
	v_cmp_gt_u32_e32 vcc, s4, v16
	v_add_u32_e32 v28, 1, v14
	v_cndmask_b32_e32 v30, 0, v30, vcc
	v_cmp_gt_u32_e32 vcc, s4, v19
	v_add_u32_e32 v29, 2, v14
	v_cndmask_b32_e32 v19, 0, v12, vcc
	v_cmp_gt_u32_e32 vcc, s4, v28
	v_cndmask_b32_e32 v16, 0, v6, vcc
	v_cmp_gt_u32_e32 vcc, s4, v29
	;; [unrolled: 2-line block ×3, first 2 shown]
	s_waitcnt vmcnt(0) lgkmcnt(0)
	v_cndmask_b32_e32 v14, 0, v23, vcc
	v_sub_u16_e32 v14, v6, v14
	v_perm_b32 v16, v28, v16, s5
	v_perm_b32 v19, v19, v30, s5
	;; [unrolled: 1-line block ×6, first 2 shown]
.LBB317_48:
	s_cbranch_execnz .LBB317_57
.LBB317_49:
	s_cmp_eq_u64 s[2:3], 1
	v_cmp_ne_u32_e32 vcc, 0, v0
	s_cbranch_scc1 .LBB317_53
; %bb.50:
	s_mov_b32 s5, 0x5040100
	s_mov_b32 s4, 0xffff
	v_mov_b32_e32 v14, v6
	ds_write_b16 v1, v5
	s_waitcnt lgkmcnt(0)
	; wave barrier
	s_waitcnt lgkmcnt(0)
	s_and_saveexec_b64 s[2:3], vcc
	s_cbranch_execz .LBB317_52
; %bb.51:
	v_add_u32_e32 v13, -2, v1
	ds_read_u16 v13, v13
	s_waitcnt lgkmcnt(0)
	v_sub_u16_e32 v14, v6, v13
.LBB317_52:
	s_or_b64 exec, exec, s[2:3]
	v_perm_b32 v16, v7, v6, s5
	v_alignbit_b32 v19, v12, v7, 16
	v_lshrrev_b32_e32 v17, 16, v12
	v_perm_b32 v20, v10, v8, s5
	v_alignbit_b32 v22, v11, v10, 16
	v_lshrrev_b32_e32 v15, 16, v11
	v_perm_b32 v18, v3, v2, s5
	v_alignbit_b32 v21, v9, v3, 16
	v_bfi_b32 v13, s4, v4, v9
	s_cbranch_execz .LBB317_54
	s_branch .LBB317_57
.LBB317_53:
                                        ; implicit-def: $vgpr21
                                        ; implicit-def: $vgpr18
                                        ; implicit-def: $vgpr22
                                        ; implicit-def: $vgpr20
                                        ; implicit-def: $vgpr19
                                        ; implicit-def: $vgpr16
                                        ; implicit-def: $vgpr13
                                        ; implicit-def: $vgpr14
                                        ; implicit-def: $vgpr17
                                        ; implicit-def: $vgpr15
.LBB317_54:
	v_mad_u32_u24 v13, v0, 17, 16
	v_mad_u32_u24 v14, v0, 17, 15
	v_cmp_gt_u32_e32 vcc, s14, v13
	v_cndmask_b32_e32 v13, 0, v4, vcc
	v_lshrrev_b32_e32 v15, 16, v9
	v_cmp_gt_u32_e32 vcc, s14, v14
	v_cndmask_b32_e32 v14, 0, v15, vcc
	v_mad_u32_u24 v15, v0, 17, 14
	v_mad_u32_u24 v16, v0, 17, 13
	v_cmp_gt_u32_e32 vcc, s14, v15
	v_mad_u32_u24 v18, v0, 17, 11
	v_lshrrev_b32_e32 v20, 16, v3
	v_cndmask_b32_e32 v21, 0, v9, vcc
	v_cmp_gt_u32_e32 vcc, s14, v16
	v_mad_u32_u24 v19, v0, 17, 12
	s_waitcnt vmcnt(0)
	v_cndmask_b32_e32 v23, 0, v20, vcc
	v_cmp_gt_u32_e32 vcc, s14, v18
	v_mad_u32_u24 v16, v0, 17, 9
	v_cndmask_b32_e32 v18, 0, v2, vcc
	v_cmp_gt_u32_e32 vcc, s14, v19
	v_mad_u32_u24 v19, v0, 17, 8
	v_cmp_gt_u32_e64 s[2:3], s14, v16
	v_cndmask_b32_e64 v22, 0, v11, s[2:3]
	v_cmp_gt_u32_e64 s[2:3], s14, v19
	v_mad_u32_u24 v19, v0, 17, 4
	v_mad_u32_u24 v27, v0, 17, 3
	v_cmp_gt_u32_e64 s[4:5], s14, v19
	v_mad_u32_u24 v28, v0, 17, 1
	v_lshrrev_b32_e32 v30, 16, v7
	v_cndmask_b32_e64 v19, 0, v12, s[4:5]
	v_cmp_gt_u32_e64 s[4:5], s14, v27
	v_mad_u32_u24 v20, v0, 17, 6
	v_lshrrev_b32_e32 v25, 16, v10
	v_mad_u32_u24 v29, v0, 17, 2
	v_cndmask_b32_e64 v27, 0, v30, s[4:5]
	v_cmp_gt_u32_e64 s[4:5], s14, v28
	v_mul_u32_u24_e32 v17, 17, v0
	v_mad_u32_u24 v26, v0, 17, 7
	v_cndmask_b32_e64 v25, 0, v25, s[2:3]
	v_cmp_gt_u32_e64 s[2:3], s14, v20
	v_cndmask_b32_e64 v28, 0, v6, s[4:5]
	v_cmp_gt_u32_e64 s[4:5], s14, v29
	v_mad_u32_u24 v15, v0, 17, 10
	v_cndmask_b32_e64 v20, 0, v8, s[2:3]
	v_cmp_gt_u32_e64 s[2:3], s14, v26
	v_mad_u32_u24 v16, v0, 17, 5
	v_cndmask_b32_e64 v29, 0, v7, s[4:5]
	v_cmp_ne_u32_e64 s[4:5], 0, v0
	v_cmp_gt_u32_e64 s[6:7], s14, v17
	s_mov_b32 s9, 0x5040100
	v_cndmask_b32_e32 v24, 0, v3, vcc
	v_cmp_gt_u32_e32 vcc, s14, v15
	v_lshrrev_b32_e32 v15, 16, v11
	v_cndmask_b32_e64 v26, 0, v10, s[2:3]
	v_cmp_gt_u32_e64 s[2:3], s14, v16
	v_lshrrev_b32_e32 v16, 16, v12
	s_and_b64 s[6:7], s[4:5], s[6:7]
	ds_write_b16 v1, v5
	s_waitcnt lgkmcnt(0)
	; wave barrier
	s_waitcnt lgkmcnt(0)
	s_and_saveexec_b64 s[4:5], s[6:7]
	s_cbranch_execz .LBB317_56
; %bb.55:
	v_add_u32_e32 v17, -2, v1
	ds_read_u16 v17, v17
	s_waitcnt lgkmcnt(0)
	v_sub_u16_e32 v6, v6, v17
.LBB317_56:
	s_or_b64 exec, exec, s[4:5]
	v_perm_b32 v13, v14, v13, s9
	v_cndmask_b32_e32 v15, 0, v15, vcc
	v_cndmask_b32_e64 v17, 0, v16, s[2:3]
	v_perm_b32 v16, v29, v28, s9
	v_perm_b32 v19, v19, v27, s9
	;; [unrolled: 1-line block ×6, first 2 shown]
	v_mov_b32_e32 v14, v6
.LBB317_57:
	s_add_u32 s4, s12, s10
	v_pk_sub_i16 v6, v12, v19
	v_pk_sub_i16 v16, v7, v16
	v_sub_u16_e32 v7, v8, v17
	v_sub_u16_e32 v15, v2, v15
	v_pk_sub_i16 v2, v9, v21
	v_pk_sub_i16 v17, v3, v18
	v_sub_u16_sdwa v3, v4, v13 dst_sel:DWORD dst_unused:UNUSED_PAD src0_sel:DWORD src1_sel:WORD_1
	s_addc_u32 s5, s13, s11
	v_pk_sub_i16 v11, v11, v22
	v_pk_sub_i16 v10, v10, v20
	v_sub_u16_e32 v5, v5, v13
	s_and_b64 vcc, exec, s[0:1]
	v_mul_u32_u24_e32 v9, 34, v0
	v_alignbit_b32 v8, v7, v6, 16
	v_alignbit_b32 v7, v6, v16, 16
	;; [unrolled: 1-line block ×4, first 2 shown]
	v_lshlrev_b32_e32 v18, 5, v0
	s_waitcnt lgkmcnt(0)
	; wave barrier
	s_cbranch_vccz .LBB317_91
; %bb.58:
	s_mov_b32 s2, 0x5040100
	v_perm_b32 v6, v16, v14, s2
	v_perm_b32 v2, v17, v15, s2
	ds_write_b96 v9, v[6:8]
	ds_write_b64 v9, v[10:11] offset:12
	ds_write_b96 v9, v[2:4] offset:20
	ds_write_b16 v9, v5 offset:32
	v_sub_u32_e32 v2, v9, v18
	s_waitcnt lgkmcnt(0)
	; wave barrier
	s_waitcnt lgkmcnt(0)
	ds_read_u16 v32, v2 offset:128
	ds_read_u16 v31, v2 offset:256
	;; [unrolled: 1-line block ×9, first 2 shown]
	s_waitcnt vmcnt(0)
	ds_read_u16 v23, v2 offset:1280
	ds_read_u16 v22, v2 offset:1408
	;; [unrolled: 1-line block ×7, first 2 shown]
	s_mov_b32 s9, 0
	s_add_i32 s15, s15, s14
	s_lshl_b64 s[0:1], s[8:9], 1
	s_add_u32 s0, s4, s0
	s_addc_u32 s1, s5, s1
	v_mov_b32_e32 v13, s1
	v_add_co_u32_e32 v12, vcc, s0, v1
	v_addc_co_u32_e32 v13, vcc, 0, v13, vcc
	v_cmp_gt_u32_e32 vcc, s15, v0
	s_and_saveexec_b64 s[0:1], vcc
	s_cbranch_execz .LBB317_60
; %bb.59:
	v_sub_u32_e32 v33, 0, v18
	v_add_u32_e32 v33, v9, v33
	ds_read_u16 v33, v33
	s_waitcnt lgkmcnt(0)
	global_store_short v[12:13], v33, off
.LBB317_60:
	s_or_b64 exec, exec, s[0:1]
	v_or_b32_e32 v33, 64, v0
	v_cmp_gt_u32_e32 vcc, s15, v33
	s_and_saveexec_b64 s[0:1], vcc
	s_cbranch_execz .LBB317_62
; %bb.61:
	s_waitcnt lgkmcnt(14)
	global_store_short v[12:13], v32, off offset:128
.LBB317_62:
	s_or_b64 exec, exec, s[0:1]
	s_waitcnt lgkmcnt(14)
	v_or_b32_e32 v32, 0x80, v0
	v_cmp_gt_u32_e32 vcc, s15, v32
	s_and_saveexec_b64 s[0:1], vcc
	s_cbranch_execz .LBB317_64
; %bb.63:
	global_store_short v[12:13], v31, off offset:256
.LBB317_64:
	s_or_b64 exec, exec, s[0:1]
	v_or_b32_e32 v31, 0xc0, v0
	v_cmp_gt_u32_e32 vcc, s15, v31
	s_and_saveexec_b64 s[0:1], vcc
	s_cbranch_execz .LBB317_66
; %bb.65:
	s_waitcnt lgkmcnt(13)
	global_store_short v[12:13], v30, off offset:384
.LBB317_66:
	s_or_b64 exec, exec, s[0:1]
	s_waitcnt lgkmcnt(13)
	v_or_b32_e32 v30, 0x100, v0
	v_cmp_gt_u32_e32 vcc, s15, v30
	s_and_saveexec_b64 s[0:1], vcc
	s_cbranch_execz .LBB317_68
; %bb.67:
	s_waitcnt lgkmcnt(12)
	global_store_short v[12:13], v29, off offset:512
.LBB317_68:
	s_or_b64 exec, exec, s[0:1]
	s_waitcnt lgkmcnt(12)
	;; [unrolled: 10-line block ×12, first 2 shown]
	v_or_b32_e32 v19, 0x3c0, v0
	v_cmp_gt_u32_e32 vcc, s15, v19
	s_and_saveexec_b64 s[0:1], vcc
	s_cbranch_execz .LBB317_90
; %bb.89:
	s_waitcnt lgkmcnt(1)
	global_store_short v[12:13], v6, off offset:1920
.LBB317_90:
	s_or_b64 exec, exec, s[0:1]
	v_or_b32_e32 v0, 0x400, v0
	v_cmp_gt_u32_e64 s[0:1], s15, v0
	s_branch .LBB317_93
.LBB317_91:
	s_mov_b64 s[0:1], 0
                                        ; implicit-def: $vgpr2
                                        ; implicit-def: $vgpr12_vgpr13
	s_cbranch_execz .LBB317_93
; %bb.92:
	s_mov_b32 s9, 0
	s_lshl_b64 s[2:3], s[8:9], 1
	s_add_u32 s2, s4, s2
	s_mov_b32 s4, 0x5040100
	s_waitcnt lgkmcnt(1)
	v_perm_b32 v6, v16, v14, s4
	s_waitcnt lgkmcnt(0)
	v_perm_b32 v2, v17, v15, s4
	v_sub_u32_e32 v0, v9, v18
	ds_write_b96 v9, v[6:8]
	ds_write_b64 v9, v[10:11] offset:12
	ds_write_b96 v9, v[2:4] offset:20
	ds_write_b16 v9, v5 offset:32
	s_waitcnt lgkmcnt(0)
	; wave barrier
	s_waitcnt lgkmcnt(0)
	ds_read_u16 v3, v0
	ds_read_u16 v4, v0 offset:128
	ds_read_u16 v5, v0 offset:256
	;; [unrolled: 1-line block ×16, first 2 shown]
	s_addc_u32 s3, s5, s3
	v_mov_b32_e32 v0, s3
	v_add_co_u32_e32 v12, vcc, s2, v1
	v_addc_co_u32_e32 v13, vcc, 0, v0, vcc
	s_or_b64 s[0:1], s[0:1], exec
	s_waitcnt lgkmcnt(14)
	global_store_short v1, v3, s[2:3]
	global_store_short v1, v4, s[2:3] offset:128
	global_store_short v1, v5, s[2:3] offset:256
	s_waitcnt lgkmcnt(13)
	global_store_short v1, v6, s[2:3] offset:384
	s_waitcnt lgkmcnt(12)
	;; [unrolled: 2-line block ×13, first 2 shown]
	global_store_short v1, v20, s[2:3] offset:1920
.LBB317_93:
	s_and_saveexec_b64 s[2:3], s[0:1]
	s_cbranch_execnz .LBB317_95
; %bb.94:
	s_endpgm
.LBB317_95:
	s_waitcnt lgkmcnt(0)
	global_store_short v[12:13], v2, off offset:2048
	s_endpgm
	.section	.rodata,"a",@progbits
	.p2align	6, 0x0
	.amdhsa_kernel _ZN7rocprim17ROCPRIM_400000_NS6detail17trampoline_kernelINS0_14default_configENS1_35adjacent_difference_config_selectorILb0EtEEZNS1_24adjacent_difference_implIS3_Lb0ELb0EPtS7_N6thrust23THRUST_200600_302600_NS5minusItEEEE10hipError_tPvRmT2_T3_mT4_P12ihipStream_tbEUlT_E_NS1_11comp_targetILNS1_3genE4ELNS1_11target_archE910ELNS1_3gpuE8ELNS1_3repE0EEENS1_30default_config_static_selectorELNS0_4arch9wavefront6targetE1EEEvT1_
		.amdhsa_group_segment_fixed_size 2176
		.amdhsa_private_segment_fixed_size 0
		.amdhsa_kernarg_size 56
		.amdhsa_user_sgpr_count 6
		.amdhsa_user_sgpr_private_segment_buffer 1
		.amdhsa_user_sgpr_dispatch_ptr 0
		.amdhsa_user_sgpr_queue_ptr 0
		.amdhsa_user_sgpr_kernarg_segment_ptr 1
		.amdhsa_user_sgpr_dispatch_id 0
		.amdhsa_user_sgpr_flat_scratch_init 0
		.amdhsa_user_sgpr_kernarg_preload_length 0
		.amdhsa_user_sgpr_kernarg_preload_offset 0
		.amdhsa_user_sgpr_private_segment_size 0
		.amdhsa_uses_dynamic_stack 0
		.amdhsa_system_sgpr_private_segment_wavefront_offset 0
		.amdhsa_system_sgpr_workgroup_id_x 1
		.amdhsa_system_sgpr_workgroup_id_y 0
		.amdhsa_system_sgpr_workgroup_id_z 0
		.amdhsa_system_sgpr_workgroup_info 0
		.amdhsa_system_vgpr_workitem_id 0
		.amdhsa_next_free_vgpr 34
		.amdhsa_next_free_sgpr 23
		.amdhsa_accum_offset 36
		.amdhsa_reserve_vcc 1
		.amdhsa_reserve_flat_scratch 0
		.amdhsa_float_round_mode_32 0
		.amdhsa_float_round_mode_16_64 0
		.amdhsa_float_denorm_mode_32 3
		.amdhsa_float_denorm_mode_16_64 3
		.amdhsa_dx10_clamp 1
		.amdhsa_ieee_mode 1
		.amdhsa_fp16_overflow 0
		.amdhsa_tg_split 0
		.amdhsa_exception_fp_ieee_invalid_op 0
		.amdhsa_exception_fp_denorm_src 0
		.amdhsa_exception_fp_ieee_div_zero 0
		.amdhsa_exception_fp_ieee_overflow 0
		.amdhsa_exception_fp_ieee_underflow 0
		.amdhsa_exception_fp_ieee_inexact 0
		.amdhsa_exception_int_div_zero 0
	.end_amdhsa_kernel
	.section	.text._ZN7rocprim17ROCPRIM_400000_NS6detail17trampoline_kernelINS0_14default_configENS1_35adjacent_difference_config_selectorILb0EtEEZNS1_24adjacent_difference_implIS3_Lb0ELb0EPtS7_N6thrust23THRUST_200600_302600_NS5minusItEEEE10hipError_tPvRmT2_T3_mT4_P12ihipStream_tbEUlT_E_NS1_11comp_targetILNS1_3genE4ELNS1_11target_archE910ELNS1_3gpuE8ELNS1_3repE0EEENS1_30default_config_static_selectorELNS0_4arch9wavefront6targetE1EEEvT1_,"axG",@progbits,_ZN7rocprim17ROCPRIM_400000_NS6detail17trampoline_kernelINS0_14default_configENS1_35adjacent_difference_config_selectorILb0EtEEZNS1_24adjacent_difference_implIS3_Lb0ELb0EPtS7_N6thrust23THRUST_200600_302600_NS5minusItEEEE10hipError_tPvRmT2_T3_mT4_P12ihipStream_tbEUlT_E_NS1_11comp_targetILNS1_3genE4ELNS1_11target_archE910ELNS1_3gpuE8ELNS1_3repE0EEENS1_30default_config_static_selectorELNS0_4arch9wavefront6targetE1EEEvT1_,comdat
.Lfunc_end317:
	.size	_ZN7rocprim17ROCPRIM_400000_NS6detail17trampoline_kernelINS0_14default_configENS1_35adjacent_difference_config_selectorILb0EtEEZNS1_24adjacent_difference_implIS3_Lb0ELb0EPtS7_N6thrust23THRUST_200600_302600_NS5minusItEEEE10hipError_tPvRmT2_T3_mT4_P12ihipStream_tbEUlT_E_NS1_11comp_targetILNS1_3genE4ELNS1_11target_archE910ELNS1_3gpuE8ELNS1_3repE0EEENS1_30default_config_static_selectorELNS0_4arch9wavefront6targetE1EEEvT1_, .Lfunc_end317-_ZN7rocprim17ROCPRIM_400000_NS6detail17trampoline_kernelINS0_14default_configENS1_35adjacent_difference_config_selectorILb0EtEEZNS1_24adjacent_difference_implIS3_Lb0ELb0EPtS7_N6thrust23THRUST_200600_302600_NS5minusItEEEE10hipError_tPvRmT2_T3_mT4_P12ihipStream_tbEUlT_E_NS1_11comp_targetILNS1_3genE4ELNS1_11target_archE910ELNS1_3gpuE8ELNS1_3repE0EEENS1_30default_config_static_selectorELNS0_4arch9wavefront6targetE1EEEvT1_
                                        ; -- End function
	.section	.AMDGPU.csdata,"",@progbits
; Kernel info:
; codeLenInByte = 4412
; NumSgprs: 27
; NumVgprs: 34
; NumAgprs: 0
; TotalNumVgprs: 34
; ScratchSize: 0
; MemoryBound: 0
; FloatMode: 240
; IeeeMode: 1
; LDSByteSize: 2176 bytes/workgroup (compile time only)
; SGPRBlocks: 3
; VGPRBlocks: 4
; NumSGPRsForWavesPerEU: 27
; NumVGPRsForWavesPerEU: 34
; AccumOffset: 36
; Occupancy: 8
; WaveLimiterHint : 1
; COMPUTE_PGM_RSRC2:SCRATCH_EN: 0
; COMPUTE_PGM_RSRC2:USER_SGPR: 6
; COMPUTE_PGM_RSRC2:TRAP_HANDLER: 0
; COMPUTE_PGM_RSRC2:TGID_X_EN: 1
; COMPUTE_PGM_RSRC2:TGID_Y_EN: 0
; COMPUTE_PGM_RSRC2:TGID_Z_EN: 0
; COMPUTE_PGM_RSRC2:TIDIG_COMP_CNT: 0
; COMPUTE_PGM_RSRC3_GFX90A:ACCUM_OFFSET: 8
; COMPUTE_PGM_RSRC3_GFX90A:TG_SPLIT: 0
	.section	.text._ZN7rocprim17ROCPRIM_400000_NS6detail17trampoline_kernelINS0_14default_configENS1_35adjacent_difference_config_selectorILb0EtEEZNS1_24adjacent_difference_implIS3_Lb0ELb0EPtS7_N6thrust23THRUST_200600_302600_NS5minusItEEEE10hipError_tPvRmT2_T3_mT4_P12ihipStream_tbEUlT_E_NS1_11comp_targetILNS1_3genE3ELNS1_11target_archE908ELNS1_3gpuE7ELNS1_3repE0EEENS1_30default_config_static_selectorELNS0_4arch9wavefront6targetE1EEEvT1_,"axG",@progbits,_ZN7rocprim17ROCPRIM_400000_NS6detail17trampoline_kernelINS0_14default_configENS1_35adjacent_difference_config_selectorILb0EtEEZNS1_24adjacent_difference_implIS3_Lb0ELb0EPtS7_N6thrust23THRUST_200600_302600_NS5minusItEEEE10hipError_tPvRmT2_T3_mT4_P12ihipStream_tbEUlT_E_NS1_11comp_targetILNS1_3genE3ELNS1_11target_archE908ELNS1_3gpuE7ELNS1_3repE0EEENS1_30default_config_static_selectorELNS0_4arch9wavefront6targetE1EEEvT1_,comdat
	.protected	_ZN7rocprim17ROCPRIM_400000_NS6detail17trampoline_kernelINS0_14default_configENS1_35adjacent_difference_config_selectorILb0EtEEZNS1_24adjacent_difference_implIS3_Lb0ELb0EPtS7_N6thrust23THRUST_200600_302600_NS5minusItEEEE10hipError_tPvRmT2_T3_mT4_P12ihipStream_tbEUlT_E_NS1_11comp_targetILNS1_3genE3ELNS1_11target_archE908ELNS1_3gpuE7ELNS1_3repE0EEENS1_30default_config_static_selectorELNS0_4arch9wavefront6targetE1EEEvT1_ ; -- Begin function _ZN7rocprim17ROCPRIM_400000_NS6detail17trampoline_kernelINS0_14default_configENS1_35adjacent_difference_config_selectorILb0EtEEZNS1_24adjacent_difference_implIS3_Lb0ELb0EPtS7_N6thrust23THRUST_200600_302600_NS5minusItEEEE10hipError_tPvRmT2_T3_mT4_P12ihipStream_tbEUlT_E_NS1_11comp_targetILNS1_3genE3ELNS1_11target_archE908ELNS1_3gpuE7ELNS1_3repE0EEENS1_30default_config_static_selectorELNS0_4arch9wavefront6targetE1EEEvT1_
	.globl	_ZN7rocprim17ROCPRIM_400000_NS6detail17trampoline_kernelINS0_14default_configENS1_35adjacent_difference_config_selectorILb0EtEEZNS1_24adjacent_difference_implIS3_Lb0ELb0EPtS7_N6thrust23THRUST_200600_302600_NS5minusItEEEE10hipError_tPvRmT2_T3_mT4_P12ihipStream_tbEUlT_E_NS1_11comp_targetILNS1_3genE3ELNS1_11target_archE908ELNS1_3gpuE7ELNS1_3repE0EEENS1_30default_config_static_selectorELNS0_4arch9wavefront6targetE1EEEvT1_
	.p2align	8
	.type	_ZN7rocprim17ROCPRIM_400000_NS6detail17trampoline_kernelINS0_14default_configENS1_35adjacent_difference_config_selectorILb0EtEEZNS1_24adjacent_difference_implIS3_Lb0ELb0EPtS7_N6thrust23THRUST_200600_302600_NS5minusItEEEE10hipError_tPvRmT2_T3_mT4_P12ihipStream_tbEUlT_E_NS1_11comp_targetILNS1_3genE3ELNS1_11target_archE908ELNS1_3gpuE7ELNS1_3repE0EEENS1_30default_config_static_selectorELNS0_4arch9wavefront6targetE1EEEvT1_,@function
_ZN7rocprim17ROCPRIM_400000_NS6detail17trampoline_kernelINS0_14default_configENS1_35adjacent_difference_config_selectorILb0EtEEZNS1_24adjacent_difference_implIS3_Lb0ELb0EPtS7_N6thrust23THRUST_200600_302600_NS5minusItEEEE10hipError_tPvRmT2_T3_mT4_P12ihipStream_tbEUlT_E_NS1_11comp_targetILNS1_3genE3ELNS1_11target_archE908ELNS1_3gpuE7ELNS1_3repE0EEENS1_30default_config_static_selectorELNS0_4arch9wavefront6targetE1EEEvT1_: ; @_ZN7rocprim17ROCPRIM_400000_NS6detail17trampoline_kernelINS0_14default_configENS1_35adjacent_difference_config_selectorILb0EtEEZNS1_24adjacent_difference_implIS3_Lb0ELb0EPtS7_N6thrust23THRUST_200600_302600_NS5minusItEEEE10hipError_tPvRmT2_T3_mT4_P12ihipStream_tbEUlT_E_NS1_11comp_targetILNS1_3genE3ELNS1_11target_archE908ELNS1_3gpuE7ELNS1_3repE0EEENS1_30default_config_static_selectorELNS0_4arch9wavefront6targetE1EEEvT1_
; %bb.0:
	.section	.rodata,"a",@progbits
	.p2align	6, 0x0
	.amdhsa_kernel _ZN7rocprim17ROCPRIM_400000_NS6detail17trampoline_kernelINS0_14default_configENS1_35adjacent_difference_config_selectorILb0EtEEZNS1_24adjacent_difference_implIS3_Lb0ELb0EPtS7_N6thrust23THRUST_200600_302600_NS5minusItEEEE10hipError_tPvRmT2_T3_mT4_P12ihipStream_tbEUlT_E_NS1_11comp_targetILNS1_3genE3ELNS1_11target_archE908ELNS1_3gpuE7ELNS1_3repE0EEENS1_30default_config_static_selectorELNS0_4arch9wavefront6targetE1EEEvT1_
		.amdhsa_group_segment_fixed_size 0
		.amdhsa_private_segment_fixed_size 0
		.amdhsa_kernarg_size 56
		.amdhsa_user_sgpr_count 6
		.amdhsa_user_sgpr_private_segment_buffer 1
		.amdhsa_user_sgpr_dispatch_ptr 0
		.amdhsa_user_sgpr_queue_ptr 0
		.amdhsa_user_sgpr_kernarg_segment_ptr 1
		.amdhsa_user_sgpr_dispatch_id 0
		.amdhsa_user_sgpr_flat_scratch_init 0
		.amdhsa_user_sgpr_kernarg_preload_length 0
		.amdhsa_user_sgpr_kernarg_preload_offset 0
		.amdhsa_user_sgpr_private_segment_size 0
		.amdhsa_uses_dynamic_stack 0
		.amdhsa_system_sgpr_private_segment_wavefront_offset 0
		.amdhsa_system_sgpr_workgroup_id_x 1
		.amdhsa_system_sgpr_workgroup_id_y 0
		.amdhsa_system_sgpr_workgroup_id_z 0
		.amdhsa_system_sgpr_workgroup_info 0
		.amdhsa_system_vgpr_workitem_id 0
		.amdhsa_next_free_vgpr 1
		.amdhsa_next_free_sgpr 0
		.amdhsa_accum_offset 4
		.amdhsa_reserve_vcc 0
		.amdhsa_reserve_flat_scratch 0
		.amdhsa_float_round_mode_32 0
		.amdhsa_float_round_mode_16_64 0
		.amdhsa_float_denorm_mode_32 3
		.amdhsa_float_denorm_mode_16_64 3
		.amdhsa_dx10_clamp 1
		.amdhsa_ieee_mode 1
		.amdhsa_fp16_overflow 0
		.amdhsa_tg_split 0
		.amdhsa_exception_fp_ieee_invalid_op 0
		.amdhsa_exception_fp_denorm_src 0
		.amdhsa_exception_fp_ieee_div_zero 0
		.amdhsa_exception_fp_ieee_overflow 0
		.amdhsa_exception_fp_ieee_underflow 0
		.amdhsa_exception_fp_ieee_inexact 0
		.amdhsa_exception_int_div_zero 0
	.end_amdhsa_kernel
	.section	.text._ZN7rocprim17ROCPRIM_400000_NS6detail17trampoline_kernelINS0_14default_configENS1_35adjacent_difference_config_selectorILb0EtEEZNS1_24adjacent_difference_implIS3_Lb0ELb0EPtS7_N6thrust23THRUST_200600_302600_NS5minusItEEEE10hipError_tPvRmT2_T3_mT4_P12ihipStream_tbEUlT_E_NS1_11comp_targetILNS1_3genE3ELNS1_11target_archE908ELNS1_3gpuE7ELNS1_3repE0EEENS1_30default_config_static_selectorELNS0_4arch9wavefront6targetE1EEEvT1_,"axG",@progbits,_ZN7rocprim17ROCPRIM_400000_NS6detail17trampoline_kernelINS0_14default_configENS1_35adjacent_difference_config_selectorILb0EtEEZNS1_24adjacent_difference_implIS3_Lb0ELb0EPtS7_N6thrust23THRUST_200600_302600_NS5minusItEEEE10hipError_tPvRmT2_T3_mT4_P12ihipStream_tbEUlT_E_NS1_11comp_targetILNS1_3genE3ELNS1_11target_archE908ELNS1_3gpuE7ELNS1_3repE0EEENS1_30default_config_static_selectorELNS0_4arch9wavefront6targetE1EEEvT1_,comdat
.Lfunc_end318:
	.size	_ZN7rocprim17ROCPRIM_400000_NS6detail17trampoline_kernelINS0_14default_configENS1_35adjacent_difference_config_selectorILb0EtEEZNS1_24adjacent_difference_implIS3_Lb0ELb0EPtS7_N6thrust23THRUST_200600_302600_NS5minusItEEEE10hipError_tPvRmT2_T3_mT4_P12ihipStream_tbEUlT_E_NS1_11comp_targetILNS1_3genE3ELNS1_11target_archE908ELNS1_3gpuE7ELNS1_3repE0EEENS1_30default_config_static_selectorELNS0_4arch9wavefront6targetE1EEEvT1_, .Lfunc_end318-_ZN7rocprim17ROCPRIM_400000_NS6detail17trampoline_kernelINS0_14default_configENS1_35adjacent_difference_config_selectorILb0EtEEZNS1_24adjacent_difference_implIS3_Lb0ELb0EPtS7_N6thrust23THRUST_200600_302600_NS5minusItEEEE10hipError_tPvRmT2_T3_mT4_P12ihipStream_tbEUlT_E_NS1_11comp_targetILNS1_3genE3ELNS1_11target_archE908ELNS1_3gpuE7ELNS1_3repE0EEENS1_30default_config_static_selectorELNS0_4arch9wavefront6targetE1EEEvT1_
                                        ; -- End function
	.section	.AMDGPU.csdata,"",@progbits
; Kernel info:
; codeLenInByte = 0
; NumSgprs: 4
; NumVgprs: 0
; NumAgprs: 0
; TotalNumVgprs: 0
; ScratchSize: 0
; MemoryBound: 0
; FloatMode: 240
; IeeeMode: 1
; LDSByteSize: 0 bytes/workgroup (compile time only)
; SGPRBlocks: 0
; VGPRBlocks: 0
; NumSGPRsForWavesPerEU: 4
; NumVGPRsForWavesPerEU: 1
; AccumOffset: 4
; Occupancy: 8
; WaveLimiterHint : 0
; COMPUTE_PGM_RSRC2:SCRATCH_EN: 0
; COMPUTE_PGM_RSRC2:USER_SGPR: 6
; COMPUTE_PGM_RSRC2:TRAP_HANDLER: 0
; COMPUTE_PGM_RSRC2:TGID_X_EN: 1
; COMPUTE_PGM_RSRC2:TGID_Y_EN: 0
; COMPUTE_PGM_RSRC2:TGID_Z_EN: 0
; COMPUTE_PGM_RSRC2:TIDIG_COMP_CNT: 0
; COMPUTE_PGM_RSRC3_GFX90A:ACCUM_OFFSET: 0
; COMPUTE_PGM_RSRC3_GFX90A:TG_SPLIT: 0
	.section	.text._ZN7rocprim17ROCPRIM_400000_NS6detail17trampoline_kernelINS0_14default_configENS1_35adjacent_difference_config_selectorILb0EtEEZNS1_24adjacent_difference_implIS3_Lb0ELb0EPtS7_N6thrust23THRUST_200600_302600_NS5minusItEEEE10hipError_tPvRmT2_T3_mT4_P12ihipStream_tbEUlT_E_NS1_11comp_targetILNS1_3genE2ELNS1_11target_archE906ELNS1_3gpuE6ELNS1_3repE0EEENS1_30default_config_static_selectorELNS0_4arch9wavefront6targetE1EEEvT1_,"axG",@progbits,_ZN7rocprim17ROCPRIM_400000_NS6detail17trampoline_kernelINS0_14default_configENS1_35adjacent_difference_config_selectorILb0EtEEZNS1_24adjacent_difference_implIS3_Lb0ELb0EPtS7_N6thrust23THRUST_200600_302600_NS5minusItEEEE10hipError_tPvRmT2_T3_mT4_P12ihipStream_tbEUlT_E_NS1_11comp_targetILNS1_3genE2ELNS1_11target_archE906ELNS1_3gpuE6ELNS1_3repE0EEENS1_30default_config_static_selectorELNS0_4arch9wavefront6targetE1EEEvT1_,comdat
	.protected	_ZN7rocprim17ROCPRIM_400000_NS6detail17trampoline_kernelINS0_14default_configENS1_35adjacent_difference_config_selectorILb0EtEEZNS1_24adjacent_difference_implIS3_Lb0ELb0EPtS7_N6thrust23THRUST_200600_302600_NS5minusItEEEE10hipError_tPvRmT2_T3_mT4_P12ihipStream_tbEUlT_E_NS1_11comp_targetILNS1_3genE2ELNS1_11target_archE906ELNS1_3gpuE6ELNS1_3repE0EEENS1_30default_config_static_selectorELNS0_4arch9wavefront6targetE1EEEvT1_ ; -- Begin function _ZN7rocprim17ROCPRIM_400000_NS6detail17trampoline_kernelINS0_14default_configENS1_35adjacent_difference_config_selectorILb0EtEEZNS1_24adjacent_difference_implIS3_Lb0ELb0EPtS7_N6thrust23THRUST_200600_302600_NS5minusItEEEE10hipError_tPvRmT2_T3_mT4_P12ihipStream_tbEUlT_E_NS1_11comp_targetILNS1_3genE2ELNS1_11target_archE906ELNS1_3gpuE6ELNS1_3repE0EEENS1_30default_config_static_selectorELNS0_4arch9wavefront6targetE1EEEvT1_
	.globl	_ZN7rocprim17ROCPRIM_400000_NS6detail17trampoline_kernelINS0_14default_configENS1_35adjacent_difference_config_selectorILb0EtEEZNS1_24adjacent_difference_implIS3_Lb0ELb0EPtS7_N6thrust23THRUST_200600_302600_NS5minusItEEEE10hipError_tPvRmT2_T3_mT4_P12ihipStream_tbEUlT_E_NS1_11comp_targetILNS1_3genE2ELNS1_11target_archE906ELNS1_3gpuE6ELNS1_3repE0EEENS1_30default_config_static_selectorELNS0_4arch9wavefront6targetE1EEEvT1_
	.p2align	8
	.type	_ZN7rocprim17ROCPRIM_400000_NS6detail17trampoline_kernelINS0_14default_configENS1_35adjacent_difference_config_selectorILb0EtEEZNS1_24adjacent_difference_implIS3_Lb0ELb0EPtS7_N6thrust23THRUST_200600_302600_NS5minusItEEEE10hipError_tPvRmT2_T3_mT4_P12ihipStream_tbEUlT_E_NS1_11comp_targetILNS1_3genE2ELNS1_11target_archE906ELNS1_3gpuE6ELNS1_3repE0EEENS1_30default_config_static_selectorELNS0_4arch9wavefront6targetE1EEEvT1_,@function
_ZN7rocprim17ROCPRIM_400000_NS6detail17trampoline_kernelINS0_14default_configENS1_35adjacent_difference_config_selectorILb0EtEEZNS1_24adjacent_difference_implIS3_Lb0ELb0EPtS7_N6thrust23THRUST_200600_302600_NS5minusItEEEE10hipError_tPvRmT2_T3_mT4_P12ihipStream_tbEUlT_E_NS1_11comp_targetILNS1_3genE2ELNS1_11target_archE906ELNS1_3gpuE6ELNS1_3repE0EEENS1_30default_config_static_selectorELNS0_4arch9wavefront6targetE1EEEvT1_: ; @_ZN7rocprim17ROCPRIM_400000_NS6detail17trampoline_kernelINS0_14default_configENS1_35adjacent_difference_config_selectorILb0EtEEZNS1_24adjacent_difference_implIS3_Lb0ELb0EPtS7_N6thrust23THRUST_200600_302600_NS5minusItEEEE10hipError_tPvRmT2_T3_mT4_P12ihipStream_tbEUlT_E_NS1_11comp_targetILNS1_3genE2ELNS1_11target_archE906ELNS1_3gpuE6ELNS1_3repE0EEENS1_30default_config_static_selectorELNS0_4arch9wavefront6targetE1EEEvT1_
; %bb.0:
	.section	.rodata,"a",@progbits
	.p2align	6, 0x0
	.amdhsa_kernel _ZN7rocprim17ROCPRIM_400000_NS6detail17trampoline_kernelINS0_14default_configENS1_35adjacent_difference_config_selectorILb0EtEEZNS1_24adjacent_difference_implIS3_Lb0ELb0EPtS7_N6thrust23THRUST_200600_302600_NS5minusItEEEE10hipError_tPvRmT2_T3_mT4_P12ihipStream_tbEUlT_E_NS1_11comp_targetILNS1_3genE2ELNS1_11target_archE906ELNS1_3gpuE6ELNS1_3repE0EEENS1_30default_config_static_selectorELNS0_4arch9wavefront6targetE1EEEvT1_
		.amdhsa_group_segment_fixed_size 0
		.amdhsa_private_segment_fixed_size 0
		.amdhsa_kernarg_size 56
		.amdhsa_user_sgpr_count 6
		.amdhsa_user_sgpr_private_segment_buffer 1
		.amdhsa_user_sgpr_dispatch_ptr 0
		.amdhsa_user_sgpr_queue_ptr 0
		.amdhsa_user_sgpr_kernarg_segment_ptr 1
		.amdhsa_user_sgpr_dispatch_id 0
		.amdhsa_user_sgpr_flat_scratch_init 0
		.amdhsa_user_sgpr_kernarg_preload_length 0
		.amdhsa_user_sgpr_kernarg_preload_offset 0
		.amdhsa_user_sgpr_private_segment_size 0
		.amdhsa_uses_dynamic_stack 0
		.amdhsa_system_sgpr_private_segment_wavefront_offset 0
		.amdhsa_system_sgpr_workgroup_id_x 1
		.amdhsa_system_sgpr_workgroup_id_y 0
		.amdhsa_system_sgpr_workgroup_id_z 0
		.amdhsa_system_sgpr_workgroup_info 0
		.amdhsa_system_vgpr_workitem_id 0
		.amdhsa_next_free_vgpr 1
		.amdhsa_next_free_sgpr 0
		.amdhsa_accum_offset 4
		.amdhsa_reserve_vcc 0
		.amdhsa_reserve_flat_scratch 0
		.amdhsa_float_round_mode_32 0
		.amdhsa_float_round_mode_16_64 0
		.amdhsa_float_denorm_mode_32 3
		.amdhsa_float_denorm_mode_16_64 3
		.amdhsa_dx10_clamp 1
		.amdhsa_ieee_mode 1
		.amdhsa_fp16_overflow 0
		.amdhsa_tg_split 0
		.amdhsa_exception_fp_ieee_invalid_op 0
		.amdhsa_exception_fp_denorm_src 0
		.amdhsa_exception_fp_ieee_div_zero 0
		.amdhsa_exception_fp_ieee_overflow 0
		.amdhsa_exception_fp_ieee_underflow 0
		.amdhsa_exception_fp_ieee_inexact 0
		.amdhsa_exception_int_div_zero 0
	.end_amdhsa_kernel
	.section	.text._ZN7rocprim17ROCPRIM_400000_NS6detail17trampoline_kernelINS0_14default_configENS1_35adjacent_difference_config_selectorILb0EtEEZNS1_24adjacent_difference_implIS3_Lb0ELb0EPtS7_N6thrust23THRUST_200600_302600_NS5minusItEEEE10hipError_tPvRmT2_T3_mT4_P12ihipStream_tbEUlT_E_NS1_11comp_targetILNS1_3genE2ELNS1_11target_archE906ELNS1_3gpuE6ELNS1_3repE0EEENS1_30default_config_static_selectorELNS0_4arch9wavefront6targetE1EEEvT1_,"axG",@progbits,_ZN7rocprim17ROCPRIM_400000_NS6detail17trampoline_kernelINS0_14default_configENS1_35adjacent_difference_config_selectorILb0EtEEZNS1_24adjacent_difference_implIS3_Lb0ELb0EPtS7_N6thrust23THRUST_200600_302600_NS5minusItEEEE10hipError_tPvRmT2_T3_mT4_P12ihipStream_tbEUlT_E_NS1_11comp_targetILNS1_3genE2ELNS1_11target_archE906ELNS1_3gpuE6ELNS1_3repE0EEENS1_30default_config_static_selectorELNS0_4arch9wavefront6targetE1EEEvT1_,comdat
.Lfunc_end319:
	.size	_ZN7rocprim17ROCPRIM_400000_NS6detail17trampoline_kernelINS0_14default_configENS1_35adjacent_difference_config_selectorILb0EtEEZNS1_24adjacent_difference_implIS3_Lb0ELb0EPtS7_N6thrust23THRUST_200600_302600_NS5minusItEEEE10hipError_tPvRmT2_T3_mT4_P12ihipStream_tbEUlT_E_NS1_11comp_targetILNS1_3genE2ELNS1_11target_archE906ELNS1_3gpuE6ELNS1_3repE0EEENS1_30default_config_static_selectorELNS0_4arch9wavefront6targetE1EEEvT1_, .Lfunc_end319-_ZN7rocprim17ROCPRIM_400000_NS6detail17trampoline_kernelINS0_14default_configENS1_35adjacent_difference_config_selectorILb0EtEEZNS1_24adjacent_difference_implIS3_Lb0ELb0EPtS7_N6thrust23THRUST_200600_302600_NS5minusItEEEE10hipError_tPvRmT2_T3_mT4_P12ihipStream_tbEUlT_E_NS1_11comp_targetILNS1_3genE2ELNS1_11target_archE906ELNS1_3gpuE6ELNS1_3repE0EEENS1_30default_config_static_selectorELNS0_4arch9wavefront6targetE1EEEvT1_
                                        ; -- End function
	.section	.AMDGPU.csdata,"",@progbits
; Kernel info:
; codeLenInByte = 0
; NumSgprs: 4
; NumVgprs: 0
; NumAgprs: 0
; TotalNumVgprs: 0
; ScratchSize: 0
; MemoryBound: 0
; FloatMode: 240
; IeeeMode: 1
; LDSByteSize: 0 bytes/workgroup (compile time only)
; SGPRBlocks: 0
; VGPRBlocks: 0
; NumSGPRsForWavesPerEU: 4
; NumVGPRsForWavesPerEU: 1
; AccumOffset: 4
; Occupancy: 8
; WaveLimiterHint : 0
; COMPUTE_PGM_RSRC2:SCRATCH_EN: 0
; COMPUTE_PGM_RSRC2:USER_SGPR: 6
; COMPUTE_PGM_RSRC2:TRAP_HANDLER: 0
; COMPUTE_PGM_RSRC2:TGID_X_EN: 1
; COMPUTE_PGM_RSRC2:TGID_Y_EN: 0
; COMPUTE_PGM_RSRC2:TGID_Z_EN: 0
; COMPUTE_PGM_RSRC2:TIDIG_COMP_CNT: 0
; COMPUTE_PGM_RSRC3_GFX90A:ACCUM_OFFSET: 0
; COMPUTE_PGM_RSRC3_GFX90A:TG_SPLIT: 0
	.section	.text._ZN7rocprim17ROCPRIM_400000_NS6detail17trampoline_kernelINS0_14default_configENS1_35adjacent_difference_config_selectorILb0EtEEZNS1_24adjacent_difference_implIS3_Lb0ELb0EPtS7_N6thrust23THRUST_200600_302600_NS5minusItEEEE10hipError_tPvRmT2_T3_mT4_P12ihipStream_tbEUlT_E_NS1_11comp_targetILNS1_3genE9ELNS1_11target_archE1100ELNS1_3gpuE3ELNS1_3repE0EEENS1_30default_config_static_selectorELNS0_4arch9wavefront6targetE1EEEvT1_,"axG",@progbits,_ZN7rocprim17ROCPRIM_400000_NS6detail17trampoline_kernelINS0_14default_configENS1_35adjacent_difference_config_selectorILb0EtEEZNS1_24adjacent_difference_implIS3_Lb0ELb0EPtS7_N6thrust23THRUST_200600_302600_NS5minusItEEEE10hipError_tPvRmT2_T3_mT4_P12ihipStream_tbEUlT_E_NS1_11comp_targetILNS1_3genE9ELNS1_11target_archE1100ELNS1_3gpuE3ELNS1_3repE0EEENS1_30default_config_static_selectorELNS0_4arch9wavefront6targetE1EEEvT1_,comdat
	.protected	_ZN7rocprim17ROCPRIM_400000_NS6detail17trampoline_kernelINS0_14default_configENS1_35adjacent_difference_config_selectorILb0EtEEZNS1_24adjacent_difference_implIS3_Lb0ELb0EPtS7_N6thrust23THRUST_200600_302600_NS5minusItEEEE10hipError_tPvRmT2_T3_mT4_P12ihipStream_tbEUlT_E_NS1_11comp_targetILNS1_3genE9ELNS1_11target_archE1100ELNS1_3gpuE3ELNS1_3repE0EEENS1_30default_config_static_selectorELNS0_4arch9wavefront6targetE1EEEvT1_ ; -- Begin function _ZN7rocprim17ROCPRIM_400000_NS6detail17trampoline_kernelINS0_14default_configENS1_35adjacent_difference_config_selectorILb0EtEEZNS1_24adjacent_difference_implIS3_Lb0ELb0EPtS7_N6thrust23THRUST_200600_302600_NS5minusItEEEE10hipError_tPvRmT2_T3_mT4_P12ihipStream_tbEUlT_E_NS1_11comp_targetILNS1_3genE9ELNS1_11target_archE1100ELNS1_3gpuE3ELNS1_3repE0EEENS1_30default_config_static_selectorELNS0_4arch9wavefront6targetE1EEEvT1_
	.globl	_ZN7rocprim17ROCPRIM_400000_NS6detail17trampoline_kernelINS0_14default_configENS1_35adjacent_difference_config_selectorILb0EtEEZNS1_24adjacent_difference_implIS3_Lb0ELb0EPtS7_N6thrust23THRUST_200600_302600_NS5minusItEEEE10hipError_tPvRmT2_T3_mT4_P12ihipStream_tbEUlT_E_NS1_11comp_targetILNS1_3genE9ELNS1_11target_archE1100ELNS1_3gpuE3ELNS1_3repE0EEENS1_30default_config_static_selectorELNS0_4arch9wavefront6targetE1EEEvT1_
	.p2align	8
	.type	_ZN7rocprim17ROCPRIM_400000_NS6detail17trampoline_kernelINS0_14default_configENS1_35adjacent_difference_config_selectorILb0EtEEZNS1_24adjacent_difference_implIS3_Lb0ELb0EPtS7_N6thrust23THRUST_200600_302600_NS5minusItEEEE10hipError_tPvRmT2_T3_mT4_P12ihipStream_tbEUlT_E_NS1_11comp_targetILNS1_3genE9ELNS1_11target_archE1100ELNS1_3gpuE3ELNS1_3repE0EEENS1_30default_config_static_selectorELNS0_4arch9wavefront6targetE1EEEvT1_,@function
_ZN7rocprim17ROCPRIM_400000_NS6detail17trampoline_kernelINS0_14default_configENS1_35adjacent_difference_config_selectorILb0EtEEZNS1_24adjacent_difference_implIS3_Lb0ELb0EPtS7_N6thrust23THRUST_200600_302600_NS5minusItEEEE10hipError_tPvRmT2_T3_mT4_P12ihipStream_tbEUlT_E_NS1_11comp_targetILNS1_3genE9ELNS1_11target_archE1100ELNS1_3gpuE3ELNS1_3repE0EEENS1_30default_config_static_selectorELNS0_4arch9wavefront6targetE1EEEvT1_: ; @_ZN7rocprim17ROCPRIM_400000_NS6detail17trampoline_kernelINS0_14default_configENS1_35adjacent_difference_config_selectorILb0EtEEZNS1_24adjacent_difference_implIS3_Lb0ELb0EPtS7_N6thrust23THRUST_200600_302600_NS5minusItEEEE10hipError_tPvRmT2_T3_mT4_P12ihipStream_tbEUlT_E_NS1_11comp_targetILNS1_3genE9ELNS1_11target_archE1100ELNS1_3gpuE3ELNS1_3repE0EEENS1_30default_config_static_selectorELNS0_4arch9wavefront6targetE1EEEvT1_
; %bb.0:
	.section	.rodata,"a",@progbits
	.p2align	6, 0x0
	.amdhsa_kernel _ZN7rocprim17ROCPRIM_400000_NS6detail17trampoline_kernelINS0_14default_configENS1_35adjacent_difference_config_selectorILb0EtEEZNS1_24adjacent_difference_implIS3_Lb0ELb0EPtS7_N6thrust23THRUST_200600_302600_NS5minusItEEEE10hipError_tPvRmT2_T3_mT4_P12ihipStream_tbEUlT_E_NS1_11comp_targetILNS1_3genE9ELNS1_11target_archE1100ELNS1_3gpuE3ELNS1_3repE0EEENS1_30default_config_static_selectorELNS0_4arch9wavefront6targetE1EEEvT1_
		.amdhsa_group_segment_fixed_size 0
		.amdhsa_private_segment_fixed_size 0
		.amdhsa_kernarg_size 56
		.amdhsa_user_sgpr_count 6
		.amdhsa_user_sgpr_private_segment_buffer 1
		.amdhsa_user_sgpr_dispatch_ptr 0
		.amdhsa_user_sgpr_queue_ptr 0
		.amdhsa_user_sgpr_kernarg_segment_ptr 1
		.amdhsa_user_sgpr_dispatch_id 0
		.amdhsa_user_sgpr_flat_scratch_init 0
		.amdhsa_user_sgpr_kernarg_preload_length 0
		.amdhsa_user_sgpr_kernarg_preload_offset 0
		.amdhsa_user_sgpr_private_segment_size 0
		.amdhsa_uses_dynamic_stack 0
		.amdhsa_system_sgpr_private_segment_wavefront_offset 0
		.amdhsa_system_sgpr_workgroup_id_x 1
		.amdhsa_system_sgpr_workgroup_id_y 0
		.amdhsa_system_sgpr_workgroup_id_z 0
		.amdhsa_system_sgpr_workgroup_info 0
		.amdhsa_system_vgpr_workitem_id 0
		.amdhsa_next_free_vgpr 1
		.amdhsa_next_free_sgpr 0
		.amdhsa_accum_offset 4
		.amdhsa_reserve_vcc 0
		.amdhsa_reserve_flat_scratch 0
		.amdhsa_float_round_mode_32 0
		.amdhsa_float_round_mode_16_64 0
		.amdhsa_float_denorm_mode_32 3
		.amdhsa_float_denorm_mode_16_64 3
		.amdhsa_dx10_clamp 1
		.amdhsa_ieee_mode 1
		.amdhsa_fp16_overflow 0
		.amdhsa_tg_split 0
		.amdhsa_exception_fp_ieee_invalid_op 0
		.amdhsa_exception_fp_denorm_src 0
		.amdhsa_exception_fp_ieee_div_zero 0
		.amdhsa_exception_fp_ieee_overflow 0
		.amdhsa_exception_fp_ieee_underflow 0
		.amdhsa_exception_fp_ieee_inexact 0
		.amdhsa_exception_int_div_zero 0
	.end_amdhsa_kernel
	.section	.text._ZN7rocprim17ROCPRIM_400000_NS6detail17trampoline_kernelINS0_14default_configENS1_35adjacent_difference_config_selectorILb0EtEEZNS1_24adjacent_difference_implIS3_Lb0ELb0EPtS7_N6thrust23THRUST_200600_302600_NS5minusItEEEE10hipError_tPvRmT2_T3_mT4_P12ihipStream_tbEUlT_E_NS1_11comp_targetILNS1_3genE9ELNS1_11target_archE1100ELNS1_3gpuE3ELNS1_3repE0EEENS1_30default_config_static_selectorELNS0_4arch9wavefront6targetE1EEEvT1_,"axG",@progbits,_ZN7rocprim17ROCPRIM_400000_NS6detail17trampoline_kernelINS0_14default_configENS1_35adjacent_difference_config_selectorILb0EtEEZNS1_24adjacent_difference_implIS3_Lb0ELb0EPtS7_N6thrust23THRUST_200600_302600_NS5minusItEEEE10hipError_tPvRmT2_T3_mT4_P12ihipStream_tbEUlT_E_NS1_11comp_targetILNS1_3genE9ELNS1_11target_archE1100ELNS1_3gpuE3ELNS1_3repE0EEENS1_30default_config_static_selectorELNS0_4arch9wavefront6targetE1EEEvT1_,comdat
.Lfunc_end320:
	.size	_ZN7rocprim17ROCPRIM_400000_NS6detail17trampoline_kernelINS0_14default_configENS1_35adjacent_difference_config_selectorILb0EtEEZNS1_24adjacent_difference_implIS3_Lb0ELb0EPtS7_N6thrust23THRUST_200600_302600_NS5minusItEEEE10hipError_tPvRmT2_T3_mT4_P12ihipStream_tbEUlT_E_NS1_11comp_targetILNS1_3genE9ELNS1_11target_archE1100ELNS1_3gpuE3ELNS1_3repE0EEENS1_30default_config_static_selectorELNS0_4arch9wavefront6targetE1EEEvT1_, .Lfunc_end320-_ZN7rocprim17ROCPRIM_400000_NS6detail17trampoline_kernelINS0_14default_configENS1_35adjacent_difference_config_selectorILb0EtEEZNS1_24adjacent_difference_implIS3_Lb0ELb0EPtS7_N6thrust23THRUST_200600_302600_NS5minusItEEEE10hipError_tPvRmT2_T3_mT4_P12ihipStream_tbEUlT_E_NS1_11comp_targetILNS1_3genE9ELNS1_11target_archE1100ELNS1_3gpuE3ELNS1_3repE0EEENS1_30default_config_static_selectorELNS0_4arch9wavefront6targetE1EEEvT1_
                                        ; -- End function
	.section	.AMDGPU.csdata,"",@progbits
; Kernel info:
; codeLenInByte = 0
; NumSgprs: 4
; NumVgprs: 0
; NumAgprs: 0
; TotalNumVgprs: 0
; ScratchSize: 0
; MemoryBound: 0
; FloatMode: 240
; IeeeMode: 1
; LDSByteSize: 0 bytes/workgroup (compile time only)
; SGPRBlocks: 0
; VGPRBlocks: 0
; NumSGPRsForWavesPerEU: 4
; NumVGPRsForWavesPerEU: 1
; AccumOffset: 4
; Occupancy: 8
; WaveLimiterHint : 0
; COMPUTE_PGM_RSRC2:SCRATCH_EN: 0
; COMPUTE_PGM_RSRC2:USER_SGPR: 6
; COMPUTE_PGM_RSRC2:TRAP_HANDLER: 0
; COMPUTE_PGM_RSRC2:TGID_X_EN: 1
; COMPUTE_PGM_RSRC2:TGID_Y_EN: 0
; COMPUTE_PGM_RSRC2:TGID_Z_EN: 0
; COMPUTE_PGM_RSRC2:TIDIG_COMP_CNT: 0
; COMPUTE_PGM_RSRC3_GFX90A:ACCUM_OFFSET: 0
; COMPUTE_PGM_RSRC3_GFX90A:TG_SPLIT: 0
	.section	.text._ZN7rocprim17ROCPRIM_400000_NS6detail17trampoline_kernelINS0_14default_configENS1_35adjacent_difference_config_selectorILb0EtEEZNS1_24adjacent_difference_implIS3_Lb0ELb0EPtS7_N6thrust23THRUST_200600_302600_NS5minusItEEEE10hipError_tPvRmT2_T3_mT4_P12ihipStream_tbEUlT_E_NS1_11comp_targetILNS1_3genE8ELNS1_11target_archE1030ELNS1_3gpuE2ELNS1_3repE0EEENS1_30default_config_static_selectorELNS0_4arch9wavefront6targetE1EEEvT1_,"axG",@progbits,_ZN7rocprim17ROCPRIM_400000_NS6detail17trampoline_kernelINS0_14default_configENS1_35adjacent_difference_config_selectorILb0EtEEZNS1_24adjacent_difference_implIS3_Lb0ELb0EPtS7_N6thrust23THRUST_200600_302600_NS5minusItEEEE10hipError_tPvRmT2_T3_mT4_P12ihipStream_tbEUlT_E_NS1_11comp_targetILNS1_3genE8ELNS1_11target_archE1030ELNS1_3gpuE2ELNS1_3repE0EEENS1_30default_config_static_selectorELNS0_4arch9wavefront6targetE1EEEvT1_,comdat
	.protected	_ZN7rocprim17ROCPRIM_400000_NS6detail17trampoline_kernelINS0_14default_configENS1_35adjacent_difference_config_selectorILb0EtEEZNS1_24adjacent_difference_implIS3_Lb0ELb0EPtS7_N6thrust23THRUST_200600_302600_NS5minusItEEEE10hipError_tPvRmT2_T3_mT4_P12ihipStream_tbEUlT_E_NS1_11comp_targetILNS1_3genE8ELNS1_11target_archE1030ELNS1_3gpuE2ELNS1_3repE0EEENS1_30default_config_static_selectorELNS0_4arch9wavefront6targetE1EEEvT1_ ; -- Begin function _ZN7rocprim17ROCPRIM_400000_NS6detail17trampoline_kernelINS0_14default_configENS1_35adjacent_difference_config_selectorILb0EtEEZNS1_24adjacent_difference_implIS3_Lb0ELb0EPtS7_N6thrust23THRUST_200600_302600_NS5minusItEEEE10hipError_tPvRmT2_T3_mT4_P12ihipStream_tbEUlT_E_NS1_11comp_targetILNS1_3genE8ELNS1_11target_archE1030ELNS1_3gpuE2ELNS1_3repE0EEENS1_30default_config_static_selectorELNS0_4arch9wavefront6targetE1EEEvT1_
	.globl	_ZN7rocprim17ROCPRIM_400000_NS6detail17trampoline_kernelINS0_14default_configENS1_35adjacent_difference_config_selectorILb0EtEEZNS1_24adjacent_difference_implIS3_Lb0ELb0EPtS7_N6thrust23THRUST_200600_302600_NS5minusItEEEE10hipError_tPvRmT2_T3_mT4_P12ihipStream_tbEUlT_E_NS1_11comp_targetILNS1_3genE8ELNS1_11target_archE1030ELNS1_3gpuE2ELNS1_3repE0EEENS1_30default_config_static_selectorELNS0_4arch9wavefront6targetE1EEEvT1_
	.p2align	8
	.type	_ZN7rocprim17ROCPRIM_400000_NS6detail17trampoline_kernelINS0_14default_configENS1_35adjacent_difference_config_selectorILb0EtEEZNS1_24adjacent_difference_implIS3_Lb0ELb0EPtS7_N6thrust23THRUST_200600_302600_NS5minusItEEEE10hipError_tPvRmT2_T3_mT4_P12ihipStream_tbEUlT_E_NS1_11comp_targetILNS1_3genE8ELNS1_11target_archE1030ELNS1_3gpuE2ELNS1_3repE0EEENS1_30default_config_static_selectorELNS0_4arch9wavefront6targetE1EEEvT1_,@function
_ZN7rocprim17ROCPRIM_400000_NS6detail17trampoline_kernelINS0_14default_configENS1_35adjacent_difference_config_selectorILb0EtEEZNS1_24adjacent_difference_implIS3_Lb0ELb0EPtS7_N6thrust23THRUST_200600_302600_NS5minusItEEEE10hipError_tPvRmT2_T3_mT4_P12ihipStream_tbEUlT_E_NS1_11comp_targetILNS1_3genE8ELNS1_11target_archE1030ELNS1_3gpuE2ELNS1_3repE0EEENS1_30default_config_static_selectorELNS0_4arch9wavefront6targetE1EEEvT1_: ; @_ZN7rocprim17ROCPRIM_400000_NS6detail17trampoline_kernelINS0_14default_configENS1_35adjacent_difference_config_selectorILb0EtEEZNS1_24adjacent_difference_implIS3_Lb0ELb0EPtS7_N6thrust23THRUST_200600_302600_NS5minusItEEEE10hipError_tPvRmT2_T3_mT4_P12ihipStream_tbEUlT_E_NS1_11comp_targetILNS1_3genE8ELNS1_11target_archE1030ELNS1_3gpuE2ELNS1_3repE0EEENS1_30default_config_static_selectorELNS0_4arch9wavefront6targetE1EEEvT1_
; %bb.0:
	.section	.rodata,"a",@progbits
	.p2align	6, 0x0
	.amdhsa_kernel _ZN7rocprim17ROCPRIM_400000_NS6detail17trampoline_kernelINS0_14default_configENS1_35adjacent_difference_config_selectorILb0EtEEZNS1_24adjacent_difference_implIS3_Lb0ELb0EPtS7_N6thrust23THRUST_200600_302600_NS5minusItEEEE10hipError_tPvRmT2_T3_mT4_P12ihipStream_tbEUlT_E_NS1_11comp_targetILNS1_3genE8ELNS1_11target_archE1030ELNS1_3gpuE2ELNS1_3repE0EEENS1_30default_config_static_selectorELNS0_4arch9wavefront6targetE1EEEvT1_
		.amdhsa_group_segment_fixed_size 0
		.amdhsa_private_segment_fixed_size 0
		.amdhsa_kernarg_size 56
		.amdhsa_user_sgpr_count 6
		.amdhsa_user_sgpr_private_segment_buffer 1
		.amdhsa_user_sgpr_dispatch_ptr 0
		.amdhsa_user_sgpr_queue_ptr 0
		.amdhsa_user_sgpr_kernarg_segment_ptr 1
		.amdhsa_user_sgpr_dispatch_id 0
		.amdhsa_user_sgpr_flat_scratch_init 0
		.amdhsa_user_sgpr_kernarg_preload_length 0
		.amdhsa_user_sgpr_kernarg_preload_offset 0
		.amdhsa_user_sgpr_private_segment_size 0
		.amdhsa_uses_dynamic_stack 0
		.amdhsa_system_sgpr_private_segment_wavefront_offset 0
		.amdhsa_system_sgpr_workgroup_id_x 1
		.amdhsa_system_sgpr_workgroup_id_y 0
		.amdhsa_system_sgpr_workgroup_id_z 0
		.amdhsa_system_sgpr_workgroup_info 0
		.amdhsa_system_vgpr_workitem_id 0
		.amdhsa_next_free_vgpr 1
		.amdhsa_next_free_sgpr 0
		.amdhsa_accum_offset 4
		.amdhsa_reserve_vcc 0
		.amdhsa_reserve_flat_scratch 0
		.amdhsa_float_round_mode_32 0
		.amdhsa_float_round_mode_16_64 0
		.amdhsa_float_denorm_mode_32 3
		.amdhsa_float_denorm_mode_16_64 3
		.amdhsa_dx10_clamp 1
		.amdhsa_ieee_mode 1
		.amdhsa_fp16_overflow 0
		.amdhsa_tg_split 0
		.amdhsa_exception_fp_ieee_invalid_op 0
		.amdhsa_exception_fp_denorm_src 0
		.amdhsa_exception_fp_ieee_div_zero 0
		.amdhsa_exception_fp_ieee_overflow 0
		.amdhsa_exception_fp_ieee_underflow 0
		.amdhsa_exception_fp_ieee_inexact 0
		.amdhsa_exception_int_div_zero 0
	.end_amdhsa_kernel
	.section	.text._ZN7rocprim17ROCPRIM_400000_NS6detail17trampoline_kernelINS0_14default_configENS1_35adjacent_difference_config_selectorILb0EtEEZNS1_24adjacent_difference_implIS3_Lb0ELb0EPtS7_N6thrust23THRUST_200600_302600_NS5minusItEEEE10hipError_tPvRmT2_T3_mT4_P12ihipStream_tbEUlT_E_NS1_11comp_targetILNS1_3genE8ELNS1_11target_archE1030ELNS1_3gpuE2ELNS1_3repE0EEENS1_30default_config_static_selectorELNS0_4arch9wavefront6targetE1EEEvT1_,"axG",@progbits,_ZN7rocprim17ROCPRIM_400000_NS6detail17trampoline_kernelINS0_14default_configENS1_35adjacent_difference_config_selectorILb0EtEEZNS1_24adjacent_difference_implIS3_Lb0ELb0EPtS7_N6thrust23THRUST_200600_302600_NS5minusItEEEE10hipError_tPvRmT2_T3_mT4_P12ihipStream_tbEUlT_E_NS1_11comp_targetILNS1_3genE8ELNS1_11target_archE1030ELNS1_3gpuE2ELNS1_3repE0EEENS1_30default_config_static_selectorELNS0_4arch9wavefront6targetE1EEEvT1_,comdat
.Lfunc_end321:
	.size	_ZN7rocprim17ROCPRIM_400000_NS6detail17trampoline_kernelINS0_14default_configENS1_35adjacent_difference_config_selectorILb0EtEEZNS1_24adjacent_difference_implIS3_Lb0ELb0EPtS7_N6thrust23THRUST_200600_302600_NS5minusItEEEE10hipError_tPvRmT2_T3_mT4_P12ihipStream_tbEUlT_E_NS1_11comp_targetILNS1_3genE8ELNS1_11target_archE1030ELNS1_3gpuE2ELNS1_3repE0EEENS1_30default_config_static_selectorELNS0_4arch9wavefront6targetE1EEEvT1_, .Lfunc_end321-_ZN7rocprim17ROCPRIM_400000_NS6detail17trampoline_kernelINS0_14default_configENS1_35adjacent_difference_config_selectorILb0EtEEZNS1_24adjacent_difference_implIS3_Lb0ELb0EPtS7_N6thrust23THRUST_200600_302600_NS5minusItEEEE10hipError_tPvRmT2_T3_mT4_P12ihipStream_tbEUlT_E_NS1_11comp_targetILNS1_3genE8ELNS1_11target_archE1030ELNS1_3gpuE2ELNS1_3repE0EEENS1_30default_config_static_selectorELNS0_4arch9wavefront6targetE1EEEvT1_
                                        ; -- End function
	.section	.AMDGPU.csdata,"",@progbits
; Kernel info:
; codeLenInByte = 0
; NumSgprs: 4
; NumVgprs: 0
; NumAgprs: 0
; TotalNumVgprs: 0
; ScratchSize: 0
; MemoryBound: 0
; FloatMode: 240
; IeeeMode: 1
; LDSByteSize: 0 bytes/workgroup (compile time only)
; SGPRBlocks: 0
; VGPRBlocks: 0
; NumSGPRsForWavesPerEU: 4
; NumVGPRsForWavesPerEU: 1
; AccumOffset: 4
; Occupancy: 8
; WaveLimiterHint : 0
; COMPUTE_PGM_RSRC2:SCRATCH_EN: 0
; COMPUTE_PGM_RSRC2:USER_SGPR: 6
; COMPUTE_PGM_RSRC2:TRAP_HANDLER: 0
; COMPUTE_PGM_RSRC2:TGID_X_EN: 1
; COMPUTE_PGM_RSRC2:TGID_Y_EN: 0
; COMPUTE_PGM_RSRC2:TGID_Z_EN: 0
; COMPUTE_PGM_RSRC2:TIDIG_COMP_CNT: 0
; COMPUTE_PGM_RSRC3_GFX90A:ACCUM_OFFSET: 0
; COMPUTE_PGM_RSRC3_GFX90A:TG_SPLIT: 0
	.section	.text._ZN7rocprim17ROCPRIM_400000_NS6detail17trampoline_kernelINS0_14default_configENS1_25transform_config_selectorItLb0EEEZNS1_14transform_implILb0ES3_S5_NS0_18transform_iteratorINS0_17counting_iteratorImlEEZNS1_24adjacent_difference_implIS3_Lb1ELb0EPtSB_N6thrust23THRUST_200600_302600_NS5minusItEEEE10hipError_tPvRmT2_T3_mT4_P12ihipStream_tbEUlmE_tEESB_NS0_8identityIvEEEESG_SJ_SK_mSL_SN_bEUlT_E_NS1_11comp_targetILNS1_3genE0ELNS1_11target_archE4294967295ELNS1_3gpuE0ELNS1_3repE0EEENS1_30default_config_static_selectorELNS0_4arch9wavefront6targetE1EEEvT1_,"axG",@progbits,_ZN7rocprim17ROCPRIM_400000_NS6detail17trampoline_kernelINS0_14default_configENS1_25transform_config_selectorItLb0EEEZNS1_14transform_implILb0ES3_S5_NS0_18transform_iteratorINS0_17counting_iteratorImlEEZNS1_24adjacent_difference_implIS3_Lb1ELb0EPtSB_N6thrust23THRUST_200600_302600_NS5minusItEEEE10hipError_tPvRmT2_T3_mT4_P12ihipStream_tbEUlmE_tEESB_NS0_8identityIvEEEESG_SJ_SK_mSL_SN_bEUlT_E_NS1_11comp_targetILNS1_3genE0ELNS1_11target_archE4294967295ELNS1_3gpuE0ELNS1_3repE0EEENS1_30default_config_static_selectorELNS0_4arch9wavefront6targetE1EEEvT1_,comdat
	.protected	_ZN7rocprim17ROCPRIM_400000_NS6detail17trampoline_kernelINS0_14default_configENS1_25transform_config_selectorItLb0EEEZNS1_14transform_implILb0ES3_S5_NS0_18transform_iteratorINS0_17counting_iteratorImlEEZNS1_24adjacent_difference_implIS3_Lb1ELb0EPtSB_N6thrust23THRUST_200600_302600_NS5minusItEEEE10hipError_tPvRmT2_T3_mT4_P12ihipStream_tbEUlmE_tEESB_NS0_8identityIvEEEESG_SJ_SK_mSL_SN_bEUlT_E_NS1_11comp_targetILNS1_3genE0ELNS1_11target_archE4294967295ELNS1_3gpuE0ELNS1_3repE0EEENS1_30default_config_static_selectorELNS0_4arch9wavefront6targetE1EEEvT1_ ; -- Begin function _ZN7rocprim17ROCPRIM_400000_NS6detail17trampoline_kernelINS0_14default_configENS1_25transform_config_selectorItLb0EEEZNS1_14transform_implILb0ES3_S5_NS0_18transform_iteratorINS0_17counting_iteratorImlEEZNS1_24adjacent_difference_implIS3_Lb1ELb0EPtSB_N6thrust23THRUST_200600_302600_NS5minusItEEEE10hipError_tPvRmT2_T3_mT4_P12ihipStream_tbEUlmE_tEESB_NS0_8identityIvEEEESG_SJ_SK_mSL_SN_bEUlT_E_NS1_11comp_targetILNS1_3genE0ELNS1_11target_archE4294967295ELNS1_3gpuE0ELNS1_3repE0EEENS1_30default_config_static_selectorELNS0_4arch9wavefront6targetE1EEEvT1_
	.globl	_ZN7rocprim17ROCPRIM_400000_NS6detail17trampoline_kernelINS0_14default_configENS1_25transform_config_selectorItLb0EEEZNS1_14transform_implILb0ES3_S5_NS0_18transform_iteratorINS0_17counting_iteratorImlEEZNS1_24adjacent_difference_implIS3_Lb1ELb0EPtSB_N6thrust23THRUST_200600_302600_NS5minusItEEEE10hipError_tPvRmT2_T3_mT4_P12ihipStream_tbEUlmE_tEESB_NS0_8identityIvEEEESG_SJ_SK_mSL_SN_bEUlT_E_NS1_11comp_targetILNS1_3genE0ELNS1_11target_archE4294967295ELNS1_3gpuE0ELNS1_3repE0EEENS1_30default_config_static_selectorELNS0_4arch9wavefront6targetE1EEEvT1_
	.p2align	8
	.type	_ZN7rocprim17ROCPRIM_400000_NS6detail17trampoline_kernelINS0_14default_configENS1_25transform_config_selectorItLb0EEEZNS1_14transform_implILb0ES3_S5_NS0_18transform_iteratorINS0_17counting_iteratorImlEEZNS1_24adjacent_difference_implIS3_Lb1ELb0EPtSB_N6thrust23THRUST_200600_302600_NS5minusItEEEE10hipError_tPvRmT2_T3_mT4_P12ihipStream_tbEUlmE_tEESB_NS0_8identityIvEEEESG_SJ_SK_mSL_SN_bEUlT_E_NS1_11comp_targetILNS1_3genE0ELNS1_11target_archE4294967295ELNS1_3gpuE0ELNS1_3repE0EEENS1_30default_config_static_selectorELNS0_4arch9wavefront6targetE1EEEvT1_,@function
_ZN7rocprim17ROCPRIM_400000_NS6detail17trampoline_kernelINS0_14default_configENS1_25transform_config_selectorItLb0EEEZNS1_14transform_implILb0ES3_S5_NS0_18transform_iteratorINS0_17counting_iteratorImlEEZNS1_24adjacent_difference_implIS3_Lb1ELb0EPtSB_N6thrust23THRUST_200600_302600_NS5minusItEEEE10hipError_tPvRmT2_T3_mT4_P12ihipStream_tbEUlmE_tEESB_NS0_8identityIvEEEESG_SJ_SK_mSL_SN_bEUlT_E_NS1_11comp_targetILNS1_3genE0ELNS1_11target_archE4294967295ELNS1_3gpuE0ELNS1_3repE0EEENS1_30default_config_static_selectorELNS0_4arch9wavefront6targetE1EEEvT1_: ; @_ZN7rocprim17ROCPRIM_400000_NS6detail17trampoline_kernelINS0_14default_configENS1_25transform_config_selectorItLb0EEEZNS1_14transform_implILb0ES3_S5_NS0_18transform_iteratorINS0_17counting_iteratorImlEEZNS1_24adjacent_difference_implIS3_Lb1ELb0EPtSB_N6thrust23THRUST_200600_302600_NS5minusItEEEE10hipError_tPvRmT2_T3_mT4_P12ihipStream_tbEUlmE_tEESB_NS0_8identityIvEEEESG_SJ_SK_mSL_SN_bEUlT_E_NS1_11comp_targetILNS1_3genE0ELNS1_11target_archE4294967295ELNS1_3gpuE0ELNS1_3repE0EEENS1_30default_config_static_selectorELNS0_4arch9wavefront6targetE1EEEvT1_
; %bb.0:
	.section	.rodata,"a",@progbits
	.p2align	6, 0x0
	.amdhsa_kernel _ZN7rocprim17ROCPRIM_400000_NS6detail17trampoline_kernelINS0_14default_configENS1_25transform_config_selectorItLb0EEEZNS1_14transform_implILb0ES3_S5_NS0_18transform_iteratorINS0_17counting_iteratorImlEEZNS1_24adjacent_difference_implIS3_Lb1ELb0EPtSB_N6thrust23THRUST_200600_302600_NS5minusItEEEE10hipError_tPvRmT2_T3_mT4_P12ihipStream_tbEUlmE_tEESB_NS0_8identityIvEEEESG_SJ_SK_mSL_SN_bEUlT_E_NS1_11comp_targetILNS1_3genE0ELNS1_11target_archE4294967295ELNS1_3gpuE0ELNS1_3repE0EEENS1_30default_config_static_selectorELNS0_4arch9wavefront6targetE1EEEvT1_
		.amdhsa_group_segment_fixed_size 0
		.amdhsa_private_segment_fixed_size 0
		.amdhsa_kernarg_size 56
		.amdhsa_user_sgpr_count 6
		.amdhsa_user_sgpr_private_segment_buffer 1
		.amdhsa_user_sgpr_dispatch_ptr 0
		.amdhsa_user_sgpr_queue_ptr 0
		.amdhsa_user_sgpr_kernarg_segment_ptr 1
		.amdhsa_user_sgpr_dispatch_id 0
		.amdhsa_user_sgpr_flat_scratch_init 0
		.amdhsa_user_sgpr_kernarg_preload_length 0
		.amdhsa_user_sgpr_kernarg_preload_offset 0
		.amdhsa_user_sgpr_private_segment_size 0
		.amdhsa_uses_dynamic_stack 0
		.amdhsa_system_sgpr_private_segment_wavefront_offset 0
		.amdhsa_system_sgpr_workgroup_id_x 1
		.amdhsa_system_sgpr_workgroup_id_y 0
		.amdhsa_system_sgpr_workgroup_id_z 0
		.amdhsa_system_sgpr_workgroup_info 0
		.amdhsa_system_vgpr_workitem_id 0
		.amdhsa_next_free_vgpr 1
		.amdhsa_next_free_sgpr 0
		.amdhsa_accum_offset 4
		.amdhsa_reserve_vcc 0
		.amdhsa_reserve_flat_scratch 0
		.amdhsa_float_round_mode_32 0
		.amdhsa_float_round_mode_16_64 0
		.amdhsa_float_denorm_mode_32 3
		.amdhsa_float_denorm_mode_16_64 3
		.amdhsa_dx10_clamp 1
		.amdhsa_ieee_mode 1
		.amdhsa_fp16_overflow 0
		.amdhsa_tg_split 0
		.amdhsa_exception_fp_ieee_invalid_op 0
		.amdhsa_exception_fp_denorm_src 0
		.amdhsa_exception_fp_ieee_div_zero 0
		.amdhsa_exception_fp_ieee_overflow 0
		.amdhsa_exception_fp_ieee_underflow 0
		.amdhsa_exception_fp_ieee_inexact 0
		.amdhsa_exception_int_div_zero 0
	.end_amdhsa_kernel
	.section	.text._ZN7rocprim17ROCPRIM_400000_NS6detail17trampoline_kernelINS0_14default_configENS1_25transform_config_selectorItLb0EEEZNS1_14transform_implILb0ES3_S5_NS0_18transform_iteratorINS0_17counting_iteratorImlEEZNS1_24adjacent_difference_implIS3_Lb1ELb0EPtSB_N6thrust23THRUST_200600_302600_NS5minusItEEEE10hipError_tPvRmT2_T3_mT4_P12ihipStream_tbEUlmE_tEESB_NS0_8identityIvEEEESG_SJ_SK_mSL_SN_bEUlT_E_NS1_11comp_targetILNS1_3genE0ELNS1_11target_archE4294967295ELNS1_3gpuE0ELNS1_3repE0EEENS1_30default_config_static_selectorELNS0_4arch9wavefront6targetE1EEEvT1_,"axG",@progbits,_ZN7rocprim17ROCPRIM_400000_NS6detail17trampoline_kernelINS0_14default_configENS1_25transform_config_selectorItLb0EEEZNS1_14transform_implILb0ES3_S5_NS0_18transform_iteratorINS0_17counting_iteratorImlEEZNS1_24adjacent_difference_implIS3_Lb1ELb0EPtSB_N6thrust23THRUST_200600_302600_NS5minusItEEEE10hipError_tPvRmT2_T3_mT4_P12ihipStream_tbEUlmE_tEESB_NS0_8identityIvEEEESG_SJ_SK_mSL_SN_bEUlT_E_NS1_11comp_targetILNS1_3genE0ELNS1_11target_archE4294967295ELNS1_3gpuE0ELNS1_3repE0EEENS1_30default_config_static_selectorELNS0_4arch9wavefront6targetE1EEEvT1_,comdat
.Lfunc_end322:
	.size	_ZN7rocprim17ROCPRIM_400000_NS6detail17trampoline_kernelINS0_14default_configENS1_25transform_config_selectorItLb0EEEZNS1_14transform_implILb0ES3_S5_NS0_18transform_iteratorINS0_17counting_iteratorImlEEZNS1_24adjacent_difference_implIS3_Lb1ELb0EPtSB_N6thrust23THRUST_200600_302600_NS5minusItEEEE10hipError_tPvRmT2_T3_mT4_P12ihipStream_tbEUlmE_tEESB_NS0_8identityIvEEEESG_SJ_SK_mSL_SN_bEUlT_E_NS1_11comp_targetILNS1_3genE0ELNS1_11target_archE4294967295ELNS1_3gpuE0ELNS1_3repE0EEENS1_30default_config_static_selectorELNS0_4arch9wavefront6targetE1EEEvT1_, .Lfunc_end322-_ZN7rocprim17ROCPRIM_400000_NS6detail17trampoline_kernelINS0_14default_configENS1_25transform_config_selectorItLb0EEEZNS1_14transform_implILb0ES3_S5_NS0_18transform_iteratorINS0_17counting_iteratorImlEEZNS1_24adjacent_difference_implIS3_Lb1ELb0EPtSB_N6thrust23THRUST_200600_302600_NS5minusItEEEE10hipError_tPvRmT2_T3_mT4_P12ihipStream_tbEUlmE_tEESB_NS0_8identityIvEEEESG_SJ_SK_mSL_SN_bEUlT_E_NS1_11comp_targetILNS1_3genE0ELNS1_11target_archE4294967295ELNS1_3gpuE0ELNS1_3repE0EEENS1_30default_config_static_selectorELNS0_4arch9wavefront6targetE1EEEvT1_
                                        ; -- End function
	.section	.AMDGPU.csdata,"",@progbits
; Kernel info:
; codeLenInByte = 0
; NumSgprs: 4
; NumVgprs: 0
; NumAgprs: 0
; TotalNumVgprs: 0
; ScratchSize: 0
; MemoryBound: 0
; FloatMode: 240
; IeeeMode: 1
; LDSByteSize: 0 bytes/workgroup (compile time only)
; SGPRBlocks: 0
; VGPRBlocks: 0
; NumSGPRsForWavesPerEU: 4
; NumVGPRsForWavesPerEU: 1
; AccumOffset: 4
; Occupancy: 8
; WaveLimiterHint : 0
; COMPUTE_PGM_RSRC2:SCRATCH_EN: 0
; COMPUTE_PGM_RSRC2:USER_SGPR: 6
; COMPUTE_PGM_RSRC2:TRAP_HANDLER: 0
; COMPUTE_PGM_RSRC2:TGID_X_EN: 1
; COMPUTE_PGM_RSRC2:TGID_Y_EN: 0
; COMPUTE_PGM_RSRC2:TGID_Z_EN: 0
; COMPUTE_PGM_RSRC2:TIDIG_COMP_CNT: 0
; COMPUTE_PGM_RSRC3_GFX90A:ACCUM_OFFSET: 0
; COMPUTE_PGM_RSRC3_GFX90A:TG_SPLIT: 0
	.section	.text._ZN7rocprim17ROCPRIM_400000_NS6detail17trampoline_kernelINS0_14default_configENS1_25transform_config_selectorItLb0EEEZNS1_14transform_implILb0ES3_S5_NS0_18transform_iteratorINS0_17counting_iteratorImlEEZNS1_24adjacent_difference_implIS3_Lb1ELb0EPtSB_N6thrust23THRUST_200600_302600_NS5minusItEEEE10hipError_tPvRmT2_T3_mT4_P12ihipStream_tbEUlmE_tEESB_NS0_8identityIvEEEESG_SJ_SK_mSL_SN_bEUlT_E_NS1_11comp_targetILNS1_3genE5ELNS1_11target_archE942ELNS1_3gpuE9ELNS1_3repE0EEENS1_30default_config_static_selectorELNS0_4arch9wavefront6targetE1EEEvT1_,"axG",@progbits,_ZN7rocprim17ROCPRIM_400000_NS6detail17trampoline_kernelINS0_14default_configENS1_25transform_config_selectorItLb0EEEZNS1_14transform_implILb0ES3_S5_NS0_18transform_iteratorINS0_17counting_iteratorImlEEZNS1_24adjacent_difference_implIS3_Lb1ELb0EPtSB_N6thrust23THRUST_200600_302600_NS5minusItEEEE10hipError_tPvRmT2_T3_mT4_P12ihipStream_tbEUlmE_tEESB_NS0_8identityIvEEEESG_SJ_SK_mSL_SN_bEUlT_E_NS1_11comp_targetILNS1_3genE5ELNS1_11target_archE942ELNS1_3gpuE9ELNS1_3repE0EEENS1_30default_config_static_selectorELNS0_4arch9wavefront6targetE1EEEvT1_,comdat
	.protected	_ZN7rocprim17ROCPRIM_400000_NS6detail17trampoline_kernelINS0_14default_configENS1_25transform_config_selectorItLb0EEEZNS1_14transform_implILb0ES3_S5_NS0_18transform_iteratorINS0_17counting_iteratorImlEEZNS1_24adjacent_difference_implIS3_Lb1ELb0EPtSB_N6thrust23THRUST_200600_302600_NS5minusItEEEE10hipError_tPvRmT2_T3_mT4_P12ihipStream_tbEUlmE_tEESB_NS0_8identityIvEEEESG_SJ_SK_mSL_SN_bEUlT_E_NS1_11comp_targetILNS1_3genE5ELNS1_11target_archE942ELNS1_3gpuE9ELNS1_3repE0EEENS1_30default_config_static_selectorELNS0_4arch9wavefront6targetE1EEEvT1_ ; -- Begin function _ZN7rocprim17ROCPRIM_400000_NS6detail17trampoline_kernelINS0_14default_configENS1_25transform_config_selectorItLb0EEEZNS1_14transform_implILb0ES3_S5_NS0_18transform_iteratorINS0_17counting_iteratorImlEEZNS1_24adjacent_difference_implIS3_Lb1ELb0EPtSB_N6thrust23THRUST_200600_302600_NS5minusItEEEE10hipError_tPvRmT2_T3_mT4_P12ihipStream_tbEUlmE_tEESB_NS0_8identityIvEEEESG_SJ_SK_mSL_SN_bEUlT_E_NS1_11comp_targetILNS1_3genE5ELNS1_11target_archE942ELNS1_3gpuE9ELNS1_3repE0EEENS1_30default_config_static_selectorELNS0_4arch9wavefront6targetE1EEEvT1_
	.globl	_ZN7rocprim17ROCPRIM_400000_NS6detail17trampoline_kernelINS0_14default_configENS1_25transform_config_selectorItLb0EEEZNS1_14transform_implILb0ES3_S5_NS0_18transform_iteratorINS0_17counting_iteratorImlEEZNS1_24adjacent_difference_implIS3_Lb1ELb0EPtSB_N6thrust23THRUST_200600_302600_NS5minusItEEEE10hipError_tPvRmT2_T3_mT4_P12ihipStream_tbEUlmE_tEESB_NS0_8identityIvEEEESG_SJ_SK_mSL_SN_bEUlT_E_NS1_11comp_targetILNS1_3genE5ELNS1_11target_archE942ELNS1_3gpuE9ELNS1_3repE0EEENS1_30default_config_static_selectorELNS0_4arch9wavefront6targetE1EEEvT1_
	.p2align	8
	.type	_ZN7rocprim17ROCPRIM_400000_NS6detail17trampoline_kernelINS0_14default_configENS1_25transform_config_selectorItLb0EEEZNS1_14transform_implILb0ES3_S5_NS0_18transform_iteratorINS0_17counting_iteratorImlEEZNS1_24adjacent_difference_implIS3_Lb1ELb0EPtSB_N6thrust23THRUST_200600_302600_NS5minusItEEEE10hipError_tPvRmT2_T3_mT4_P12ihipStream_tbEUlmE_tEESB_NS0_8identityIvEEEESG_SJ_SK_mSL_SN_bEUlT_E_NS1_11comp_targetILNS1_3genE5ELNS1_11target_archE942ELNS1_3gpuE9ELNS1_3repE0EEENS1_30default_config_static_selectorELNS0_4arch9wavefront6targetE1EEEvT1_,@function
_ZN7rocprim17ROCPRIM_400000_NS6detail17trampoline_kernelINS0_14default_configENS1_25transform_config_selectorItLb0EEEZNS1_14transform_implILb0ES3_S5_NS0_18transform_iteratorINS0_17counting_iteratorImlEEZNS1_24adjacent_difference_implIS3_Lb1ELb0EPtSB_N6thrust23THRUST_200600_302600_NS5minusItEEEE10hipError_tPvRmT2_T3_mT4_P12ihipStream_tbEUlmE_tEESB_NS0_8identityIvEEEESG_SJ_SK_mSL_SN_bEUlT_E_NS1_11comp_targetILNS1_3genE5ELNS1_11target_archE942ELNS1_3gpuE9ELNS1_3repE0EEENS1_30default_config_static_selectorELNS0_4arch9wavefront6targetE1EEEvT1_: ; @_ZN7rocprim17ROCPRIM_400000_NS6detail17trampoline_kernelINS0_14default_configENS1_25transform_config_selectorItLb0EEEZNS1_14transform_implILb0ES3_S5_NS0_18transform_iteratorINS0_17counting_iteratorImlEEZNS1_24adjacent_difference_implIS3_Lb1ELb0EPtSB_N6thrust23THRUST_200600_302600_NS5minusItEEEE10hipError_tPvRmT2_T3_mT4_P12ihipStream_tbEUlmE_tEESB_NS0_8identityIvEEEESG_SJ_SK_mSL_SN_bEUlT_E_NS1_11comp_targetILNS1_3genE5ELNS1_11target_archE942ELNS1_3gpuE9ELNS1_3repE0EEENS1_30default_config_static_selectorELNS0_4arch9wavefront6targetE1EEEvT1_
; %bb.0:
	.section	.rodata,"a",@progbits
	.p2align	6, 0x0
	.amdhsa_kernel _ZN7rocprim17ROCPRIM_400000_NS6detail17trampoline_kernelINS0_14default_configENS1_25transform_config_selectorItLb0EEEZNS1_14transform_implILb0ES3_S5_NS0_18transform_iteratorINS0_17counting_iteratorImlEEZNS1_24adjacent_difference_implIS3_Lb1ELb0EPtSB_N6thrust23THRUST_200600_302600_NS5minusItEEEE10hipError_tPvRmT2_T3_mT4_P12ihipStream_tbEUlmE_tEESB_NS0_8identityIvEEEESG_SJ_SK_mSL_SN_bEUlT_E_NS1_11comp_targetILNS1_3genE5ELNS1_11target_archE942ELNS1_3gpuE9ELNS1_3repE0EEENS1_30default_config_static_selectorELNS0_4arch9wavefront6targetE1EEEvT1_
		.amdhsa_group_segment_fixed_size 0
		.amdhsa_private_segment_fixed_size 0
		.amdhsa_kernarg_size 56
		.amdhsa_user_sgpr_count 6
		.amdhsa_user_sgpr_private_segment_buffer 1
		.amdhsa_user_sgpr_dispatch_ptr 0
		.amdhsa_user_sgpr_queue_ptr 0
		.amdhsa_user_sgpr_kernarg_segment_ptr 1
		.amdhsa_user_sgpr_dispatch_id 0
		.amdhsa_user_sgpr_flat_scratch_init 0
		.amdhsa_user_sgpr_kernarg_preload_length 0
		.amdhsa_user_sgpr_kernarg_preload_offset 0
		.amdhsa_user_sgpr_private_segment_size 0
		.amdhsa_uses_dynamic_stack 0
		.amdhsa_system_sgpr_private_segment_wavefront_offset 0
		.amdhsa_system_sgpr_workgroup_id_x 1
		.amdhsa_system_sgpr_workgroup_id_y 0
		.amdhsa_system_sgpr_workgroup_id_z 0
		.amdhsa_system_sgpr_workgroup_info 0
		.amdhsa_system_vgpr_workitem_id 0
		.amdhsa_next_free_vgpr 1
		.amdhsa_next_free_sgpr 0
		.amdhsa_accum_offset 4
		.amdhsa_reserve_vcc 0
		.amdhsa_reserve_flat_scratch 0
		.amdhsa_float_round_mode_32 0
		.amdhsa_float_round_mode_16_64 0
		.amdhsa_float_denorm_mode_32 3
		.amdhsa_float_denorm_mode_16_64 3
		.amdhsa_dx10_clamp 1
		.amdhsa_ieee_mode 1
		.amdhsa_fp16_overflow 0
		.amdhsa_tg_split 0
		.amdhsa_exception_fp_ieee_invalid_op 0
		.amdhsa_exception_fp_denorm_src 0
		.amdhsa_exception_fp_ieee_div_zero 0
		.amdhsa_exception_fp_ieee_overflow 0
		.amdhsa_exception_fp_ieee_underflow 0
		.amdhsa_exception_fp_ieee_inexact 0
		.amdhsa_exception_int_div_zero 0
	.end_amdhsa_kernel
	.section	.text._ZN7rocprim17ROCPRIM_400000_NS6detail17trampoline_kernelINS0_14default_configENS1_25transform_config_selectorItLb0EEEZNS1_14transform_implILb0ES3_S5_NS0_18transform_iteratorINS0_17counting_iteratorImlEEZNS1_24adjacent_difference_implIS3_Lb1ELb0EPtSB_N6thrust23THRUST_200600_302600_NS5minusItEEEE10hipError_tPvRmT2_T3_mT4_P12ihipStream_tbEUlmE_tEESB_NS0_8identityIvEEEESG_SJ_SK_mSL_SN_bEUlT_E_NS1_11comp_targetILNS1_3genE5ELNS1_11target_archE942ELNS1_3gpuE9ELNS1_3repE0EEENS1_30default_config_static_selectorELNS0_4arch9wavefront6targetE1EEEvT1_,"axG",@progbits,_ZN7rocprim17ROCPRIM_400000_NS6detail17trampoline_kernelINS0_14default_configENS1_25transform_config_selectorItLb0EEEZNS1_14transform_implILb0ES3_S5_NS0_18transform_iteratorINS0_17counting_iteratorImlEEZNS1_24adjacent_difference_implIS3_Lb1ELb0EPtSB_N6thrust23THRUST_200600_302600_NS5minusItEEEE10hipError_tPvRmT2_T3_mT4_P12ihipStream_tbEUlmE_tEESB_NS0_8identityIvEEEESG_SJ_SK_mSL_SN_bEUlT_E_NS1_11comp_targetILNS1_3genE5ELNS1_11target_archE942ELNS1_3gpuE9ELNS1_3repE0EEENS1_30default_config_static_selectorELNS0_4arch9wavefront6targetE1EEEvT1_,comdat
.Lfunc_end323:
	.size	_ZN7rocprim17ROCPRIM_400000_NS6detail17trampoline_kernelINS0_14default_configENS1_25transform_config_selectorItLb0EEEZNS1_14transform_implILb0ES3_S5_NS0_18transform_iteratorINS0_17counting_iteratorImlEEZNS1_24adjacent_difference_implIS3_Lb1ELb0EPtSB_N6thrust23THRUST_200600_302600_NS5minusItEEEE10hipError_tPvRmT2_T3_mT4_P12ihipStream_tbEUlmE_tEESB_NS0_8identityIvEEEESG_SJ_SK_mSL_SN_bEUlT_E_NS1_11comp_targetILNS1_3genE5ELNS1_11target_archE942ELNS1_3gpuE9ELNS1_3repE0EEENS1_30default_config_static_selectorELNS0_4arch9wavefront6targetE1EEEvT1_, .Lfunc_end323-_ZN7rocprim17ROCPRIM_400000_NS6detail17trampoline_kernelINS0_14default_configENS1_25transform_config_selectorItLb0EEEZNS1_14transform_implILb0ES3_S5_NS0_18transform_iteratorINS0_17counting_iteratorImlEEZNS1_24adjacent_difference_implIS3_Lb1ELb0EPtSB_N6thrust23THRUST_200600_302600_NS5minusItEEEE10hipError_tPvRmT2_T3_mT4_P12ihipStream_tbEUlmE_tEESB_NS0_8identityIvEEEESG_SJ_SK_mSL_SN_bEUlT_E_NS1_11comp_targetILNS1_3genE5ELNS1_11target_archE942ELNS1_3gpuE9ELNS1_3repE0EEENS1_30default_config_static_selectorELNS0_4arch9wavefront6targetE1EEEvT1_
                                        ; -- End function
	.section	.AMDGPU.csdata,"",@progbits
; Kernel info:
; codeLenInByte = 0
; NumSgprs: 4
; NumVgprs: 0
; NumAgprs: 0
; TotalNumVgprs: 0
; ScratchSize: 0
; MemoryBound: 0
; FloatMode: 240
; IeeeMode: 1
; LDSByteSize: 0 bytes/workgroup (compile time only)
; SGPRBlocks: 0
; VGPRBlocks: 0
; NumSGPRsForWavesPerEU: 4
; NumVGPRsForWavesPerEU: 1
; AccumOffset: 4
; Occupancy: 8
; WaveLimiterHint : 0
; COMPUTE_PGM_RSRC2:SCRATCH_EN: 0
; COMPUTE_PGM_RSRC2:USER_SGPR: 6
; COMPUTE_PGM_RSRC2:TRAP_HANDLER: 0
; COMPUTE_PGM_RSRC2:TGID_X_EN: 1
; COMPUTE_PGM_RSRC2:TGID_Y_EN: 0
; COMPUTE_PGM_RSRC2:TGID_Z_EN: 0
; COMPUTE_PGM_RSRC2:TIDIG_COMP_CNT: 0
; COMPUTE_PGM_RSRC3_GFX90A:ACCUM_OFFSET: 0
; COMPUTE_PGM_RSRC3_GFX90A:TG_SPLIT: 0
	.section	.text._ZN7rocprim17ROCPRIM_400000_NS6detail17trampoline_kernelINS0_14default_configENS1_25transform_config_selectorItLb0EEEZNS1_14transform_implILb0ES3_S5_NS0_18transform_iteratorINS0_17counting_iteratorImlEEZNS1_24adjacent_difference_implIS3_Lb1ELb0EPtSB_N6thrust23THRUST_200600_302600_NS5minusItEEEE10hipError_tPvRmT2_T3_mT4_P12ihipStream_tbEUlmE_tEESB_NS0_8identityIvEEEESG_SJ_SK_mSL_SN_bEUlT_E_NS1_11comp_targetILNS1_3genE4ELNS1_11target_archE910ELNS1_3gpuE8ELNS1_3repE0EEENS1_30default_config_static_selectorELNS0_4arch9wavefront6targetE1EEEvT1_,"axG",@progbits,_ZN7rocprim17ROCPRIM_400000_NS6detail17trampoline_kernelINS0_14default_configENS1_25transform_config_selectorItLb0EEEZNS1_14transform_implILb0ES3_S5_NS0_18transform_iteratorINS0_17counting_iteratorImlEEZNS1_24adjacent_difference_implIS3_Lb1ELb0EPtSB_N6thrust23THRUST_200600_302600_NS5minusItEEEE10hipError_tPvRmT2_T3_mT4_P12ihipStream_tbEUlmE_tEESB_NS0_8identityIvEEEESG_SJ_SK_mSL_SN_bEUlT_E_NS1_11comp_targetILNS1_3genE4ELNS1_11target_archE910ELNS1_3gpuE8ELNS1_3repE0EEENS1_30default_config_static_selectorELNS0_4arch9wavefront6targetE1EEEvT1_,comdat
	.protected	_ZN7rocprim17ROCPRIM_400000_NS6detail17trampoline_kernelINS0_14default_configENS1_25transform_config_selectorItLb0EEEZNS1_14transform_implILb0ES3_S5_NS0_18transform_iteratorINS0_17counting_iteratorImlEEZNS1_24adjacent_difference_implIS3_Lb1ELb0EPtSB_N6thrust23THRUST_200600_302600_NS5minusItEEEE10hipError_tPvRmT2_T3_mT4_P12ihipStream_tbEUlmE_tEESB_NS0_8identityIvEEEESG_SJ_SK_mSL_SN_bEUlT_E_NS1_11comp_targetILNS1_3genE4ELNS1_11target_archE910ELNS1_3gpuE8ELNS1_3repE0EEENS1_30default_config_static_selectorELNS0_4arch9wavefront6targetE1EEEvT1_ ; -- Begin function _ZN7rocprim17ROCPRIM_400000_NS6detail17trampoline_kernelINS0_14default_configENS1_25transform_config_selectorItLb0EEEZNS1_14transform_implILb0ES3_S5_NS0_18transform_iteratorINS0_17counting_iteratorImlEEZNS1_24adjacent_difference_implIS3_Lb1ELb0EPtSB_N6thrust23THRUST_200600_302600_NS5minusItEEEE10hipError_tPvRmT2_T3_mT4_P12ihipStream_tbEUlmE_tEESB_NS0_8identityIvEEEESG_SJ_SK_mSL_SN_bEUlT_E_NS1_11comp_targetILNS1_3genE4ELNS1_11target_archE910ELNS1_3gpuE8ELNS1_3repE0EEENS1_30default_config_static_selectorELNS0_4arch9wavefront6targetE1EEEvT1_
	.globl	_ZN7rocprim17ROCPRIM_400000_NS6detail17trampoline_kernelINS0_14default_configENS1_25transform_config_selectorItLb0EEEZNS1_14transform_implILb0ES3_S5_NS0_18transform_iteratorINS0_17counting_iteratorImlEEZNS1_24adjacent_difference_implIS3_Lb1ELb0EPtSB_N6thrust23THRUST_200600_302600_NS5minusItEEEE10hipError_tPvRmT2_T3_mT4_P12ihipStream_tbEUlmE_tEESB_NS0_8identityIvEEEESG_SJ_SK_mSL_SN_bEUlT_E_NS1_11comp_targetILNS1_3genE4ELNS1_11target_archE910ELNS1_3gpuE8ELNS1_3repE0EEENS1_30default_config_static_selectorELNS0_4arch9wavefront6targetE1EEEvT1_
	.p2align	8
	.type	_ZN7rocprim17ROCPRIM_400000_NS6detail17trampoline_kernelINS0_14default_configENS1_25transform_config_selectorItLb0EEEZNS1_14transform_implILb0ES3_S5_NS0_18transform_iteratorINS0_17counting_iteratorImlEEZNS1_24adjacent_difference_implIS3_Lb1ELb0EPtSB_N6thrust23THRUST_200600_302600_NS5minusItEEEE10hipError_tPvRmT2_T3_mT4_P12ihipStream_tbEUlmE_tEESB_NS0_8identityIvEEEESG_SJ_SK_mSL_SN_bEUlT_E_NS1_11comp_targetILNS1_3genE4ELNS1_11target_archE910ELNS1_3gpuE8ELNS1_3repE0EEENS1_30default_config_static_selectorELNS0_4arch9wavefront6targetE1EEEvT1_,@function
_ZN7rocprim17ROCPRIM_400000_NS6detail17trampoline_kernelINS0_14default_configENS1_25transform_config_selectorItLb0EEEZNS1_14transform_implILb0ES3_S5_NS0_18transform_iteratorINS0_17counting_iteratorImlEEZNS1_24adjacent_difference_implIS3_Lb1ELb0EPtSB_N6thrust23THRUST_200600_302600_NS5minusItEEEE10hipError_tPvRmT2_T3_mT4_P12ihipStream_tbEUlmE_tEESB_NS0_8identityIvEEEESG_SJ_SK_mSL_SN_bEUlT_E_NS1_11comp_targetILNS1_3genE4ELNS1_11target_archE910ELNS1_3gpuE8ELNS1_3repE0EEENS1_30default_config_static_selectorELNS0_4arch9wavefront6targetE1EEEvT1_: ; @_ZN7rocprim17ROCPRIM_400000_NS6detail17trampoline_kernelINS0_14default_configENS1_25transform_config_selectorItLb0EEEZNS1_14transform_implILb0ES3_S5_NS0_18transform_iteratorINS0_17counting_iteratorImlEEZNS1_24adjacent_difference_implIS3_Lb1ELb0EPtSB_N6thrust23THRUST_200600_302600_NS5minusItEEEE10hipError_tPvRmT2_T3_mT4_P12ihipStream_tbEUlmE_tEESB_NS0_8identityIvEEEESG_SJ_SK_mSL_SN_bEUlT_E_NS1_11comp_targetILNS1_3genE4ELNS1_11target_archE910ELNS1_3gpuE8ELNS1_3repE0EEENS1_30default_config_static_selectorELNS0_4arch9wavefront6targetE1EEEvT1_
; %bb.0:
	s_load_dwordx4 s[0:3], s[4:5], 0x18
	s_load_dwordx2 s[8:9], s[4:5], 0x28
	s_load_dwordx4 s[16:19], s[4:5], 0x0
	s_load_dword s22, s[4:5], 0x10
	s_waitcnt lgkmcnt(0)
	s_load_dword s3, s[4:5], 0x38
                                        ; kill: killed $sgpr4_sgpr5
	s_lshl_b64 s[4:5], s[0:1], 1
	s_add_u32 s26, s8, s4
	s_addc_u32 s27, s9, s5
	s_lshl_b32 s20, s6, 9
	s_waitcnt lgkmcnt(0)
	s_add_i32 s3, s3, -1
	s_add_u32 s4, s16, s20
	s_addc_u32 s5, s17, 0
	s_add_u32 s28, s4, s0
	s_addc_u32 s29, s5, s1
	s_mov_b32 s21, 0
	s_cmp_lg_u32 s6, s3
	v_lshlrev_b32_e32 v1, 1, v0
	s_cbranch_scc0 .LBB324_2
; %bb.1:
	v_mov_b32_e32 v2, s29
	v_add_co_u32_e32 v3, vcc, s28, v0
	v_addc_co_u32_e32 v5, vcc, 0, v2, vcc
	v_mad_u64_u32 v[2:3], s[0:1], v3, s22, 0
	v_mov_b32_e32 v4, v3
	v_mad_u64_u32 v[4:5], s[0:1], v5, s22, v[4:5]
	v_mov_b32_e32 v3, v4
	v_lshlrev_b64 v[2:3], 1, v[2:3]
	s_mov_b32 s23, s21
	v_mov_b32_e32 v4, s19
	v_add_co_u32_e32 v2, vcc, s18, v2
	v_addc_co_u32_e32 v3, vcc, v4, v3, vcc
	s_lshl_b64 s[0:1], s[22:23], 7
	v_mov_b32_e32 v12, s1
	v_add_co_u32_e32 v4, vcc, s0, v2
	v_addc_co_u32_e32 v5, vcc, v3, v12, vcc
	v_add_co_u32_e32 v6, vcc, s0, v4
	v_addc_co_u32_e32 v7, vcc, v5, v12, vcc
	;; [unrolled: 2-line block ×4, first 2 shown]
	global_load_ushort v13, v[2:3], off
	global_load_ushort v14, v[4:5], off
	;; [unrolled: 1-line block ×5, first 2 shown]
	v_add_co_u32_e32 v2, vcc, s0, v10
	v_addc_co_u32_e32 v3, vcc, v11, v12, vcc
	global_load_ushort v4, v[2:3], off
	v_add_co_u32_e32 v2, vcc, s0, v2
	v_addc_co_u32_e32 v3, vcc, v3, v12, vcc
	global_load_ushort v5, v[2:3], off
	;; [unrolled: 3-line block ×3, first 2 shown]
	s_lshl_b64 s[4:5], s[20:21], 1
	s_add_u32 s4, s26, s4
	s_addc_u32 s5, s27, s5
	v_mov_b32_e32 v3, s5
	v_add_co_u32_e32 v6, vcc, s4, v1
	v_addc_co_u32_e32 v7, vcc, 0, v3, vcc
	s_mov_b64 s[16:17], -1
	s_waitcnt vmcnt(7)
	global_store_short v1, v13, s[4:5]
	s_waitcnt vmcnt(7)
	global_store_short v1, v14, s[4:5] offset:128
	s_waitcnt vmcnt(7)
	global_store_short v1, v15, s[4:5] offset:256
	;; [unrolled: 2-line block ×6, first 2 shown]
	s_cbranch_execz .LBB324_3
	s_branch .LBB324_32
.LBB324_2:
	s_mov_b64 s[16:17], 0
                                        ; implicit-def: $vgpr2
                                        ; implicit-def: $vgpr6_vgpr7
.LBB324_3:
	s_sub_i32 s23, s2, s20
	v_cmp_gt_u32_e32 vcc, s23, v0
                                        ; implicit-def: $vgpr2_vgpr3_vgpr4_vgpr5
	s_and_saveexec_b64 s[2:3], vcc
	s_cbranch_execz .LBB324_5
; %bb.4:
	s_waitcnt vmcnt(7)
	v_mov_b32_e32 v2, s29
	v_add_co_u32_e64 v3, s[0:1], s28, v0
	v_addc_co_u32_e64 v5, s[0:1], 0, v2, s[0:1]
	v_mad_u64_u32 v[2:3], s[0:1], v3, s22, 0
	v_mov_b32_e32 v4, v3
	v_mad_u64_u32 v[4:5], s[0:1], v5, s22, v[4:5]
	v_mov_b32_e32 v3, v4
	v_lshlrev_b64 v[2:3], 1, v[2:3]
	v_mov_b32_e32 v4, s19
	v_add_co_u32_e64 v2, s[0:1], s18, v2
	v_addc_co_u32_e64 v3, s[0:1], v4, v3, s[0:1]
	global_load_ushort v2, v[2:3], off
.LBB324_5:
	s_or_b64 exec, exec, s[2:3]
	v_or_b32_e32 v6, 64, v0
	v_cmp_gt_u32_e64 s[0:1], s23, v6
	s_and_saveexec_b64 s[4:5], s[0:1]
	s_cbranch_execz .LBB324_7
; %bb.6:
	v_mov_b32_e32 v7, s29
	v_add_co_u32_e64 v6, s[2:3], s28, v6
	v_addc_co_u32_e64 v9, s[2:3], 0, v7, s[2:3]
	v_mad_u64_u32 v[6:7], s[2:3], v6, s22, 0
	v_mov_b32_e32 v8, v7
	v_mad_u64_u32 v[8:9], s[2:3], v9, s22, v[8:9]
	v_mov_b32_e32 v7, v8
	v_lshlrev_b64 v[6:7], 1, v[6:7]
	v_mov_b32_e32 v8, s19
	v_add_co_u32_e64 v6, s[2:3], s18, v6
	v_addc_co_u32_e64 v7, s[2:3], v8, v7, s[2:3]
	global_load_ushort v6, v[6:7], off
	s_mov_b32 s2, 0x5040100
	s_waitcnt vmcnt(0)
	v_perm_b32 v2, v6, v2, s2
.LBB324_7:
	s_or_b64 exec, exec, s[4:5]
	v_or_b32_e32 v6, 0x80, v0
	v_cmp_gt_u32_e64 s[2:3], s23, v6
	s_and_saveexec_b64 s[6:7], s[2:3]
	s_cbranch_execz .LBB324_9
; %bb.8:
	v_mov_b32_e32 v7, s29
	v_add_co_u32_e64 v6, s[4:5], s28, v6
	v_addc_co_u32_e64 v9, s[4:5], 0, v7, s[4:5]
	v_mad_u64_u32 v[6:7], s[4:5], v6, s22, 0
	v_mov_b32_e32 v8, v7
	v_mad_u64_u32 v[8:9], s[4:5], v9, s22, v[8:9]
	v_mov_b32_e32 v7, v8
	v_lshlrev_b64 v[6:7], 1, v[6:7]
	v_mov_b32_e32 v8, s19
	v_add_co_u32_e64 v6, s[4:5], s18, v6
	v_addc_co_u32_e64 v7, s[4:5], v8, v7, s[4:5]
	global_load_ushort v6, v[6:7], off
	s_mov_b32 s4, 0xffff
	s_waitcnt vmcnt(0)
	v_bfi_b32 v3, s4, v6, v3
.LBB324_9:
	s_or_b64 exec, exec, s[6:7]
	v_or_b32_e32 v6, 0xc0, v0
	v_cmp_gt_u32_e64 s[4:5], s23, v6
	s_and_saveexec_b64 s[8:9], s[4:5]
	s_cbranch_execz .LBB324_11
; %bb.10:
	v_mov_b32_e32 v7, s29
	v_add_co_u32_e64 v6, s[6:7], s28, v6
	v_addc_co_u32_e64 v9, s[6:7], 0, v7, s[6:7]
	v_mad_u64_u32 v[6:7], s[6:7], v6, s22, 0
	v_mov_b32_e32 v8, v7
	v_mad_u64_u32 v[8:9], s[6:7], v9, s22, v[8:9]
	v_mov_b32_e32 v7, v8
	v_lshlrev_b64 v[6:7], 1, v[6:7]
	v_mov_b32_e32 v8, s19
	v_add_co_u32_e64 v6, s[6:7], s18, v6
	v_addc_co_u32_e64 v7, s[6:7], v8, v7, s[6:7]
	global_load_ushort v6, v[6:7], off
	s_mov_b32 s6, 0x5040100
	s_waitcnt vmcnt(0)
	v_perm_b32 v3, v6, v3, s6
.LBB324_11:
	s_or_b64 exec, exec, s[8:9]
	v_or_b32_e32 v6, 0x100, v0
	v_cmp_gt_u32_e64 s[6:7], s23, v6
	s_and_saveexec_b64 s[10:11], s[6:7]
	s_cbranch_execz .LBB324_13
; %bb.12:
	v_mov_b32_e32 v7, s29
	v_add_co_u32_e64 v6, s[8:9], s28, v6
	v_addc_co_u32_e64 v9, s[8:9], 0, v7, s[8:9]
	v_mad_u64_u32 v[6:7], s[8:9], v6, s22, 0
	v_mov_b32_e32 v8, v7
	v_mad_u64_u32 v[8:9], s[8:9], v9, s22, v[8:9]
	v_mov_b32_e32 v7, v8
	v_lshlrev_b64 v[6:7], 1, v[6:7]
	v_mov_b32_e32 v8, s19
	v_add_co_u32_e64 v6, s[8:9], s18, v6
	v_addc_co_u32_e64 v7, s[8:9], v8, v7, s[8:9]
	global_load_ushort v6, v[6:7], off
	s_mov_b32 s8, 0xffff
	s_waitcnt vmcnt(0)
	v_bfi_b32 v4, s8, v6, v4
.LBB324_13:
	;; [unrolled: 44-line block ×3, first 2 shown]
	s_or_b64 exec, exec, s[14:15]
	v_or_b32_e32 v0, 0x1c0, v0
	v_cmp_gt_u32_e64 s[12:13], s23, v0
	s_and_saveexec_b64 s[24:25], s[12:13]
	s_cbranch_execz .LBB324_19
; %bb.18:
	v_mov_b32_e32 v6, s29
	v_add_co_u32_e64 v0, s[14:15], s28, v0
	v_addc_co_u32_e64 v8, s[14:15], 0, v6, s[14:15]
	v_mad_u64_u32 v[6:7], s[14:15], v0, s22, 0
	v_mov_b32_e32 v0, v7
	v_mad_u64_u32 v[8:9], s[14:15], v8, s22, v[0:1]
	v_mov_b32_e32 v7, v8
	v_lshlrev_b64 v[6:7], 1, v[6:7]
	v_mov_b32_e32 v0, s19
	v_add_co_u32_e64 v6, s[14:15], s18, v6
	v_addc_co_u32_e64 v7, s[14:15], v0, v7, s[14:15]
	global_load_ushort v0, v[6:7], off
	s_mov_b32 s14, 0x5040100
	s_waitcnt vmcnt(0)
	v_perm_b32 v5, v0, v5, s14
.LBB324_19:
	s_or_b64 exec, exec, s[24:25]
	s_lshl_b64 s[14:15], s[20:21], 1
	s_add_u32 s14, s26, s14
	s_addc_u32 s15, s27, s15
	v_mov_b32_e32 v0, s15
	v_add_co_u32_e64 v6, s[14:15], s14, v1
	v_addc_co_u32_e64 v7, s[14:15], 0, v0, s[14:15]
	s_and_saveexec_b64 s[14:15], vcc
	s_cbranch_execnz .LBB324_35
; %bb.20:
	s_or_b64 exec, exec, s[14:15]
	s_and_saveexec_b64 s[14:15], s[0:1]
	s_cbranch_execnz .LBB324_36
.LBB324_21:
	s_or_b64 exec, exec, s[14:15]
	s_mov_b32 s14, 0xffff
	s_and_saveexec_b64 s[0:1], s[2:3]
	s_cbranch_execz .LBB324_23
.LBB324_22:
	global_store_short v[6:7], v3, off offset:256
.LBB324_23:
	s_or_b64 exec, exec, s[0:1]
	v_bfi_b32 v0, s14, v3, v3
	v_cndmask_b32_e64 v0, v0, v3, s[4:5]
	s_and_saveexec_b64 s[0:1], s[4:5]
	s_cbranch_execz .LBB324_25
; %bb.24:
	global_store_short_d16_hi v[6:7], v0, off offset:384
.LBB324_25:
	s_or_b64 exec, exec, s[0:1]
	s_mov_b32 s2, 0xffff
	v_cndmask_b32_e64 v0, v4, v4, s[6:7]
	s_and_saveexec_b64 s[0:1], s[6:7]
	s_cbranch_execz .LBB324_27
; %bb.26:
	global_store_short v[6:7], v0, off offset:512
.LBB324_27:
	s_or_b64 exec, exec, s[0:1]
	v_bfi_b32 v0, s2, v0, v4
	v_cndmask_b32_e64 v0, v0, v4, s[8:9]
	s_and_saveexec_b64 s[0:1], s[8:9]
	s_cbranch_execnz .LBB324_37
; %bb.28:
	s_or_b64 exec, exec, s[0:1]
	s_and_saveexec_b64 s[0:1], s[10:11]
	s_cbranch_execnz .LBB324_38
.LBB324_29:
	s_or_b64 exec, exec, s[0:1]
                                        ; implicit-def: $vgpr2
	s_and_saveexec_b64 s[0:1], s[12:13]
	s_cbranch_execz .LBB324_31
.LBB324_30:
	v_cndmask_b32_e64 v0, v5, v5, s[12:13]
	s_waitcnt vmcnt(0)
	v_lshrrev_b32_e32 v2, 16, v0
	s_or_b64 s[16:17], s[16:17], exec
.LBB324_31:
	s_or_b64 exec, exec, s[0:1]
.LBB324_32:
	s_and_saveexec_b64 s[0:1], s[16:17]
	s_cbranch_execnz .LBB324_34
; %bb.33:
	s_endpgm
.LBB324_34:
	s_waitcnt vmcnt(0)
	global_store_short v[6:7], v2, off offset:896
	s_endpgm
.LBB324_35:
	s_waitcnt vmcnt(0)
	global_store_short v[6:7], v2, off
	s_or_b64 exec, exec, s[14:15]
	s_and_saveexec_b64 s[14:15], s[0:1]
	s_cbranch_execz .LBB324_21
.LBB324_36:
	s_waitcnt vmcnt(0)
	global_store_short_d16_hi v[6:7], v2, off offset:128
	s_or_b64 exec, exec, s[14:15]
	s_mov_b32 s14, 0xffff
	s_and_saveexec_b64 s[0:1], s[2:3]
	s_cbranch_execnz .LBB324_22
	s_branch .LBB324_23
.LBB324_37:
	global_store_short_d16_hi v[6:7], v0, off offset:640
	s_or_b64 exec, exec, s[0:1]
	s_and_saveexec_b64 s[0:1], s[10:11]
	s_cbranch_execz .LBB324_29
.LBB324_38:
	v_cndmask_b32_e64 v0, v5, v5, s[10:11]
	global_store_short v[6:7], v0, off offset:768
	s_or_b64 exec, exec, s[0:1]
                                        ; implicit-def: $vgpr2
	s_and_saveexec_b64 s[0:1], s[12:13]
	s_cbranch_execnz .LBB324_30
	s_branch .LBB324_31
	.section	.rodata,"a",@progbits
	.p2align	6, 0x0
	.amdhsa_kernel _ZN7rocprim17ROCPRIM_400000_NS6detail17trampoline_kernelINS0_14default_configENS1_25transform_config_selectorItLb0EEEZNS1_14transform_implILb0ES3_S5_NS0_18transform_iteratorINS0_17counting_iteratorImlEEZNS1_24adjacent_difference_implIS3_Lb1ELb0EPtSB_N6thrust23THRUST_200600_302600_NS5minusItEEEE10hipError_tPvRmT2_T3_mT4_P12ihipStream_tbEUlmE_tEESB_NS0_8identityIvEEEESG_SJ_SK_mSL_SN_bEUlT_E_NS1_11comp_targetILNS1_3genE4ELNS1_11target_archE910ELNS1_3gpuE8ELNS1_3repE0EEENS1_30default_config_static_selectorELNS0_4arch9wavefront6targetE1EEEvT1_
		.amdhsa_group_segment_fixed_size 0
		.amdhsa_private_segment_fixed_size 0
		.amdhsa_kernarg_size 312
		.amdhsa_user_sgpr_count 6
		.amdhsa_user_sgpr_private_segment_buffer 1
		.amdhsa_user_sgpr_dispatch_ptr 0
		.amdhsa_user_sgpr_queue_ptr 0
		.amdhsa_user_sgpr_kernarg_segment_ptr 1
		.amdhsa_user_sgpr_dispatch_id 0
		.amdhsa_user_sgpr_flat_scratch_init 0
		.amdhsa_user_sgpr_kernarg_preload_length 0
		.amdhsa_user_sgpr_kernarg_preload_offset 0
		.amdhsa_user_sgpr_private_segment_size 0
		.amdhsa_uses_dynamic_stack 0
		.amdhsa_system_sgpr_private_segment_wavefront_offset 0
		.amdhsa_system_sgpr_workgroup_id_x 1
		.amdhsa_system_sgpr_workgroup_id_y 0
		.amdhsa_system_sgpr_workgroup_id_z 0
		.amdhsa_system_sgpr_workgroup_info 0
		.amdhsa_system_vgpr_workitem_id 0
		.amdhsa_next_free_vgpr 18
		.amdhsa_next_free_sgpr 30
		.amdhsa_accum_offset 20
		.amdhsa_reserve_vcc 1
		.amdhsa_reserve_flat_scratch 0
		.amdhsa_float_round_mode_32 0
		.amdhsa_float_round_mode_16_64 0
		.amdhsa_float_denorm_mode_32 3
		.amdhsa_float_denorm_mode_16_64 3
		.amdhsa_dx10_clamp 1
		.amdhsa_ieee_mode 1
		.amdhsa_fp16_overflow 0
		.amdhsa_tg_split 0
		.amdhsa_exception_fp_ieee_invalid_op 0
		.amdhsa_exception_fp_denorm_src 0
		.amdhsa_exception_fp_ieee_div_zero 0
		.amdhsa_exception_fp_ieee_overflow 0
		.amdhsa_exception_fp_ieee_underflow 0
		.amdhsa_exception_fp_ieee_inexact 0
		.amdhsa_exception_int_div_zero 0
	.end_amdhsa_kernel
	.section	.text._ZN7rocprim17ROCPRIM_400000_NS6detail17trampoline_kernelINS0_14default_configENS1_25transform_config_selectorItLb0EEEZNS1_14transform_implILb0ES3_S5_NS0_18transform_iteratorINS0_17counting_iteratorImlEEZNS1_24adjacent_difference_implIS3_Lb1ELb0EPtSB_N6thrust23THRUST_200600_302600_NS5minusItEEEE10hipError_tPvRmT2_T3_mT4_P12ihipStream_tbEUlmE_tEESB_NS0_8identityIvEEEESG_SJ_SK_mSL_SN_bEUlT_E_NS1_11comp_targetILNS1_3genE4ELNS1_11target_archE910ELNS1_3gpuE8ELNS1_3repE0EEENS1_30default_config_static_selectorELNS0_4arch9wavefront6targetE1EEEvT1_,"axG",@progbits,_ZN7rocprim17ROCPRIM_400000_NS6detail17trampoline_kernelINS0_14default_configENS1_25transform_config_selectorItLb0EEEZNS1_14transform_implILb0ES3_S5_NS0_18transform_iteratorINS0_17counting_iteratorImlEEZNS1_24adjacent_difference_implIS3_Lb1ELb0EPtSB_N6thrust23THRUST_200600_302600_NS5minusItEEEE10hipError_tPvRmT2_T3_mT4_P12ihipStream_tbEUlmE_tEESB_NS0_8identityIvEEEESG_SJ_SK_mSL_SN_bEUlT_E_NS1_11comp_targetILNS1_3genE4ELNS1_11target_archE910ELNS1_3gpuE8ELNS1_3repE0EEENS1_30default_config_static_selectorELNS0_4arch9wavefront6targetE1EEEvT1_,comdat
.Lfunc_end324:
	.size	_ZN7rocprim17ROCPRIM_400000_NS6detail17trampoline_kernelINS0_14default_configENS1_25transform_config_selectorItLb0EEEZNS1_14transform_implILb0ES3_S5_NS0_18transform_iteratorINS0_17counting_iteratorImlEEZNS1_24adjacent_difference_implIS3_Lb1ELb0EPtSB_N6thrust23THRUST_200600_302600_NS5minusItEEEE10hipError_tPvRmT2_T3_mT4_P12ihipStream_tbEUlmE_tEESB_NS0_8identityIvEEEESG_SJ_SK_mSL_SN_bEUlT_E_NS1_11comp_targetILNS1_3genE4ELNS1_11target_archE910ELNS1_3gpuE8ELNS1_3repE0EEENS1_30default_config_static_selectorELNS0_4arch9wavefront6targetE1EEEvT1_, .Lfunc_end324-_ZN7rocprim17ROCPRIM_400000_NS6detail17trampoline_kernelINS0_14default_configENS1_25transform_config_selectorItLb0EEEZNS1_14transform_implILb0ES3_S5_NS0_18transform_iteratorINS0_17counting_iteratorImlEEZNS1_24adjacent_difference_implIS3_Lb1ELb0EPtSB_N6thrust23THRUST_200600_302600_NS5minusItEEEE10hipError_tPvRmT2_T3_mT4_P12ihipStream_tbEUlmE_tEESB_NS0_8identityIvEEEESG_SJ_SK_mSL_SN_bEUlT_E_NS1_11comp_targetILNS1_3genE4ELNS1_11target_archE910ELNS1_3gpuE8ELNS1_3repE0EEENS1_30default_config_static_selectorELNS0_4arch9wavefront6targetE1EEEvT1_
                                        ; -- End function
	.section	.AMDGPU.csdata,"",@progbits
; Kernel info:
; codeLenInByte = 1776
; NumSgprs: 34
; NumVgprs: 18
; NumAgprs: 0
; TotalNumVgprs: 18
; ScratchSize: 0
; MemoryBound: 0
; FloatMode: 240
; IeeeMode: 1
; LDSByteSize: 0 bytes/workgroup (compile time only)
; SGPRBlocks: 4
; VGPRBlocks: 2
; NumSGPRsForWavesPerEU: 34
; NumVGPRsForWavesPerEU: 18
; AccumOffset: 20
; Occupancy: 8
; WaveLimiterHint : 1
; COMPUTE_PGM_RSRC2:SCRATCH_EN: 0
; COMPUTE_PGM_RSRC2:USER_SGPR: 6
; COMPUTE_PGM_RSRC2:TRAP_HANDLER: 0
; COMPUTE_PGM_RSRC2:TGID_X_EN: 1
; COMPUTE_PGM_RSRC2:TGID_Y_EN: 0
; COMPUTE_PGM_RSRC2:TGID_Z_EN: 0
; COMPUTE_PGM_RSRC2:TIDIG_COMP_CNT: 0
; COMPUTE_PGM_RSRC3_GFX90A:ACCUM_OFFSET: 4
; COMPUTE_PGM_RSRC3_GFX90A:TG_SPLIT: 0
	.section	.text._ZN7rocprim17ROCPRIM_400000_NS6detail17trampoline_kernelINS0_14default_configENS1_25transform_config_selectorItLb0EEEZNS1_14transform_implILb0ES3_S5_NS0_18transform_iteratorINS0_17counting_iteratorImlEEZNS1_24adjacent_difference_implIS3_Lb1ELb0EPtSB_N6thrust23THRUST_200600_302600_NS5minusItEEEE10hipError_tPvRmT2_T3_mT4_P12ihipStream_tbEUlmE_tEESB_NS0_8identityIvEEEESG_SJ_SK_mSL_SN_bEUlT_E_NS1_11comp_targetILNS1_3genE3ELNS1_11target_archE908ELNS1_3gpuE7ELNS1_3repE0EEENS1_30default_config_static_selectorELNS0_4arch9wavefront6targetE1EEEvT1_,"axG",@progbits,_ZN7rocprim17ROCPRIM_400000_NS6detail17trampoline_kernelINS0_14default_configENS1_25transform_config_selectorItLb0EEEZNS1_14transform_implILb0ES3_S5_NS0_18transform_iteratorINS0_17counting_iteratorImlEEZNS1_24adjacent_difference_implIS3_Lb1ELb0EPtSB_N6thrust23THRUST_200600_302600_NS5minusItEEEE10hipError_tPvRmT2_T3_mT4_P12ihipStream_tbEUlmE_tEESB_NS0_8identityIvEEEESG_SJ_SK_mSL_SN_bEUlT_E_NS1_11comp_targetILNS1_3genE3ELNS1_11target_archE908ELNS1_3gpuE7ELNS1_3repE0EEENS1_30default_config_static_selectorELNS0_4arch9wavefront6targetE1EEEvT1_,comdat
	.protected	_ZN7rocprim17ROCPRIM_400000_NS6detail17trampoline_kernelINS0_14default_configENS1_25transform_config_selectorItLb0EEEZNS1_14transform_implILb0ES3_S5_NS0_18transform_iteratorINS0_17counting_iteratorImlEEZNS1_24adjacent_difference_implIS3_Lb1ELb0EPtSB_N6thrust23THRUST_200600_302600_NS5minusItEEEE10hipError_tPvRmT2_T3_mT4_P12ihipStream_tbEUlmE_tEESB_NS0_8identityIvEEEESG_SJ_SK_mSL_SN_bEUlT_E_NS1_11comp_targetILNS1_3genE3ELNS1_11target_archE908ELNS1_3gpuE7ELNS1_3repE0EEENS1_30default_config_static_selectorELNS0_4arch9wavefront6targetE1EEEvT1_ ; -- Begin function _ZN7rocprim17ROCPRIM_400000_NS6detail17trampoline_kernelINS0_14default_configENS1_25transform_config_selectorItLb0EEEZNS1_14transform_implILb0ES3_S5_NS0_18transform_iteratorINS0_17counting_iteratorImlEEZNS1_24adjacent_difference_implIS3_Lb1ELb0EPtSB_N6thrust23THRUST_200600_302600_NS5minusItEEEE10hipError_tPvRmT2_T3_mT4_P12ihipStream_tbEUlmE_tEESB_NS0_8identityIvEEEESG_SJ_SK_mSL_SN_bEUlT_E_NS1_11comp_targetILNS1_3genE3ELNS1_11target_archE908ELNS1_3gpuE7ELNS1_3repE0EEENS1_30default_config_static_selectorELNS0_4arch9wavefront6targetE1EEEvT1_
	.globl	_ZN7rocprim17ROCPRIM_400000_NS6detail17trampoline_kernelINS0_14default_configENS1_25transform_config_selectorItLb0EEEZNS1_14transform_implILb0ES3_S5_NS0_18transform_iteratorINS0_17counting_iteratorImlEEZNS1_24adjacent_difference_implIS3_Lb1ELb0EPtSB_N6thrust23THRUST_200600_302600_NS5minusItEEEE10hipError_tPvRmT2_T3_mT4_P12ihipStream_tbEUlmE_tEESB_NS0_8identityIvEEEESG_SJ_SK_mSL_SN_bEUlT_E_NS1_11comp_targetILNS1_3genE3ELNS1_11target_archE908ELNS1_3gpuE7ELNS1_3repE0EEENS1_30default_config_static_selectorELNS0_4arch9wavefront6targetE1EEEvT1_
	.p2align	8
	.type	_ZN7rocprim17ROCPRIM_400000_NS6detail17trampoline_kernelINS0_14default_configENS1_25transform_config_selectorItLb0EEEZNS1_14transform_implILb0ES3_S5_NS0_18transform_iteratorINS0_17counting_iteratorImlEEZNS1_24adjacent_difference_implIS3_Lb1ELb0EPtSB_N6thrust23THRUST_200600_302600_NS5minusItEEEE10hipError_tPvRmT2_T3_mT4_P12ihipStream_tbEUlmE_tEESB_NS0_8identityIvEEEESG_SJ_SK_mSL_SN_bEUlT_E_NS1_11comp_targetILNS1_3genE3ELNS1_11target_archE908ELNS1_3gpuE7ELNS1_3repE0EEENS1_30default_config_static_selectorELNS0_4arch9wavefront6targetE1EEEvT1_,@function
_ZN7rocprim17ROCPRIM_400000_NS6detail17trampoline_kernelINS0_14default_configENS1_25transform_config_selectorItLb0EEEZNS1_14transform_implILb0ES3_S5_NS0_18transform_iteratorINS0_17counting_iteratorImlEEZNS1_24adjacent_difference_implIS3_Lb1ELb0EPtSB_N6thrust23THRUST_200600_302600_NS5minusItEEEE10hipError_tPvRmT2_T3_mT4_P12ihipStream_tbEUlmE_tEESB_NS0_8identityIvEEEESG_SJ_SK_mSL_SN_bEUlT_E_NS1_11comp_targetILNS1_3genE3ELNS1_11target_archE908ELNS1_3gpuE7ELNS1_3repE0EEENS1_30default_config_static_selectorELNS0_4arch9wavefront6targetE1EEEvT1_: ; @_ZN7rocprim17ROCPRIM_400000_NS6detail17trampoline_kernelINS0_14default_configENS1_25transform_config_selectorItLb0EEEZNS1_14transform_implILb0ES3_S5_NS0_18transform_iteratorINS0_17counting_iteratorImlEEZNS1_24adjacent_difference_implIS3_Lb1ELb0EPtSB_N6thrust23THRUST_200600_302600_NS5minusItEEEE10hipError_tPvRmT2_T3_mT4_P12ihipStream_tbEUlmE_tEESB_NS0_8identityIvEEEESG_SJ_SK_mSL_SN_bEUlT_E_NS1_11comp_targetILNS1_3genE3ELNS1_11target_archE908ELNS1_3gpuE7ELNS1_3repE0EEENS1_30default_config_static_selectorELNS0_4arch9wavefront6targetE1EEEvT1_
; %bb.0:
	.section	.rodata,"a",@progbits
	.p2align	6, 0x0
	.amdhsa_kernel _ZN7rocprim17ROCPRIM_400000_NS6detail17trampoline_kernelINS0_14default_configENS1_25transform_config_selectorItLb0EEEZNS1_14transform_implILb0ES3_S5_NS0_18transform_iteratorINS0_17counting_iteratorImlEEZNS1_24adjacent_difference_implIS3_Lb1ELb0EPtSB_N6thrust23THRUST_200600_302600_NS5minusItEEEE10hipError_tPvRmT2_T3_mT4_P12ihipStream_tbEUlmE_tEESB_NS0_8identityIvEEEESG_SJ_SK_mSL_SN_bEUlT_E_NS1_11comp_targetILNS1_3genE3ELNS1_11target_archE908ELNS1_3gpuE7ELNS1_3repE0EEENS1_30default_config_static_selectorELNS0_4arch9wavefront6targetE1EEEvT1_
		.amdhsa_group_segment_fixed_size 0
		.amdhsa_private_segment_fixed_size 0
		.amdhsa_kernarg_size 56
		.amdhsa_user_sgpr_count 6
		.amdhsa_user_sgpr_private_segment_buffer 1
		.amdhsa_user_sgpr_dispatch_ptr 0
		.amdhsa_user_sgpr_queue_ptr 0
		.amdhsa_user_sgpr_kernarg_segment_ptr 1
		.amdhsa_user_sgpr_dispatch_id 0
		.amdhsa_user_sgpr_flat_scratch_init 0
		.amdhsa_user_sgpr_kernarg_preload_length 0
		.amdhsa_user_sgpr_kernarg_preload_offset 0
		.amdhsa_user_sgpr_private_segment_size 0
		.amdhsa_uses_dynamic_stack 0
		.amdhsa_system_sgpr_private_segment_wavefront_offset 0
		.amdhsa_system_sgpr_workgroup_id_x 1
		.amdhsa_system_sgpr_workgroup_id_y 0
		.amdhsa_system_sgpr_workgroup_id_z 0
		.amdhsa_system_sgpr_workgroup_info 0
		.amdhsa_system_vgpr_workitem_id 0
		.amdhsa_next_free_vgpr 1
		.amdhsa_next_free_sgpr 0
		.amdhsa_accum_offset 4
		.amdhsa_reserve_vcc 0
		.amdhsa_reserve_flat_scratch 0
		.amdhsa_float_round_mode_32 0
		.amdhsa_float_round_mode_16_64 0
		.amdhsa_float_denorm_mode_32 3
		.amdhsa_float_denorm_mode_16_64 3
		.amdhsa_dx10_clamp 1
		.amdhsa_ieee_mode 1
		.amdhsa_fp16_overflow 0
		.amdhsa_tg_split 0
		.amdhsa_exception_fp_ieee_invalid_op 0
		.amdhsa_exception_fp_denorm_src 0
		.amdhsa_exception_fp_ieee_div_zero 0
		.amdhsa_exception_fp_ieee_overflow 0
		.amdhsa_exception_fp_ieee_underflow 0
		.amdhsa_exception_fp_ieee_inexact 0
		.amdhsa_exception_int_div_zero 0
	.end_amdhsa_kernel
	.section	.text._ZN7rocprim17ROCPRIM_400000_NS6detail17trampoline_kernelINS0_14default_configENS1_25transform_config_selectorItLb0EEEZNS1_14transform_implILb0ES3_S5_NS0_18transform_iteratorINS0_17counting_iteratorImlEEZNS1_24adjacent_difference_implIS3_Lb1ELb0EPtSB_N6thrust23THRUST_200600_302600_NS5minusItEEEE10hipError_tPvRmT2_T3_mT4_P12ihipStream_tbEUlmE_tEESB_NS0_8identityIvEEEESG_SJ_SK_mSL_SN_bEUlT_E_NS1_11comp_targetILNS1_3genE3ELNS1_11target_archE908ELNS1_3gpuE7ELNS1_3repE0EEENS1_30default_config_static_selectorELNS0_4arch9wavefront6targetE1EEEvT1_,"axG",@progbits,_ZN7rocprim17ROCPRIM_400000_NS6detail17trampoline_kernelINS0_14default_configENS1_25transform_config_selectorItLb0EEEZNS1_14transform_implILb0ES3_S5_NS0_18transform_iteratorINS0_17counting_iteratorImlEEZNS1_24adjacent_difference_implIS3_Lb1ELb0EPtSB_N6thrust23THRUST_200600_302600_NS5minusItEEEE10hipError_tPvRmT2_T3_mT4_P12ihipStream_tbEUlmE_tEESB_NS0_8identityIvEEEESG_SJ_SK_mSL_SN_bEUlT_E_NS1_11comp_targetILNS1_3genE3ELNS1_11target_archE908ELNS1_3gpuE7ELNS1_3repE0EEENS1_30default_config_static_selectorELNS0_4arch9wavefront6targetE1EEEvT1_,comdat
.Lfunc_end325:
	.size	_ZN7rocprim17ROCPRIM_400000_NS6detail17trampoline_kernelINS0_14default_configENS1_25transform_config_selectorItLb0EEEZNS1_14transform_implILb0ES3_S5_NS0_18transform_iteratorINS0_17counting_iteratorImlEEZNS1_24adjacent_difference_implIS3_Lb1ELb0EPtSB_N6thrust23THRUST_200600_302600_NS5minusItEEEE10hipError_tPvRmT2_T3_mT4_P12ihipStream_tbEUlmE_tEESB_NS0_8identityIvEEEESG_SJ_SK_mSL_SN_bEUlT_E_NS1_11comp_targetILNS1_3genE3ELNS1_11target_archE908ELNS1_3gpuE7ELNS1_3repE0EEENS1_30default_config_static_selectorELNS0_4arch9wavefront6targetE1EEEvT1_, .Lfunc_end325-_ZN7rocprim17ROCPRIM_400000_NS6detail17trampoline_kernelINS0_14default_configENS1_25transform_config_selectorItLb0EEEZNS1_14transform_implILb0ES3_S5_NS0_18transform_iteratorINS0_17counting_iteratorImlEEZNS1_24adjacent_difference_implIS3_Lb1ELb0EPtSB_N6thrust23THRUST_200600_302600_NS5minusItEEEE10hipError_tPvRmT2_T3_mT4_P12ihipStream_tbEUlmE_tEESB_NS0_8identityIvEEEESG_SJ_SK_mSL_SN_bEUlT_E_NS1_11comp_targetILNS1_3genE3ELNS1_11target_archE908ELNS1_3gpuE7ELNS1_3repE0EEENS1_30default_config_static_selectorELNS0_4arch9wavefront6targetE1EEEvT1_
                                        ; -- End function
	.section	.AMDGPU.csdata,"",@progbits
; Kernel info:
; codeLenInByte = 0
; NumSgprs: 4
; NumVgprs: 0
; NumAgprs: 0
; TotalNumVgprs: 0
; ScratchSize: 0
; MemoryBound: 0
; FloatMode: 240
; IeeeMode: 1
; LDSByteSize: 0 bytes/workgroup (compile time only)
; SGPRBlocks: 0
; VGPRBlocks: 0
; NumSGPRsForWavesPerEU: 4
; NumVGPRsForWavesPerEU: 1
; AccumOffset: 4
; Occupancy: 8
; WaveLimiterHint : 0
; COMPUTE_PGM_RSRC2:SCRATCH_EN: 0
; COMPUTE_PGM_RSRC2:USER_SGPR: 6
; COMPUTE_PGM_RSRC2:TRAP_HANDLER: 0
; COMPUTE_PGM_RSRC2:TGID_X_EN: 1
; COMPUTE_PGM_RSRC2:TGID_Y_EN: 0
; COMPUTE_PGM_RSRC2:TGID_Z_EN: 0
; COMPUTE_PGM_RSRC2:TIDIG_COMP_CNT: 0
; COMPUTE_PGM_RSRC3_GFX90A:ACCUM_OFFSET: 0
; COMPUTE_PGM_RSRC3_GFX90A:TG_SPLIT: 0
	.section	.text._ZN7rocprim17ROCPRIM_400000_NS6detail17trampoline_kernelINS0_14default_configENS1_25transform_config_selectorItLb0EEEZNS1_14transform_implILb0ES3_S5_NS0_18transform_iteratorINS0_17counting_iteratorImlEEZNS1_24adjacent_difference_implIS3_Lb1ELb0EPtSB_N6thrust23THRUST_200600_302600_NS5minusItEEEE10hipError_tPvRmT2_T3_mT4_P12ihipStream_tbEUlmE_tEESB_NS0_8identityIvEEEESG_SJ_SK_mSL_SN_bEUlT_E_NS1_11comp_targetILNS1_3genE2ELNS1_11target_archE906ELNS1_3gpuE6ELNS1_3repE0EEENS1_30default_config_static_selectorELNS0_4arch9wavefront6targetE1EEEvT1_,"axG",@progbits,_ZN7rocprim17ROCPRIM_400000_NS6detail17trampoline_kernelINS0_14default_configENS1_25transform_config_selectorItLb0EEEZNS1_14transform_implILb0ES3_S5_NS0_18transform_iteratorINS0_17counting_iteratorImlEEZNS1_24adjacent_difference_implIS3_Lb1ELb0EPtSB_N6thrust23THRUST_200600_302600_NS5minusItEEEE10hipError_tPvRmT2_T3_mT4_P12ihipStream_tbEUlmE_tEESB_NS0_8identityIvEEEESG_SJ_SK_mSL_SN_bEUlT_E_NS1_11comp_targetILNS1_3genE2ELNS1_11target_archE906ELNS1_3gpuE6ELNS1_3repE0EEENS1_30default_config_static_selectorELNS0_4arch9wavefront6targetE1EEEvT1_,comdat
	.protected	_ZN7rocprim17ROCPRIM_400000_NS6detail17trampoline_kernelINS0_14default_configENS1_25transform_config_selectorItLb0EEEZNS1_14transform_implILb0ES3_S5_NS0_18transform_iteratorINS0_17counting_iteratorImlEEZNS1_24adjacent_difference_implIS3_Lb1ELb0EPtSB_N6thrust23THRUST_200600_302600_NS5minusItEEEE10hipError_tPvRmT2_T3_mT4_P12ihipStream_tbEUlmE_tEESB_NS0_8identityIvEEEESG_SJ_SK_mSL_SN_bEUlT_E_NS1_11comp_targetILNS1_3genE2ELNS1_11target_archE906ELNS1_3gpuE6ELNS1_3repE0EEENS1_30default_config_static_selectorELNS0_4arch9wavefront6targetE1EEEvT1_ ; -- Begin function _ZN7rocprim17ROCPRIM_400000_NS6detail17trampoline_kernelINS0_14default_configENS1_25transform_config_selectorItLb0EEEZNS1_14transform_implILb0ES3_S5_NS0_18transform_iteratorINS0_17counting_iteratorImlEEZNS1_24adjacent_difference_implIS3_Lb1ELb0EPtSB_N6thrust23THRUST_200600_302600_NS5minusItEEEE10hipError_tPvRmT2_T3_mT4_P12ihipStream_tbEUlmE_tEESB_NS0_8identityIvEEEESG_SJ_SK_mSL_SN_bEUlT_E_NS1_11comp_targetILNS1_3genE2ELNS1_11target_archE906ELNS1_3gpuE6ELNS1_3repE0EEENS1_30default_config_static_selectorELNS0_4arch9wavefront6targetE1EEEvT1_
	.globl	_ZN7rocprim17ROCPRIM_400000_NS6detail17trampoline_kernelINS0_14default_configENS1_25transform_config_selectorItLb0EEEZNS1_14transform_implILb0ES3_S5_NS0_18transform_iteratorINS0_17counting_iteratorImlEEZNS1_24adjacent_difference_implIS3_Lb1ELb0EPtSB_N6thrust23THRUST_200600_302600_NS5minusItEEEE10hipError_tPvRmT2_T3_mT4_P12ihipStream_tbEUlmE_tEESB_NS0_8identityIvEEEESG_SJ_SK_mSL_SN_bEUlT_E_NS1_11comp_targetILNS1_3genE2ELNS1_11target_archE906ELNS1_3gpuE6ELNS1_3repE0EEENS1_30default_config_static_selectorELNS0_4arch9wavefront6targetE1EEEvT1_
	.p2align	8
	.type	_ZN7rocprim17ROCPRIM_400000_NS6detail17trampoline_kernelINS0_14default_configENS1_25transform_config_selectorItLb0EEEZNS1_14transform_implILb0ES3_S5_NS0_18transform_iteratorINS0_17counting_iteratorImlEEZNS1_24adjacent_difference_implIS3_Lb1ELb0EPtSB_N6thrust23THRUST_200600_302600_NS5minusItEEEE10hipError_tPvRmT2_T3_mT4_P12ihipStream_tbEUlmE_tEESB_NS0_8identityIvEEEESG_SJ_SK_mSL_SN_bEUlT_E_NS1_11comp_targetILNS1_3genE2ELNS1_11target_archE906ELNS1_3gpuE6ELNS1_3repE0EEENS1_30default_config_static_selectorELNS0_4arch9wavefront6targetE1EEEvT1_,@function
_ZN7rocprim17ROCPRIM_400000_NS6detail17trampoline_kernelINS0_14default_configENS1_25transform_config_selectorItLb0EEEZNS1_14transform_implILb0ES3_S5_NS0_18transform_iteratorINS0_17counting_iteratorImlEEZNS1_24adjacent_difference_implIS3_Lb1ELb0EPtSB_N6thrust23THRUST_200600_302600_NS5minusItEEEE10hipError_tPvRmT2_T3_mT4_P12ihipStream_tbEUlmE_tEESB_NS0_8identityIvEEEESG_SJ_SK_mSL_SN_bEUlT_E_NS1_11comp_targetILNS1_3genE2ELNS1_11target_archE906ELNS1_3gpuE6ELNS1_3repE0EEENS1_30default_config_static_selectorELNS0_4arch9wavefront6targetE1EEEvT1_: ; @_ZN7rocprim17ROCPRIM_400000_NS6detail17trampoline_kernelINS0_14default_configENS1_25transform_config_selectorItLb0EEEZNS1_14transform_implILb0ES3_S5_NS0_18transform_iteratorINS0_17counting_iteratorImlEEZNS1_24adjacent_difference_implIS3_Lb1ELb0EPtSB_N6thrust23THRUST_200600_302600_NS5minusItEEEE10hipError_tPvRmT2_T3_mT4_P12ihipStream_tbEUlmE_tEESB_NS0_8identityIvEEEESG_SJ_SK_mSL_SN_bEUlT_E_NS1_11comp_targetILNS1_3genE2ELNS1_11target_archE906ELNS1_3gpuE6ELNS1_3repE0EEENS1_30default_config_static_selectorELNS0_4arch9wavefront6targetE1EEEvT1_
; %bb.0:
	.section	.rodata,"a",@progbits
	.p2align	6, 0x0
	.amdhsa_kernel _ZN7rocprim17ROCPRIM_400000_NS6detail17trampoline_kernelINS0_14default_configENS1_25transform_config_selectorItLb0EEEZNS1_14transform_implILb0ES3_S5_NS0_18transform_iteratorINS0_17counting_iteratorImlEEZNS1_24adjacent_difference_implIS3_Lb1ELb0EPtSB_N6thrust23THRUST_200600_302600_NS5minusItEEEE10hipError_tPvRmT2_T3_mT4_P12ihipStream_tbEUlmE_tEESB_NS0_8identityIvEEEESG_SJ_SK_mSL_SN_bEUlT_E_NS1_11comp_targetILNS1_3genE2ELNS1_11target_archE906ELNS1_3gpuE6ELNS1_3repE0EEENS1_30default_config_static_selectorELNS0_4arch9wavefront6targetE1EEEvT1_
		.amdhsa_group_segment_fixed_size 0
		.amdhsa_private_segment_fixed_size 0
		.amdhsa_kernarg_size 56
		.amdhsa_user_sgpr_count 6
		.amdhsa_user_sgpr_private_segment_buffer 1
		.amdhsa_user_sgpr_dispatch_ptr 0
		.amdhsa_user_sgpr_queue_ptr 0
		.amdhsa_user_sgpr_kernarg_segment_ptr 1
		.amdhsa_user_sgpr_dispatch_id 0
		.amdhsa_user_sgpr_flat_scratch_init 0
		.amdhsa_user_sgpr_kernarg_preload_length 0
		.amdhsa_user_sgpr_kernarg_preload_offset 0
		.amdhsa_user_sgpr_private_segment_size 0
		.amdhsa_uses_dynamic_stack 0
		.amdhsa_system_sgpr_private_segment_wavefront_offset 0
		.amdhsa_system_sgpr_workgroup_id_x 1
		.amdhsa_system_sgpr_workgroup_id_y 0
		.amdhsa_system_sgpr_workgroup_id_z 0
		.amdhsa_system_sgpr_workgroup_info 0
		.amdhsa_system_vgpr_workitem_id 0
		.amdhsa_next_free_vgpr 1
		.amdhsa_next_free_sgpr 0
		.amdhsa_accum_offset 4
		.amdhsa_reserve_vcc 0
		.amdhsa_reserve_flat_scratch 0
		.amdhsa_float_round_mode_32 0
		.amdhsa_float_round_mode_16_64 0
		.amdhsa_float_denorm_mode_32 3
		.amdhsa_float_denorm_mode_16_64 3
		.amdhsa_dx10_clamp 1
		.amdhsa_ieee_mode 1
		.amdhsa_fp16_overflow 0
		.amdhsa_tg_split 0
		.amdhsa_exception_fp_ieee_invalid_op 0
		.amdhsa_exception_fp_denorm_src 0
		.amdhsa_exception_fp_ieee_div_zero 0
		.amdhsa_exception_fp_ieee_overflow 0
		.amdhsa_exception_fp_ieee_underflow 0
		.amdhsa_exception_fp_ieee_inexact 0
		.amdhsa_exception_int_div_zero 0
	.end_amdhsa_kernel
	.section	.text._ZN7rocprim17ROCPRIM_400000_NS6detail17trampoline_kernelINS0_14default_configENS1_25transform_config_selectorItLb0EEEZNS1_14transform_implILb0ES3_S5_NS0_18transform_iteratorINS0_17counting_iteratorImlEEZNS1_24adjacent_difference_implIS3_Lb1ELb0EPtSB_N6thrust23THRUST_200600_302600_NS5minusItEEEE10hipError_tPvRmT2_T3_mT4_P12ihipStream_tbEUlmE_tEESB_NS0_8identityIvEEEESG_SJ_SK_mSL_SN_bEUlT_E_NS1_11comp_targetILNS1_3genE2ELNS1_11target_archE906ELNS1_3gpuE6ELNS1_3repE0EEENS1_30default_config_static_selectorELNS0_4arch9wavefront6targetE1EEEvT1_,"axG",@progbits,_ZN7rocprim17ROCPRIM_400000_NS6detail17trampoline_kernelINS0_14default_configENS1_25transform_config_selectorItLb0EEEZNS1_14transform_implILb0ES3_S5_NS0_18transform_iteratorINS0_17counting_iteratorImlEEZNS1_24adjacent_difference_implIS3_Lb1ELb0EPtSB_N6thrust23THRUST_200600_302600_NS5minusItEEEE10hipError_tPvRmT2_T3_mT4_P12ihipStream_tbEUlmE_tEESB_NS0_8identityIvEEEESG_SJ_SK_mSL_SN_bEUlT_E_NS1_11comp_targetILNS1_3genE2ELNS1_11target_archE906ELNS1_3gpuE6ELNS1_3repE0EEENS1_30default_config_static_selectorELNS0_4arch9wavefront6targetE1EEEvT1_,comdat
.Lfunc_end326:
	.size	_ZN7rocprim17ROCPRIM_400000_NS6detail17trampoline_kernelINS0_14default_configENS1_25transform_config_selectorItLb0EEEZNS1_14transform_implILb0ES3_S5_NS0_18transform_iteratorINS0_17counting_iteratorImlEEZNS1_24adjacent_difference_implIS3_Lb1ELb0EPtSB_N6thrust23THRUST_200600_302600_NS5minusItEEEE10hipError_tPvRmT2_T3_mT4_P12ihipStream_tbEUlmE_tEESB_NS0_8identityIvEEEESG_SJ_SK_mSL_SN_bEUlT_E_NS1_11comp_targetILNS1_3genE2ELNS1_11target_archE906ELNS1_3gpuE6ELNS1_3repE0EEENS1_30default_config_static_selectorELNS0_4arch9wavefront6targetE1EEEvT1_, .Lfunc_end326-_ZN7rocprim17ROCPRIM_400000_NS6detail17trampoline_kernelINS0_14default_configENS1_25transform_config_selectorItLb0EEEZNS1_14transform_implILb0ES3_S5_NS0_18transform_iteratorINS0_17counting_iteratorImlEEZNS1_24adjacent_difference_implIS3_Lb1ELb0EPtSB_N6thrust23THRUST_200600_302600_NS5minusItEEEE10hipError_tPvRmT2_T3_mT4_P12ihipStream_tbEUlmE_tEESB_NS0_8identityIvEEEESG_SJ_SK_mSL_SN_bEUlT_E_NS1_11comp_targetILNS1_3genE2ELNS1_11target_archE906ELNS1_3gpuE6ELNS1_3repE0EEENS1_30default_config_static_selectorELNS0_4arch9wavefront6targetE1EEEvT1_
                                        ; -- End function
	.section	.AMDGPU.csdata,"",@progbits
; Kernel info:
; codeLenInByte = 0
; NumSgprs: 4
; NumVgprs: 0
; NumAgprs: 0
; TotalNumVgprs: 0
; ScratchSize: 0
; MemoryBound: 0
; FloatMode: 240
; IeeeMode: 1
; LDSByteSize: 0 bytes/workgroup (compile time only)
; SGPRBlocks: 0
; VGPRBlocks: 0
; NumSGPRsForWavesPerEU: 4
; NumVGPRsForWavesPerEU: 1
; AccumOffset: 4
; Occupancy: 8
; WaveLimiterHint : 0
; COMPUTE_PGM_RSRC2:SCRATCH_EN: 0
; COMPUTE_PGM_RSRC2:USER_SGPR: 6
; COMPUTE_PGM_RSRC2:TRAP_HANDLER: 0
; COMPUTE_PGM_RSRC2:TGID_X_EN: 1
; COMPUTE_PGM_RSRC2:TGID_Y_EN: 0
; COMPUTE_PGM_RSRC2:TGID_Z_EN: 0
; COMPUTE_PGM_RSRC2:TIDIG_COMP_CNT: 0
; COMPUTE_PGM_RSRC3_GFX90A:ACCUM_OFFSET: 0
; COMPUTE_PGM_RSRC3_GFX90A:TG_SPLIT: 0
	.section	.text._ZN7rocprim17ROCPRIM_400000_NS6detail17trampoline_kernelINS0_14default_configENS1_25transform_config_selectorItLb0EEEZNS1_14transform_implILb0ES3_S5_NS0_18transform_iteratorINS0_17counting_iteratorImlEEZNS1_24adjacent_difference_implIS3_Lb1ELb0EPtSB_N6thrust23THRUST_200600_302600_NS5minusItEEEE10hipError_tPvRmT2_T3_mT4_P12ihipStream_tbEUlmE_tEESB_NS0_8identityIvEEEESG_SJ_SK_mSL_SN_bEUlT_E_NS1_11comp_targetILNS1_3genE10ELNS1_11target_archE1201ELNS1_3gpuE5ELNS1_3repE0EEENS1_30default_config_static_selectorELNS0_4arch9wavefront6targetE1EEEvT1_,"axG",@progbits,_ZN7rocprim17ROCPRIM_400000_NS6detail17trampoline_kernelINS0_14default_configENS1_25transform_config_selectorItLb0EEEZNS1_14transform_implILb0ES3_S5_NS0_18transform_iteratorINS0_17counting_iteratorImlEEZNS1_24adjacent_difference_implIS3_Lb1ELb0EPtSB_N6thrust23THRUST_200600_302600_NS5minusItEEEE10hipError_tPvRmT2_T3_mT4_P12ihipStream_tbEUlmE_tEESB_NS0_8identityIvEEEESG_SJ_SK_mSL_SN_bEUlT_E_NS1_11comp_targetILNS1_3genE10ELNS1_11target_archE1201ELNS1_3gpuE5ELNS1_3repE0EEENS1_30default_config_static_selectorELNS0_4arch9wavefront6targetE1EEEvT1_,comdat
	.protected	_ZN7rocprim17ROCPRIM_400000_NS6detail17trampoline_kernelINS0_14default_configENS1_25transform_config_selectorItLb0EEEZNS1_14transform_implILb0ES3_S5_NS0_18transform_iteratorINS0_17counting_iteratorImlEEZNS1_24adjacent_difference_implIS3_Lb1ELb0EPtSB_N6thrust23THRUST_200600_302600_NS5minusItEEEE10hipError_tPvRmT2_T3_mT4_P12ihipStream_tbEUlmE_tEESB_NS0_8identityIvEEEESG_SJ_SK_mSL_SN_bEUlT_E_NS1_11comp_targetILNS1_3genE10ELNS1_11target_archE1201ELNS1_3gpuE5ELNS1_3repE0EEENS1_30default_config_static_selectorELNS0_4arch9wavefront6targetE1EEEvT1_ ; -- Begin function _ZN7rocprim17ROCPRIM_400000_NS6detail17trampoline_kernelINS0_14default_configENS1_25transform_config_selectorItLb0EEEZNS1_14transform_implILb0ES3_S5_NS0_18transform_iteratorINS0_17counting_iteratorImlEEZNS1_24adjacent_difference_implIS3_Lb1ELb0EPtSB_N6thrust23THRUST_200600_302600_NS5minusItEEEE10hipError_tPvRmT2_T3_mT4_P12ihipStream_tbEUlmE_tEESB_NS0_8identityIvEEEESG_SJ_SK_mSL_SN_bEUlT_E_NS1_11comp_targetILNS1_3genE10ELNS1_11target_archE1201ELNS1_3gpuE5ELNS1_3repE0EEENS1_30default_config_static_selectorELNS0_4arch9wavefront6targetE1EEEvT1_
	.globl	_ZN7rocprim17ROCPRIM_400000_NS6detail17trampoline_kernelINS0_14default_configENS1_25transform_config_selectorItLb0EEEZNS1_14transform_implILb0ES3_S5_NS0_18transform_iteratorINS0_17counting_iteratorImlEEZNS1_24adjacent_difference_implIS3_Lb1ELb0EPtSB_N6thrust23THRUST_200600_302600_NS5minusItEEEE10hipError_tPvRmT2_T3_mT4_P12ihipStream_tbEUlmE_tEESB_NS0_8identityIvEEEESG_SJ_SK_mSL_SN_bEUlT_E_NS1_11comp_targetILNS1_3genE10ELNS1_11target_archE1201ELNS1_3gpuE5ELNS1_3repE0EEENS1_30default_config_static_selectorELNS0_4arch9wavefront6targetE1EEEvT1_
	.p2align	8
	.type	_ZN7rocprim17ROCPRIM_400000_NS6detail17trampoline_kernelINS0_14default_configENS1_25transform_config_selectorItLb0EEEZNS1_14transform_implILb0ES3_S5_NS0_18transform_iteratorINS0_17counting_iteratorImlEEZNS1_24adjacent_difference_implIS3_Lb1ELb0EPtSB_N6thrust23THRUST_200600_302600_NS5minusItEEEE10hipError_tPvRmT2_T3_mT4_P12ihipStream_tbEUlmE_tEESB_NS0_8identityIvEEEESG_SJ_SK_mSL_SN_bEUlT_E_NS1_11comp_targetILNS1_3genE10ELNS1_11target_archE1201ELNS1_3gpuE5ELNS1_3repE0EEENS1_30default_config_static_selectorELNS0_4arch9wavefront6targetE1EEEvT1_,@function
_ZN7rocprim17ROCPRIM_400000_NS6detail17trampoline_kernelINS0_14default_configENS1_25transform_config_selectorItLb0EEEZNS1_14transform_implILb0ES3_S5_NS0_18transform_iteratorINS0_17counting_iteratorImlEEZNS1_24adjacent_difference_implIS3_Lb1ELb0EPtSB_N6thrust23THRUST_200600_302600_NS5minusItEEEE10hipError_tPvRmT2_T3_mT4_P12ihipStream_tbEUlmE_tEESB_NS0_8identityIvEEEESG_SJ_SK_mSL_SN_bEUlT_E_NS1_11comp_targetILNS1_3genE10ELNS1_11target_archE1201ELNS1_3gpuE5ELNS1_3repE0EEENS1_30default_config_static_selectorELNS0_4arch9wavefront6targetE1EEEvT1_: ; @_ZN7rocprim17ROCPRIM_400000_NS6detail17trampoline_kernelINS0_14default_configENS1_25transform_config_selectorItLb0EEEZNS1_14transform_implILb0ES3_S5_NS0_18transform_iteratorINS0_17counting_iteratorImlEEZNS1_24adjacent_difference_implIS3_Lb1ELb0EPtSB_N6thrust23THRUST_200600_302600_NS5minusItEEEE10hipError_tPvRmT2_T3_mT4_P12ihipStream_tbEUlmE_tEESB_NS0_8identityIvEEEESG_SJ_SK_mSL_SN_bEUlT_E_NS1_11comp_targetILNS1_3genE10ELNS1_11target_archE1201ELNS1_3gpuE5ELNS1_3repE0EEENS1_30default_config_static_selectorELNS0_4arch9wavefront6targetE1EEEvT1_
; %bb.0:
	.section	.rodata,"a",@progbits
	.p2align	6, 0x0
	.amdhsa_kernel _ZN7rocprim17ROCPRIM_400000_NS6detail17trampoline_kernelINS0_14default_configENS1_25transform_config_selectorItLb0EEEZNS1_14transform_implILb0ES3_S5_NS0_18transform_iteratorINS0_17counting_iteratorImlEEZNS1_24adjacent_difference_implIS3_Lb1ELb0EPtSB_N6thrust23THRUST_200600_302600_NS5minusItEEEE10hipError_tPvRmT2_T3_mT4_P12ihipStream_tbEUlmE_tEESB_NS0_8identityIvEEEESG_SJ_SK_mSL_SN_bEUlT_E_NS1_11comp_targetILNS1_3genE10ELNS1_11target_archE1201ELNS1_3gpuE5ELNS1_3repE0EEENS1_30default_config_static_selectorELNS0_4arch9wavefront6targetE1EEEvT1_
		.amdhsa_group_segment_fixed_size 0
		.amdhsa_private_segment_fixed_size 0
		.amdhsa_kernarg_size 56
		.amdhsa_user_sgpr_count 6
		.amdhsa_user_sgpr_private_segment_buffer 1
		.amdhsa_user_sgpr_dispatch_ptr 0
		.amdhsa_user_sgpr_queue_ptr 0
		.amdhsa_user_sgpr_kernarg_segment_ptr 1
		.amdhsa_user_sgpr_dispatch_id 0
		.amdhsa_user_sgpr_flat_scratch_init 0
		.amdhsa_user_sgpr_kernarg_preload_length 0
		.amdhsa_user_sgpr_kernarg_preload_offset 0
		.amdhsa_user_sgpr_private_segment_size 0
		.amdhsa_uses_dynamic_stack 0
		.amdhsa_system_sgpr_private_segment_wavefront_offset 0
		.amdhsa_system_sgpr_workgroup_id_x 1
		.amdhsa_system_sgpr_workgroup_id_y 0
		.amdhsa_system_sgpr_workgroup_id_z 0
		.amdhsa_system_sgpr_workgroup_info 0
		.amdhsa_system_vgpr_workitem_id 0
		.amdhsa_next_free_vgpr 1
		.amdhsa_next_free_sgpr 0
		.amdhsa_accum_offset 4
		.amdhsa_reserve_vcc 0
		.amdhsa_reserve_flat_scratch 0
		.amdhsa_float_round_mode_32 0
		.amdhsa_float_round_mode_16_64 0
		.amdhsa_float_denorm_mode_32 3
		.amdhsa_float_denorm_mode_16_64 3
		.amdhsa_dx10_clamp 1
		.amdhsa_ieee_mode 1
		.amdhsa_fp16_overflow 0
		.amdhsa_tg_split 0
		.amdhsa_exception_fp_ieee_invalid_op 0
		.amdhsa_exception_fp_denorm_src 0
		.amdhsa_exception_fp_ieee_div_zero 0
		.amdhsa_exception_fp_ieee_overflow 0
		.amdhsa_exception_fp_ieee_underflow 0
		.amdhsa_exception_fp_ieee_inexact 0
		.amdhsa_exception_int_div_zero 0
	.end_amdhsa_kernel
	.section	.text._ZN7rocprim17ROCPRIM_400000_NS6detail17trampoline_kernelINS0_14default_configENS1_25transform_config_selectorItLb0EEEZNS1_14transform_implILb0ES3_S5_NS0_18transform_iteratorINS0_17counting_iteratorImlEEZNS1_24adjacent_difference_implIS3_Lb1ELb0EPtSB_N6thrust23THRUST_200600_302600_NS5minusItEEEE10hipError_tPvRmT2_T3_mT4_P12ihipStream_tbEUlmE_tEESB_NS0_8identityIvEEEESG_SJ_SK_mSL_SN_bEUlT_E_NS1_11comp_targetILNS1_3genE10ELNS1_11target_archE1201ELNS1_3gpuE5ELNS1_3repE0EEENS1_30default_config_static_selectorELNS0_4arch9wavefront6targetE1EEEvT1_,"axG",@progbits,_ZN7rocprim17ROCPRIM_400000_NS6detail17trampoline_kernelINS0_14default_configENS1_25transform_config_selectorItLb0EEEZNS1_14transform_implILb0ES3_S5_NS0_18transform_iteratorINS0_17counting_iteratorImlEEZNS1_24adjacent_difference_implIS3_Lb1ELb0EPtSB_N6thrust23THRUST_200600_302600_NS5minusItEEEE10hipError_tPvRmT2_T3_mT4_P12ihipStream_tbEUlmE_tEESB_NS0_8identityIvEEEESG_SJ_SK_mSL_SN_bEUlT_E_NS1_11comp_targetILNS1_3genE10ELNS1_11target_archE1201ELNS1_3gpuE5ELNS1_3repE0EEENS1_30default_config_static_selectorELNS0_4arch9wavefront6targetE1EEEvT1_,comdat
.Lfunc_end327:
	.size	_ZN7rocprim17ROCPRIM_400000_NS6detail17trampoline_kernelINS0_14default_configENS1_25transform_config_selectorItLb0EEEZNS1_14transform_implILb0ES3_S5_NS0_18transform_iteratorINS0_17counting_iteratorImlEEZNS1_24adjacent_difference_implIS3_Lb1ELb0EPtSB_N6thrust23THRUST_200600_302600_NS5minusItEEEE10hipError_tPvRmT2_T3_mT4_P12ihipStream_tbEUlmE_tEESB_NS0_8identityIvEEEESG_SJ_SK_mSL_SN_bEUlT_E_NS1_11comp_targetILNS1_3genE10ELNS1_11target_archE1201ELNS1_3gpuE5ELNS1_3repE0EEENS1_30default_config_static_selectorELNS0_4arch9wavefront6targetE1EEEvT1_, .Lfunc_end327-_ZN7rocprim17ROCPRIM_400000_NS6detail17trampoline_kernelINS0_14default_configENS1_25transform_config_selectorItLb0EEEZNS1_14transform_implILb0ES3_S5_NS0_18transform_iteratorINS0_17counting_iteratorImlEEZNS1_24adjacent_difference_implIS3_Lb1ELb0EPtSB_N6thrust23THRUST_200600_302600_NS5minusItEEEE10hipError_tPvRmT2_T3_mT4_P12ihipStream_tbEUlmE_tEESB_NS0_8identityIvEEEESG_SJ_SK_mSL_SN_bEUlT_E_NS1_11comp_targetILNS1_3genE10ELNS1_11target_archE1201ELNS1_3gpuE5ELNS1_3repE0EEENS1_30default_config_static_selectorELNS0_4arch9wavefront6targetE1EEEvT1_
                                        ; -- End function
	.section	.AMDGPU.csdata,"",@progbits
; Kernel info:
; codeLenInByte = 0
; NumSgprs: 4
; NumVgprs: 0
; NumAgprs: 0
; TotalNumVgprs: 0
; ScratchSize: 0
; MemoryBound: 0
; FloatMode: 240
; IeeeMode: 1
; LDSByteSize: 0 bytes/workgroup (compile time only)
; SGPRBlocks: 0
; VGPRBlocks: 0
; NumSGPRsForWavesPerEU: 4
; NumVGPRsForWavesPerEU: 1
; AccumOffset: 4
; Occupancy: 8
; WaveLimiterHint : 0
; COMPUTE_PGM_RSRC2:SCRATCH_EN: 0
; COMPUTE_PGM_RSRC2:USER_SGPR: 6
; COMPUTE_PGM_RSRC2:TRAP_HANDLER: 0
; COMPUTE_PGM_RSRC2:TGID_X_EN: 1
; COMPUTE_PGM_RSRC2:TGID_Y_EN: 0
; COMPUTE_PGM_RSRC2:TGID_Z_EN: 0
; COMPUTE_PGM_RSRC2:TIDIG_COMP_CNT: 0
; COMPUTE_PGM_RSRC3_GFX90A:ACCUM_OFFSET: 0
; COMPUTE_PGM_RSRC3_GFX90A:TG_SPLIT: 0
	.section	.text._ZN7rocprim17ROCPRIM_400000_NS6detail17trampoline_kernelINS0_14default_configENS1_25transform_config_selectorItLb0EEEZNS1_14transform_implILb0ES3_S5_NS0_18transform_iteratorINS0_17counting_iteratorImlEEZNS1_24adjacent_difference_implIS3_Lb1ELb0EPtSB_N6thrust23THRUST_200600_302600_NS5minusItEEEE10hipError_tPvRmT2_T3_mT4_P12ihipStream_tbEUlmE_tEESB_NS0_8identityIvEEEESG_SJ_SK_mSL_SN_bEUlT_E_NS1_11comp_targetILNS1_3genE10ELNS1_11target_archE1200ELNS1_3gpuE4ELNS1_3repE0EEENS1_30default_config_static_selectorELNS0_4arch9wavefront6targetE1EEEvT1_,"axG",@progbits,_ZN7rocprim17ROCPRIM_400000_NS6detail17trampoline_kernelINS0_14default_configENS1_25transform_config_selectorItLb0EEEZNS1_14transform_implILb0ES3_S5_NS0_18transform_iteratorINS0_17counting_iteratorImlEEZNS1_24adjacent_difference_implIS3_Lb1ELb0EPtSB_N6thrust23THRUST_200600_302600_NS5minusItEEEE10hipError_tPvRmT2_T3_mT4_P12ihipStream_tbEUlmE_tEESB_NS0_8identityIvEEEESG_SJ_SK_mSL_SN_bEUlT_E_NS1_11comp_targetILNS1_3genE10ELNS1_11target_archE1200ELNS1_3gpuE4ELNS1_3repE0EEENS1_30default_config_static_selectorELNS0_4arch9wavefront6targetE1EEEvT1_,comdat
	.protected	_ZN7rocprim17ROCPRIM_400000_NS6detail17trampoline_kernelINS0_14default_configENS1_25transform_config_selectorItLb0EEEZNS1_14transform_implILb0ES3_S5_NS0_18transform_iteratorINS0_17counting_iteratorImlEEZNS1_24adjacent_difference_implIS3_Lb1ELb0EPtSB_N6thrust23THRUST_200600_302600_NS5minusItEEEE10hipError_tPvRmT2_T3_mT4_P12ihipStream_tbEUlmE_tEESB_NS0_8identityIvEEEESG_SJ_SK_mSL_SN_bEUlT_E_NS1_11comp_targetILNS1_3genE10ELNS1_11target_archE1200ELNS1_3gpuE4ELNS1_3repE0EEENS1_30default_config_static_selectorELNS0_4arch9wavefront6targetE1EEEvT1_ ; -- Begin function _ZN7rocprim17ROCPRIM_400000_NS6detail17trampoline_kernelINS0_14default_configENS1_25transform_config_selectorItLb0EEEZNS1_14transform_implILb0ES3_S5_NS0_18transform_iteratorINS0_17counting_iteratorImlEEZNS1_24adjacent_difference_implIS3_Lb1ELb0EPtSB_N6thrust23THRUST_200600_302600_NS5minusItEEEE10hipError_tPvRmT2_T3_mT4_P12ihipStream_tbEUlmE_tEESB_NS0_8identityIvEEEESG_SJ_SK_mSL_SN_bEUlT_E_NS1_11comp_targetILNS1_3genE10ELNS1_11target_archE1200ELNS1_3gpuE4ELNS1_3repE0EEENS1_30default_config_static_selectorELNS0_4arch9wavefront6targetE1EEEvT1_
	.globl	_ZN7rocprim17ROCPRIM_400000_NS6detail17trampoline_kernelINS0_14default_configENS1_25transform_config_selectorItLb0EEEZNS1_14transform_implILb0ES3_S5_NS0_18transform_iteratorINS0_17counting_iteratorImlEEZNS1_24adjacent_difference_implIS3_Lb1ELb0EPtSB_N6thrust23THRUST_200600_302600_NS5minusItEEEE10hipError_tPvRmT2_T3_mT4_P12ihipStream_tbEUlmE_tEESB_NS0_8identityIvEEEESG_SJ_SK_mSL_SN_bEUlT_E_NS1_11comp_targetILNS1_3genE10ELNS1_11target_archE1200ELNS1_3gpuE4ELNS1_3repE0EEENS1_30default_config_static_selectorELNS0_4arch9wavefront6targetE1EEEvT1_
	.p2align	8
	.type	_ZN7rocprim17ROCPRIM_400000_NS6detail17trampoline_kernelINS0_14default_configENS1_25transform_config_selectorItLb0EEEZNS1_14transform_implILb0ES3_S5_NS0_18transform_iteratorINS0_17counting_iteratorImlEEZNS1_24adjacent_difference_implIS3_Lb1ELb0EPtSB_N6thrust23THRUST_200600_302600_NS5minusItEEEE10hipError_tPvRmT2_T3_mT4_P12ihipStream_tbEUlmE_tEESB_NS0_8identityIvEEEESG_SJ_SK_mSL_SN_bEUlT_E_NS1_11comp_targetILNS1_3genE10ELNS1_11target_archE1200ELNS1_3gpuE4ELNS1_3repE0EEENS1_30default_config_static_selectorELNS0_4arch9wavefront6targetE1EEEvT1_,@function
_ZN7rocprim17ROCPRIM_400000_NS6detail17trampoline_kernelINS0_14default_configENS1_25transform_config_selectorItLb0EEEZNS1_14transform_implILb0ES3_S5_NS0_18transform_iteratorINS0_17counting_iteratorImlEEZNS1_24adjacent_difference_implIS3_Lb1ELb0EPtSB_N6thrust23THRUST_200600_302600_NS5minusItEEEE10hipError_tPvRmT2_T3_mT4_P12ihipStream_tbEUlmE_tEESB_NS0_8identityIvEEEESG_SJ_SK_mSL_SN_bEUlT_E_NS1_11comp_targetILNS1_3genE10ELNS1_11target_archE1200ELNS1_3gpuE4ELNS1_3repE0EEENS1_30default_config_static_selectorELNS0_4arch9wavefront6targetE1EEEvT1_: ; @_ZN7rocprim17ROCPRIM_400000_NS6detail17trampoline_kernelINS0_14default_configENS1_25transform_config_selectorItLb0EEEZNS1_14transform_implILb0ES3_S5_NS0_18transform_iteratorINS0_17counting_iteratorImlEEZNS1_24adjacent_difference_implIS3_Lb1ELb0EPtSB_N6thrust23THRUST_200600_302600_NS5minusItEEEE10hipError_tPvRmT2_T3_mT4_P12ihipStream_tbEUlmE_tEESB_NS0_8identityIvEEEESG_SJ_SK_mSL_SN_bEUlT_E_NS1_11comp_targetILNS1_3genE10ELNS1_11target_archE1200ELNS1_3gpuE4ELNS1_3repE0EEENS1_30default_config_static_selectorELNS0_4arch9wavefront6targetE1EEEvT1_
; %bb.0:
	.section	.rodata,"a",@progbits
	.p2align	6, 0x0
	.amdhsa_kernel _ZN7rocprim17ROCPRIM_400000_NS6detail17trampoline_kernelINS0_14default_configENS1_25transform_config_selectorItLb0EEEZNS1_14transform_implILb0ES3_S5_NS0_18transform_iteratorINS0_17counting_iteratorImlEEZNS1_24adjacent_difference_implIS3_Lb1ELb0EPtSB_N6thrust23THRUST_200600_302600_NS5minusItEEEE10hipError_tPvRmT2_T3_mT4_P12ihipStream_tbEUlmE_tEESB_NS0_8identityIvEEEESG_SJ_SK_mSL_SN_bEUlT_E_NS1_11comp_targetILNS1_3genE10ELNS1_11target_archE1200ELNS1_3gpuE4ELNS1_3repE0EEENS1_30default_config_static_selectorELNS0_4arch9wavefront6targetE1EEEvT1_
		.amdhsa_group_segment_fixed_size 0
		.amdhsa_private_segment_fixed_size 0
		.amdhsa_kernarg_size 56
		.amdhsa_user_sgpr_count 6
		.amdhsa_user_sgpr_private_segment_buffer 1
		.amdhsa_user_sgpr_dispatch_ptr 0
		.amdhsa_user_sgpr_queue_ptr 0
		.amdhsa_user_sgpr_kernarg_segment_ptr 1
		.amdhsa_user_sgpr_dispatch_id 0
		.amdhsa_user_sgpr_flat_scratch_init 0
		.amdhsa_user_sgpr_kernarg_preload_length 0
		.amdhsa_user_sgpr_kernarg_preload_offset 0
		.amdhsa_user_sgpr_private_segment_size 0
		.amdhsa_uses_dynamic_stack 0
		.amdhsa_system_sgpr_private_segment_wavefront_offset 0
		.amdhsa_system_sgpr_workgroup_id_x 1
		.amdhsa_system_sgpr_workgroup_id_y 0
		.amdhsa_system_sgpr_workgroup_id_z 0
		.amdhsa_system_sgpr_workgroup_info 0
		.amdhsa_system_vgpr_workitem_id 0
		.amdhsa_next_free_vgpr 1
		.amdhsa_next_free_sgpr 0
		.amdhsa_accum_offset 4
		.amdhsa_reserve_vcc 0
		.amdhsa_reserve_flat_scratch 0
		.amdhsa_float_round_mode_32 0
		.amdhsa_float_round_mode_16_64 0
		.amdhsa_float_denorm_mode_32 3
		.amdhsa_float_denorm_mode_16_64 3
		.amdhsa_dx10_clamp 1
		.amdhsa_ieee_mode 1
		.amdhsa_fp16_overflow 0
		.amdhsa_tg_split 0
		.amdhsa_exception_fp_ieee_invalid_op 0
		.amdhsa_exception_fp_denorm_src 0
		.amdhsa_exception_fp_ieee_div_zero 0
		.amdhsa_exception_fp_ieee_overflow 0
		.amdhsa_exception_fp_ieee_underflow 0
		.amdhsa_exception_fp_ieee_inexact 0
		.amdhsa_exception_int_div_zero 0
	.end_amdhsa_kernel
	.section	.text._ZN7rocprim17ROCPRIM_400000_NS6detail17trampoline_kernelINS0_14default_configENS1_25transform_config_selectorItLb0EEEZNS1_14transform_implILb0ES3_S5_NS0_18transform_iteratorINS0_17counting_iteratorImlEEZNS1_24adjacent_difference_implIS3_Lb1ELb0EPtSB_N6thrust23THRUST_200600_302600_NS5minusItEEEE10hipError_tPvRmT2_T3_mT4_P12ihipStream_tbEUlmE_tEESB_NS0_8identityIvEEEESG_SJ_SK_mSL_SN_bEUlT_E_NS1_11comp_targetILNS1_3genE10ELNS1_11target_archE1200ELNS1_3gpuE4ELNS1_3repE0EEENS1_30default_config_static_selectorELNS0_4arch9wavefront6targetE1EEEvT1_,"axG",@progbits,_ZN7rocprim17ROCPRIM_400000_NS6detail17trampoline_kernelINS0_14default_configENS1_25transform_config_selectorItLb0EEEZNS1_14transform_implILb0ES3_S5_NS0_18transform_iteratorINS0_17counting_iteratorImlEEZNS1_24adjacent_difference_implIS3_Lb1ELb0EPtSB_N6thrust23THRUST_200600_302600_NS5minusItEEEE10hipError_tPvRmT2_T3_mT4_P12ihipStream_tbEUlmE_tEESB_NS0_8identityIvEEEESG_SJ_SK_mSL_SN_bEUlT_E_NS1_11comp_targetILNS1_3genE10ELNS1_11target_archE1200ELNS1_3gpuE4ELNS1_3repE0EEENS1_30default_config_static_selectorELNS0_4arch9wavefront6targetE1EEEvT1_,comdat
.Lfunc_end328:
	.size	_ZN7rocprim17ROCPRIM_400000_NS6detail17trampoline_kernelINS0_14default_configENS1_25transform_config_selectorItLb0EEEZNS1_14transform_implILb0ES3_S5_NS0_18transform_iteratorINS0_17counting_iteratorImlEEZNS1_24adjacent_difference_implIS3_Lb1ELb0EPtSB_N6thrust23THRUST_200600_302600_NS5minusItEEEE10hipError_tPvRmT2_T3_mT4_P12ihipStream_tbEUlmE_tEESB_NS0_8identityIvEEEESG_SJ_SK_mSL_SN_bEUlT_E_NS1_11comp_targetILNS1_3genE10ELNS1_11target_archE1200ELNS1_3gpuE4ELNS1_3repE0EEENS1_30default_config_static_selectorELNS0_4arch9wavefront6targetE1EEEvT1_, .Lfunc_end328-_ZN7rocprim17ROCPRIM_400000_NS6detail17trampoline_kernelINS0_14default_configENS1_25transform_config_selectorItLb0EEEZNS1_14transform_implILb0ES3_S5_NS0_18transform_iteratorINS0_17counting_iteratorImlEEZNS1_24adjacent_difference_implIS3_Lb1ELb0EPtSB_N6thrust23THRUST_200600_302600_NS5minusItEEEE10hipError_tPvRmT2_T3_mT4_P12ihipStream_tbEUlmE_tEESB_NS0_8identityIvEEEESG_SJ_SK_mSL_SN_bEUlT_E_NS1_11comp_targetILNS1_3genE10ELNS1_11target_archE1200ELNS1_3gpuE4ELNS1_3repE0EEENS1_30default_config_static_selectorELNS0_4arch9wavefront6targetE1EEEvT1_
                                        ; -- End function
	.section	.AMDGPU.csdata,"",@progbits
; Kernel info:
; codeLenInByte = 0
; NumSgprs: 4
; NumVgprs: 0
; NumAgprs: 0
; TotalNumVgprs: 0
; ScratchSize: 0
; MemoryBound: 0
; FloatMode: 240
; IeeeMode: 1
; LDSByteSize: 0 bytes/workgroup (compile time only)
; SGPRBlocks: 0
; VGPRBlocks: 0
; NumSGPRsForWavesPerEU: 4
; NumVGPRsForWavesPerEU: 1
; AccumOffset: 4
; Occupancy: 8
; WaveLimiterHint : 0
; COMPUTE_PGM_RSRC2:SCRATCH_EN: 0
; COMPUTE_PGM_RSRC2:USER_SGPR: 6
; COMPUTE_PGM_RSRC2:TRAP_HANDLER: 0
; COMPUTE_PGM_RSRC2:TGID_X_EN: 1
; COMPUTE_PGM_RSRC2:TGID_Y_EN: 0
; COMPUTE_PGM_RSRC2:TGID_Z_EN: 0
; COMPUTE_PGM_RSRC2:TIDIG_COMP_CNT: 0
; COMPUTE_PGM_RSRC3_GFX90A:ACCUM_OFFSET: 0
; COMPUTE_PGM_RSRC3_GFX90A:TG_SPLIT: 0
	.section	.text._ZN7rocprim17ROCPRIM_400000_NS6detail17trampoline_kernelINS0_14default_configENS1_25transform_config_selectorItLb0EEEZNS1_14transform_implILb0ES3_S5_NS0_18transform_iteratorINS0_17counting_iteratorImlEEZNS1_24adjacent_difference_implIS3_Lb1ELb0EPtSB_N6thrust23THRUST_200600_302600_NS5minusItEEEE10hipError_tPvRmT2_T3_mT4_P12ihipStream_tbEUlmE_tEESB_NS0_8identityIvEEEESG_SJ_SK_mSL_SN_bEUlT_E_NS1_11comp_targetILNS1_3genE9ELNS1_11target_archE1100ELNS1_3gpuE3ELNS1_3repE0EEENS1_30default_config_static_selectorELNS0_4arch9wavefront6targetE1EEEvT1_,"axG",@progbits,_ZN7rocprim17ROCPRIM_400000_NS6detail17trampoline_kernelINS0_14default_configENS1_25transform_config_selectorItLb0EEEZNS1_14transform_implILb0ES3_S5_NS0_18transform_iteratorINS0_17counting_iteratorImlEEZNS1_24adjacent_difference_implIS3_Lb1ELb0EPtSB_N6thrust23THRUST_200600_302600_NS5minusItEEEE10hipError_tPvRmT2_T3_mT4_P12ihipStream_tbEUlmE_tEESB_NS0_8identityIvEEEESG_SJ_SK_mSL_SN_bEUlT_E_NS1_11comp_targetILNS1_3genE9ELNS1_11target_archE1100ELNS1_3gpuE3ELNS1_3repE0EEENS1_30default_config_static_selectorELNS0_4arch9wavefront6targetE1EEEvT1_,comdat
	.protected	_ZN7rocprim17ROCPRIM_400000_NS6detail17trampoline_kernelINS0_14default_configENS1_25transform_config_selectorItLb0EEEZNS1_14transform_implILb0ES3_S5_NS0_18transform_iteratorINS0_17counting_iteratorImlEEZNS1_24adjacent_difference_implIS3_Lb1ELb0EPtSB_N6thrust23THRUST_200600_302600_NS5minusItEEEE10hipError_tPvRmT2_T3_mT4_P12ihipStream_tbEUlmE_tEESB_NS0_8identityIvEEEESG_SJ_SK_mSL_SN_bEUlT_E_NS1_11comp_targetILNS1_3genE9ELNS1_11target_archE1100ELNS1_3gpuE3ELNS1_3repE0EEENS1_30default_config_static_selectorELNS0_4arch9wavefront6targetE1EEEvT1_ ; -- Begin function _ZN7rocprim17ROCPRIM_400000_NS6detail17trampoline_kernelINS0_14default_configENS1_25transform_config_selectorItLb0EEEZNS1_14transform_implILb0ES3_S5_NS0_18transform_iteratorINS0_17counting_iteratorImlEEZNS1_24adjacent_difference_implIS3_Lb1ELb0EPtSB_N6thrust23THRUST_200600_302600_NS5minusItEEEE10hipError_tPvRmT2_T3_mT4_P12ihipStream_tbEUlmE_tEESB_NS0_8identityIvEEEESG_SJ_SK_mSL_SN_bEUlT_E_NS1_11comp_targetILNS1_3genE9ELNS1_11target_archE1100ELNS1_3gpuE3ELNS1_3repE0EEENS1_30default_config_static_selectorELNS0_4arch9wavefront6targetE1EEEvT1_
	.globl	_ZN7rocprim17ROCPRIM_400000_NS6detail17trampoline_kernelINS0_14default_configENS1_25transform_config_selectorItLb0EEEZNS1_14transform_implILb0ES3_S5_NS0_18transform_iteratorINS0_17counting_iteratorImlEEZNS1_24adjacent_difference_implIS3_Lb1ELb0EPtSB_N6thrust23THRUST_200600_302600_NS5minusItEEEE10hipError_tPvRmT2_T3_mT4_P12ihipStream_tbEUlmE_tEESB_NS0_8identityIvEEEESG_SJ_SK_mSL_SN_bEUlT_E_NS1_11comp_targetILNS1_3genE9ELNS1_11target_archE1100ELNS1_3gpuE3ELNS1_3repE0EEENS1_30default_config_static_selectorELNS0_4arch9wavefront6targetE1EEEvT1_
	.p2align	8
	.type	_ZN7rocprim17ROCPRIM_400000_NS6detail17trampoline_kernelINS0_14default_configENS1_25transform_config_selectorItLb0EEEZNS1_14transform_implILb0ES3_S5_NS0_18transform_iteratorINS0_17counting_iteratorImlEEZNS1_24adjacent_difference_implIS3_Lb1ELb0EPtSB_N6thrust23THRUST_200600_302600_NS5minusItEEEE10hipError_tPvRmT2_T3_mT4_P12ihipStream_tbEUlmE_tEESB_NS0_8identityIvEEEESG_SJ_SK_mSL_SN_bEUlT_E_NS1_11comp_targetILNS1_3genE9ELNS1_11target_archE1100ELNS1_3gpuE3ELNS1_3repE0EEENS1_30default_config_static_selectorELNS0_4arch9wavefront6targetE1EEEvT1_,@function
_ZN7rocprim17ROCPRIM_400000_NS6detail17trampoline_kernelINS0_14default_configENS1_25transform_config_selectorItLb0EEEZNS1_14transform_implILb0ES3_S5_NS0_18transform_iteratorINS0_17counting_iteratorImlEEZNS1_24adjacent_difference_implIS3_Lb1ELb0EPtSB_N6thrust23THRUST_200600_302600_NS5minusItEEEE10hipError_tPvRmT2_T3_mT4_P12ihipStream_tbEUlmE_tEESB_NS0_8identityIvEEEESG_SJ_SK_mSL_SN_bEUlT_E_NS1_11comp_targetILNS1_3genE9ELNS1_11target_archE1100ELNS1_3gpuE3ELNS1_3repE0EEENS1_30default_config_static_selectorELNS0_4arch9wavefront6targetE1EEEvT1_: ; @_ZN7rocprim17ROCPRIM_400000_NS6detail17trampoline_kernelINS0_14default_configENS1_25transform_config_selectorItLb0EEEZNS1_14transform_implILb0ES3_S5_NS0_18transform_iteratorINS0_17counting_iteratorImlEEZNS1_24adjacent_difference_implIS3_Lb1ELb0EPtSB_N6thrust23THRUST_200600_302600_NS5minusItEEEE10hipError_tPvRmT2_T3_mT4_P12ihipStream_tbEUlmE_tEESB_NS0_8identityIvEEEESG_SJ_SK_mSL_SN_bEUlT_E_NS1_11comp_targetILNS1_3genE9ELNS1_11target_archE1100ELNS1_3gpuE3ELNS1_3repE0EEENS1_30default_config_static_selectorELNS0_4arch9wavefront6targetE1EEEvT1_
; %bb.0:
	.section	.rodata,"a",@progbits
	.p2align	6, 0x0
	.amdhsa_kernel _ZN7rocprim17ROCPRIM_400000_NS6detail17trampoline_kernelINS0_14default_configENS1_25transform_config_selectorItLb0EEEZNS1_14transform_implILb0ES3_S5_NS0_18transform_iteratorINS0_17counting_iteratorImlEEZNS1_24adjacent_difference_implIS3_Lb1ELb0EPtSB_N6thrust23THRUST_200600_302600_NS5minusItEEEE10hipError_tPvRmT2_T3_mT4_P12ihipStream_tbEUlmE_tEESB_NS0_8identityIvEEEESG_SJ_SK_mSL_SN_bEUlT_E_NS1_11comp_targetILNS1_3genE9ELNS1_11target_archE1100ELNS1_3gpuE3ELNS1_3repE0EEENS1_30default_config_static_selectorELNS0_4arch9wavefront6targetE1EEEvT1_
		.amdhsa_group_segment_fixed_size 0
		.amdhsa_private_segment_fixed_size 0
		.amdhsa_kernarg_size 56
		.amdhsa_user_sgpr_count 6
		.amdhsa_user_sgpr_private_segment_buffer 1
		.amdhsa_user_sgpr_dispatch_ptr 0
		.amdhsa_user_sgpr_queue_ptr 0
		.amdhsa_user_sgpr_kernarg_segment_ptr 1
		.amdhsa_user_sgpr_dispatch_id 0
		.amdhsa_user_sgpr_flat_scratch_init 0
		.amdhsa_user_sgpr_kernarg_preload_length 0
		.amdhsa_user_sgpr_kernarg_preload_offset 0
		.amdhsa_user_sgpr_private_segment_size 0
		.amdhsa_uses_dynamic_stack 0
		.amdhsa_system_sgpr_private_segment_wavefront_offset 0
		.amdhsa_system_sgpr_workgroup_id_x 1
		.amdhsa_system_sgpr_workgroup_id_y 0
		.amdhsa_system_sgpr_workgroup_id_z 0
		.amdhsa_system_sgpr_workgroup_info 0
		.amdhsa_system_vgpr_workitem_id 0
		.amdhsa_next_free_vgpr 1
		.amdhsa_next_free_sgpr 0
		.amdhsa_accum_offset 4
		.amdhsa_reserve_vcc 0
		.amdhsa_reserve_flat_scratch 0
		.amdhsa_float_round_mode_32 0
		.amdhsa_float_round_mode_16_64 0
		.amdhsa_float_denorm_mode_32 3
		.amdhsa_float_denorm_mode_16_64 3
		.amdhsa_dx10_clamp 1
		.amdhsa_ieee_mode 1
		.amdhsa_fp16_overflow 0
		.amdhsa_tg_split 0
		.amdhsa_exception_fp_ieee_invalid_op 0
		.amdhsa_exception_fp_denorm_src 0
		.amdhsa_exception_fp_ieee_div_zero 0
		.amdhsa_exception_fp_ieee_overflow 0
		.amdhsa_exception_fp_ieee_underflow 0
		.amdhsa_exception_fp_ieee_inexact 0
		.amdhsa_exception_int_div_zero 0
	.end_amdhsa_kernel
	.section	.text._ZN7rocprim17ROCPRIM_400000_NS6detail17trampoline_kernelINS0_14default_configENS1_25transform_config_selectorItLb0EEEZNS1_14transform_implILb0ES3_S5_NS0_18transform_iteratorINS0_17counting_iteratorImlEEZNS1_24adjacent_difference_implIS3_Lb1ELb0EPtSB_N6thrust23THRUST_200600_302600_NS5minusItEEEE10hipError_tPvRmT2_T3_mT4_P12ihipStream_tbEUlmE_tEESB_NS0_8identityIvEEEESG_SJ_SK_mSL_SN_bEUlT_E_NS1_11comp_targetILNS1_3genE9ELNS1_11target_archE1100ELNS1_3gpuE3ELNS1_3repE0EEENS1_30default_config_static_selectorELNS0_4arch9wavefront6targetE1EEEvT1_,"axG",@progbits,_ZN7rocprim17ROCPRIM_400000_NS6detail17trampoline_kernelINS0_14default_configENS1_25transform_config_selectorItLb0EEEZNS1_14transform_implILb0ES3_S5_NS0_18transform_iteratorINS0_17counting_iteratorImlEEZNS1_24adjacent_difference_implIS3_Lb1ELb0EPtSB_N6thrust23THRUST_200600_302600_NS5minusItEEEE10hipError_tPvRmT2_T3_mT4_P12ihipStream_tbEUlmE_tEESB_NS0_8identityIvEEEESG_SJ_SK_mSL_SN_bEUlT_E_NS1_11comp_targetILNS1_3genE9ELNS1_11target_archE1100ELNS1_3gpuE3ELNS1_3repE0EEENS1_30default_config_static_selectorELNS0_4arch9wavefront6targetE1EEEvT1_,comdat
.Lfunc_end329:
	.size	_ZN7rocprim17ROCPRIM_400000_NS6detail17trampoline_kernelINS0_14default_configENS1_25transform_config_selectorItLb0EEEZNS1_14transform_implILb0ES3_S5_NS0_18transform_iteratorINS0_17counting_iteratorImlEEZNS1_24adjacent_difference_implIS3_Lb1ELb0EPtSB_N6thrust23THRUST_200600_302600_NS5minusItEEEE10hipError_tPvRmT2_T3_mT4_P12ihipStream_tbEUlmE_tEESB_NS0_8identityIvEEEESG_SJ_SK_mSL_SN_bEUlT_E_NS1_11comp_targetILNS1_3genE9ELNS1_11target_archE1100ELNS1_3gpuE3ELNS1_3repE0EEENS1_30default_config_static_selectorELNS0_4arch9wavefront6targetE1EEEvT1_, .Lfunc_end329-_ZN7rocprim17ROCPRIM_400000_NS6detail17trampoline_kernelINS0_14default_configENS1_25transform_config_selectorItLb0EEEZNS1_14transform_implILb0ES3_S5_NS0_18transform_iteratorINS0_17counting_iteratorImlEEZNS1_24adjacent_difference_implIS3_Lb1ELb0EPtSB_N6thrust23THRUST_200600_302600_NS5minusItEEEE10hipError_tPvRmT2_T3_mT4_P12ihipStream_tbEUlmE_tEESB_NS0_8identityIvEEEESG_SJ_SK_mSL_SN_bEUlT_E_NS1_11comp_targetILNS1_3genE9ELNS1_11target_archE1100ELNS1_3gpuE3ELNS1_3repE0EEENS1_30default_config_static_selectorELNS0_4arch9wavefront6targetE1EEEvT1_
                                        ; -- End function
	.section	.AMDGPU.csdata,"",@progbits
; Kernel info:
; codeLenInByte = 0
; NumSgprs: 4
; NumVgprs: 0
; NumAgprs: 0
; TotalNumVgprs: 0
; ScratchSize: 0
; MemoryBound: 0
; FloatMode: 240
; IeeeMode: 1
; LDSByteSize: 0 bytes/workgroup (compile time only)
; SGPRBlocks: 0
; VGPRBlocks: 0
; NumSGPRsForWavesPerEU: 4
; NumVGPRsForWavesPerEU: 1
; AccumOffset: 4
; Occupancy: 8
; WaveLimiterHint : 0
; COMPUTE_PGM_RSRC2:SCRATCH_EN: 0
; COMPUTE_PGM_RSRC2:USER_SGPR: 6
; COMPUTE_PGM_RSRC2:TRAP_HANDLER: 0
; COMPUTE_PGM_RSRC2:TGID_X_EN: 1
; COMPUTE_PGM_RSRC2:TGID_Y_EN: 0
; COMPUTE_PGM_RSRC2:TGID_Z_EN: 0
; COMPUTE_PGM_RSRC2:TIDIG_COMP_CNT: 0
; COMPUTE_PGM_RSRC3_GFX90A:ACCUM_OFFSET: 0
; COMPUTE_PGM_RSRC3_GFX90A:TG_SPLIT: 0
	.section	.text._ZN7rocprim17ROCPRIM_400000_NS6detail17trampoline_kernelINS0_14default_configENS1_25transform_config_selectorItLb0EEEZNS1_14transform_implILb0ES3_S5_NS0_18transform_iteratorINS0_17counting_iteratorImlEEZNS1_24adjacent_difference_implIS3_Lb1ELb0EPtSB_N6thrust23THRUST_200600_302600_NS5minusItEEEE10hipError_tPvRmT2_T3_mT4_P12ihipStream_tbEUlmE_tEESB_NS0_8identityIvEEEESG_SJ_SK_mSL_SN_bEUlT_E_NS1_11comp_targetILNS1_3genE8ELNS1_11target_archE1030ELNS1_3gpuE2ELNS1_3repE0EEENS1_30default_config_static_selectorELNS0_4arch9wavefront6targetE1EEEvT1_,"axG",@progbits,_ZN7rocprim17ROCPRIM_400000_NS6detail17trampoline_kernelINS0_14default_configENS1_25transform_config_selectorItLb0EEEZNS1_14transform_implILb0ES3_S5_NS0_18transform_iteratorINS0_17counting_iteratorImlEEZNS1_24adjacent_difference_implIS3_Lb1ELb0EPtSB_N6thrust23THRUST_200600_302600_NS5minusItEEEE10hipError_tPvRmT2_T3_mT4_P12ihipStream_tbEUlmE_tEESB_NS0_8identityIvEEEESG_SJ_SK_mSL_SN_bEUlT_E_NS1_11comp_targetILNS1_3genE8ELNS1_11target_archE1030ELNS1_3gpuE2ELNS1_3repE0EEENS1_30default_config_static_selectorELNS0_4arch9wavefront6targetE1EEEvT1_,comdat
	.protected	_ZN7rocprim17ROCPRIM_400000_NS6detail17trampoline_kernelINS0_14default_configENS1_25transform_config_selectorItLb0EEEZNS1_14transform_implILb0ES3_S5_NS0_18transform_iteratorINS0_17counting_iteratorImlEEZNS1_24adjacent_difference_implIS3_Lb1ELb0EPtSB_N6thrust23THRUST_200600_302600_NS5minusItEEEE10hipError_tPvRmT2_T3_mT4_P12ihipStream_tbEUlmE_tEESB_NS0_8identityIvEEEESG_SJ_SK_mSL_SN_bEUlT_E_NS1_11comp_targetILNS1_3genE8ELNS1_11target_archE1030ELNS1_3gpuE2ELNS1_3repE0EEENS1_30default_config_static_selectorELNS0_4arch9wavefront6targetE1EEEvT1_ ; -- Begin function _ZN7rocprim17ROCPRIM_400000_NS6detail17trampoline_kernelINS0_14default_configENS1_25transform_config_selectorItLb0EEEZNS1_14transform_implILb0ES3_S5_NS0_18transform_iteratorINS0_17counting_iteratorImlEEZNS1_24adjacent_difference_implIS3_Lb1ELb0EPtSB_N6thrust23THRUST_200600_302600_NS5minusItEEEE10hipError_tPvRmT2_T3_mT4_P12ihipStream_tbEUlmE_tEESB_NS0_8identityIvEEEESG_SJ_SK_mSL_SN_bEUlT_E_NS1_11comp_targetILNS1_3genE8ELNS1_11target_archE1030ELNS1_3gpuE2ELNS1_3repE0EEENS1_30default_config_static_selectorELNS0_4arch9wavefront6targetE1EEEvT1_
	.globl	_ZN7rocprim17ROCPRIM_400000_NS6detail17trampoline_kernelINS0_14default_configENS1_25transform_config_selectorItLb0EEEZNS1_14transform_implILb0ES3_S5_NS0_18transform_iteratorINS0_17counting_iteratorImlEEZNS1_24adjacent_difference_implIS3_Lb1ELb0EPtSB_N6thrust23THRUST_200600_302600_NS5minusItEEEE10hipError_tPvRmT2_T3_mT4_P12ihipStream_tbEUlmE_tEESB_NS0_8identityIvEEEESG_SJ_SK_mSL_SN_bEUlT_E_NS1_11comp_targetILNS1_3genE8ELNS1_11target_archE1030ELNS1_3gpuE2ELNS1_3repE0EEENS1_30default_config_static_selectorELNS0_4arch9wavefront6targetE1EEEvT1_
	.p2align	8
	.type	_ZN7rocprim17ROCPRIM_400000_NS6detail17trampoline_kernelINS0_14default_configENS1_25transform_config_selectorItLb0EEEZNS1_14transform_implILb0ES3_S5_NS0_18transform_iteratorINS0_17counting_iteratorImlEEZNS1_24adjacent_difference_implIS3_Lb1ELb0EPtSB_N6thrust23THRUST_200600_302600_NS5minusItEEEE10hipError_tPvRmT2_T3_mT4_P12ihipStream_tbEUlmE_tEESB_NS0_8identityIvEEEESG_SJ_SK_mSL_SN_bEUlT_E_NS1_11comp_targetILNS1_3genE8ELNS1_11target_archE1030ELNS1_3gpuE2ELNS1_3repE0EEENS1_30default_config_static_selectorELNS0_4arch9wavefront6targetE1EEEvT1_,@function
_ZN7rocprim17ROCPRIM_400000_NS6detail17trampoline_kernelINS0_14default_configENS1_25transform_config_selectorItLb0EEEZNS1_14transform_implILb0ES3_S5_NS0_18transform_iteratorINS0_17counting_iteratorImlEEZNS1_24adjacent_difference_implIS3_Lb1ELb0EPtSB_N6thrust23THRUST_200600_302600_NS5minusItEEEE10hipError_tPvRmT2_T3_mT4_P12ihipStream_tbEUlmE_tEESB_NS0_8identityIvEEEESG_SJ_SK_mSL_SN_bEUlT_E_NS1_11comp_targetILNS1_3genE8ELNS1_11target_archE1030ELNS1_3gpuE2ELNS1_3repE0EEENS1_30default_config_static_selectorELNS0_4arch9wavefront6targetE1EEEvT1_: ; @_ZN7rocprim17ROCPRIM_400000_NS6detail17trampoline_kernelINS0_14default_configENS1_25transform_config_selectorItLb0EEEZNS1_14transform_implILb0ES3_S5_NS0_18transform_iteratorINS0_17counting_iteratorImlEEZNS1_24adjacent_difference_implIS3_Lb1ELb0EPtSB_N6thrust23THRUST_200600_302600_NS5minusItEEEE10hipError_tPvRmT2_T3_mT4_P12ihipStream_tbEUlmE_tEESB_NS0_8identityIvEEEESG_SJ_SK_mSL_SN_bEUlT_E_NS1_11comp_targetILNS1_3genE8ELNS1_11target_archE1030ELNS1_3gpuE2ELNS1_3repE0EEENS1_30default_config_static_selectorELNS0_4arch9wavefront6targetE1EEEvT1_
; %bb.0:
	.section	.rodata,"a",@progbits
	.p2align	6, 0x0
	.amdhsa_kernel _ZN7rocprim17ROCPRIM_400000_NS6detail17trampoline_kernelINS0_14default_configENS1_25transform_config_selectorItLb0EEEZNS1_14transform_implILb0ES3_S5_NS0_18transform_iteratorINS0_17counting_iteratorImlEEZNS1_24adjacent_difference_implIS3_Lb1ELb0EPtSB_N6thrust23THRUST_200600_302600_NS5minusItEEEE10hipError_tPvRmT2_T3_mT4_P12ihipStream_tbEUlmE_tEESB_NS0_8identityIvEEEESG_SJ_SK_mSL_SN_bEUlT_E_NS1_11comp_targetILNS1_3genE8ELNS1_11target_archE1030ELNS1_3gpuE2ELNS1_3repE0EEENS1_30default_config_static_selectorELNS0_4arch9wavefront6targetE1EEEvT1_
		.amdhsa_group_segment_fixed_size 0
		.amdhsa_private_segment_fixed_size 0
		.amdhsa_kernarg_size 56
		.amdhsa_user_sgpr_count 6
		.amdhsa_user_sgpr_private_segment_buffer 1
		.amdhsa_user_sgpr_dispatch_ptr 0
		.amdhsa_user_sgpr_queue_ptr 0
		.amdhsa_user_sgpr_kernarg_segment_ptr 1
		.amdhsa_user_sgpr_dispatch_id 0
		.amdhsa_user_sgpr_flat_scratch_init 0
		.amdhsa_user_sgpr_kernarg_preload_length 0
		.amdhsa_user_sgpr_kernarg_preload_offset 0
		.amdhsa_user_sgpr_private_segment_size 0
		.amdhsa_uses_dynamic_stack 0
		.amdhsa_system_sgpr_private_segment_wavefront_offset 0
		.amdhsa_system_sgpr_workgroup_id_x 1
		.amdhsa_system_sgpr_workgroup_id_y 0
		.amdhsa_system_sgpr_workgroup_id_z 0
		.amdhsa_system_sgpr_workgroup_info 0
		.amdhsa_system_vgpr_workitem_id 0
		.amdhsa_next_free_vgpr 1
		.amdhsa_next_free_sgpr 0
		.amdhsa_accum_offset 4
		.amdhsa_reserve_vcc 0
		.amdhsa_reserve_flat_scratch 0
		.amdhsa_float_round_mode_32 0
		.amdhsa_float_round_mode_16_64 0
		.amdhsa_float_denorm_mode_32 3
		.amdhsa_float_denorm_mode_16_64 3
		.amdhsa_dx10_clamp 1
		.amdhsa_ieee_mode 1
		.amdhsa_fp16_overflow 0
		.amdhsa_tg_split 0
		.amdhsa_exception_fp_ieee_invalid_op 0
		.amdhsa_exception_fp_denorm_src 0
		.amdhsa_exception_fp_ieee_div_zero 0
		.amdhsa_exception_fp_ieee_overflow 0
		.amdhsa_exception_fp_ieee_underflow 0
		.amdhsa_exception_fp_ieee_inexact 0
		.amdhsa_exception_int_div_zero 0
	.end_amdhsa_kernel
	.section	.text._ZN7rocprim17ROCPRIM_400000_NS6detail17trampoline_kernelINS0_14default_configENS1_25transform_config_selectorItLb0EEEZNS1_14transform_implILb0ES3_S5_NS0_18transform_iteratorINS0_17counting_iteratorImlEEZNS1_24adjacent_difference_implIS3_Lb1ELb0EPtSB_N6thrust23THRUST_200600_302600_NS5minusItEEEE10hipError_tPvRmT2_T3_mT4_P12ihipStream_tbEUlmE_tEESB_NS0_8identityIvEEEESG_SJ_SK_mSL_SN_bEUlT_E_NS1_11comp_targetILNS1_3genE8ELNS1_11target_archE1030ELNS1_3gpuE2ELNS1_3repE0EEENS1_30default_config_static_selectorELNS0_4arch9wavefront6targetE1EEEvT1_,"axG",@progbits,_ZN7rocprim17ROCPRIM_400000_NS6detail17trampoline_kernelINS0_14default_configENS1_25transform_config_selectorItLb0EEEZNS1_14transform_implILb0ES3_S5_NS0_18transform_iteratorINS0_17counting_iteratorImlEEZNS1_24adjacent_difference_implIS3_Lb1ELb0EPtSB_N6thrust23THRUST_200600_302600_NS5minusItEEEE10hipError_tPvRmT2_T3_mT4_P12ihipStream_tbEUlmE_tEESB_NS0_8identityIvEEEESG_SJ_SK_mSL_SN_bEUlT_E_NS1_11comp_targetILNS1_3genE8ELNS1_11target_archE1030ELNS1_3gpuE2ELNS1_3repE0EEENS1_30default_config_static_selectorELNS0_4arch9wavefront6targetE1EEEvT1_,comdat
.Lfunc_end330:
	.size	_ZN7rocprim17ROCPRIM_400000_NS6detail17trampoline_kernelINS0_14default_configENS1_25transform_config_selectorItLb0EEEZNS1_14transform_implILb0ES3_S5_NS0_18transform_iteratorINS0_17counting_iteratorImlEEZNS1_24adjacent_difference_implIS3_Lb1ELb0EPtSB_N6thrust23THRUST_200600_302600_NS5minusItEEEE10hipError_tPvRmT2_T3_mT4_P12ihipStream_tbEUlmE_tEESB_NS0_8identityIvEEEESG_SJ_SK_mSL_SN_bEUlT_E_NS1_11comp_targetILNS1_3genE8ELNS1_11target_archE1030ELNS1_3gpuE2ELNS1_3repE0EEENS1_30default_config_static_selectorELNS0_4arch9wavefront6targetE1EEEvT1_, .Lfunc_end330-_ZN7rocprim17ROCPRIM_400000_NS6detail17trampoline_kernelINS0_14default_configENS1_25transform_config_selectorItLb0EEEZNS1_14transform_implILb0ES3_S5_NS0_18transform_iteratorINS0_17counting_iteratorImlEEZNS1_24adjacent_difference_implIS3_Lb1ELb0EPtSB_N6thrust23THRUST_200600_302600_NS5minusItEEEE10hipError_tPvRmT2_T3_mT4_P12ihipStream_tbEUlmE_tEESB_NS0_8identityIvEEEESG_SJ_SK_mSL_SN_bEUlT_E_NS1_11comp_targetILNS1_3genE8ELNS1_11target_archE1030ELNS1_3gpuE2ELNS1_3repE0EEENS1_30default_config_static_selectorELNS0_4arch9wavefront6targetE1EEEvT1_
                                        ; -- End function
	.section	.AMDGPU.csdata,"",@progbits
; Kernel info:
; codeLenInByte = 0
; NumSgprs: 4
; NumVgprs: 0
; NumAgprs: 0
; TotalNumVgprs: 0
; ScratchSize: 0
; MemoryBound: 0
; FloatMode: 240
; IeeeMode: 1
; LDSByteSize: 0 bytes/workgroup (compile time only)
; SGPRBlocks: 0
; VGPRBlocks: 0
; NumSGPRsForWavesPerEU: 4
; NumVGPRsForWavesPerEU: 1
; AccumOffset: 4
; Occupancy: 8
; WaveLimiterHint : 0
; COMPUTE_PGM_RSRC2:SCRATCH_EN: 0
; COMPUTE_PGM_RSRC2:USER_SGPR: 6
; COMPUTE_PGM_RSRC2:TRAP_HANDLER: 0
; COMPUTE_PGM_RSRC2:TGID_X_EN: 1
; COMPUTE_PGM_RSRC2:TGID_Y_EN: 0
; COMPUTE_PGM_RSRC2:TGID_Z_EN: 0
; COMPUTE_PGM_RSRC2:TIDIG_COMP_CNT: 0
; COMPUTE_PGM_RSRC3_GFX90A:ACCUM_OFFSET: 0
; COMPUTE_PGM_RSRC3_GFX90A:TG_SPLIT: 0
	.section	.text._ZN7rocprim17ROCPRIM_400000_NS6detail17trampoline_kernelINS0_14default_configENS1_35adjacent_difference_config_selectorILb1EtEEZNS1_24adjacent_difference_implIS3_Lb1ELb0EPtS7_N6thrust23THRUST_200600_302600_NS5minusItEEEE10hipError_tPvRmT2_T3_mT4_P12ihipStream_tbEUlT_E_NS1_11comp_targetILNS1_3genE0ELNS1_11target_archE4294967295ELNS1_3gpuE0ELNS1_3repE0EEENS1_30default_config_static_selectorELNS0_4arch9wavefront6targetE1EEEvT1_,"axG",@progbits,_ZN7rocprim17ROCPRIM_400000_NS6detail17trampoline_kernelINS0_14default_configENS1_35adjacent_difference_config_selectorILb1EtEEZNS1_24adjacent_difference_implIS3_Lb1ELb0EPtS7_N6thrust23THRUST_200600_302600_NS5minusItEEEE10hipError_tPvRmT2_T3_mT4_P12ihipStream_tbEUlT_E_NS1_11comp_targetILNS1_3genE0ELNS1_11target_archE4294967295ELNS1_3gpuE0ELNS1_3repE0EEENS1_30default_config_static_selectorELNS0_4arch9wavefront6targetE1EEEvT1_,comdat
	.protected	_ZN7rocprim17ROCPRIM_400000_NS6detail17trampoline_kernelINS0_14default_configENS1_35adjacent_difference_config_selectorILb1EtEEZNS1_24adjacent_difference_implIS3_Lb1ELb0EPtS7_N6thrust23THRUST_200600_302600_NS5minusItEEEE10hipError_tPvRmT2_T3_mT4_P12ihipStream_tbEUlT_E_NS1_11comp_targetILNS1_3genE0ELNS1_11target_archE4294967295ELNS1_3gpuE0ELNS1_3repE0EEENS1_30default_config_static_selectorELNS0_4arch9wavefront6targetE1EEEvT1_ ; -- Begin function _ZN7rocprim17ROCPRIM_400000_NS6detail17trampoline_kernelINS0_14default_configENS1_35adjacent_difference_config_selectorILb1EtEEZNS1_24adjacent_difference_implIS3_Lb1ELb0EPtS7_N6thrust23THRUST_200600_302600_NS5minusItEEEE10hipError_tPvRmT2_T3_mT4_P12ihipStream_tbEUlT_E_NS1_11comp_targetILNS1_3genE0ELNS1_11target_archE4294967295ELNS1_3gpuE0ELNS1_3repE0EEENS1_30default_config_static_selectorELNS0_4arch9wavefront6targetE1EEEvT1_
	.globl	_ZN7rocprim17ROCPRIM_400000_NS6detail17trampoline_kernelINS0_14default_configENS1_35adjacent_difference_config_selectorILb1EtEEZNS1_24adjacent_difference_implIS3_Lb1ELb0EPtS7_N6thrust23THRUST_200600_302600_NS5minusItEEEE10hipError_tPvRmT2_T3_mT4_P12ihipStream_tbEUlT_E_NS1_11comp_targetILNS1_3genE0ELNS1_11target_archE4294967295ELNS1_3gpuE0ELNS1_3repE0EEENS1_30default_config_static_selectorELNS0_4arch9wavefront6targetE1EEEvT1_
	.p2align	8
	.type	_ZN7rocprim17ROCPRIM_400000_NS6detail17trampoline_kernelINS0_14default_configENS1_35adjacent_difference_config_selectorILb1EtEEZNS1_24adjacent_difference_implIS3_Lb1ELb0EPtS7_N6thrust23THRUST_200600_302600_NS5minusItEEEE10hipError_tPvRmT2_T3_mT4_P12ihipStream_tbEUlT_E_NS1_11comp_targetILNS1_3genE0ELNS1_11target_archE4294967295ELNS1_3gpuE0ELNS1_3repE0EEENS1_30default_config_static_selectorELNS0_4arch9wavefront6targetE1EEEvT1_,@function
_ZN7rocprim17ROCPRIM_400000_NS6detail17trampoline_kernelINS0_14default_configENS1_35adjacent_difference_config_selectorILb1EtEEZNS1_24adjacent_difference_implIS3_Lb1ELb0EPtS7_N6thrust23THRUST_200600_302600_NS5minusItEEEE10hipError_tPvRmT2_T3_mT4_P12ihipStream_tbEUlT_E_NS1_11comp_targetILNS1_3genE0ELNS1_11target_archE4294967295ELNS1_3gpuE0ELNS1_3repE0EEENS1_30default_config_static_selectorELNS0_4arch9wavefront6targetE1EEEvT1_: ; @_ZN7rocprim17ROCPRIM_400000_NS6detail17trampoline_kernelINS0_14default_configENS1_35adjacent_difference_config_selectorILb1EtEEZNS1_24adjacent_difference_implIS3_Lb1ELb0EPtS7_N6thrust23THRUST_200600_302600_NS5minusItEEEE10hipError_tPvRmT2_T3_mT4_P12ihipStream_tbEUlT_E_NS1_11comp_targetILNS1_3genE0ELNS1_11target_archE4294967295ELNS1_3gpuE0ELNS1_3repE0EEENS1_30default_config_static_selectorELNS0_4arch9wavefront6targetE1EEEvT1_
; %bb.0:
	.section	.rodata,"a",@progbits
	.p2align	6, 0x0
	.amdhsa_kernel _ZN7rocprim17ROCPRIM_400000_NS6detail17trampoline_kernelINS0_14default_configENS1_35adjacent_difference_config_selectorILb1EtEEZNS1_24adjacent_difference_implIS3_Lb1ELb0EPtS7_N6thrust23THRUST_200600_302600_NS5minusItEEEE10hipError_tPvRmT2_T3_mT4_P12ihipStream_tbEUlT_E_NS1_11comp_targetILNS1_3genE0ELNS1_11target_archE4294967295ELNS1_3gpuE0ELNS1_3repE0EEENS1_30default_config_static_selectorELNS0_4arch9wavefront6targetE1EEEvT1_
		.amdhsa_group_segment_fixed_size 0
		.amdhsa_private_segment_fixed_size 0
		.amdhsa_kernarg_size 56
		.amdhsa_user_sgpr_count 6
		.amdhsa_user_sgpr_private_segment_buffer 1
		.amdhsa_user_sgpr_dispatch_ptr 0
		.amdhsa_user_sgpr_queue_ptr 0
		.amdhsa_user_sgpr_kernarg_segment_ptr 1
		.amdhsa_user_sgpr_dispatch_id 0
		.amdhsa_user_sgpr_flat_scratch_init 0
		.amdhsa_user_sgpr_kernarg_preload_length 0
		.amdhsa_user_sgpr_kernarg_preload_offset 0
		.amdhsa_user_sgpr_private_segment_size 0
		.amdhsa_uses_dynamic_stack 0
		.amdhsa_system_sgpr_private_segment_wavefront_offset 0
		.amdhsa_system_sgpr_workgroup_id_x 1
		.amdhsa_system_sgpr_workgroup_id_y 0
		.amdhsa_system_sgpr_workgroup_id_z 0
		.amdhsa_system_sgpr_workgroup_info 0
		.amdhsa_system_vgpr_workitem_id 0
		.amdhsa_next_free_vgpr 1
		.amdhsa_next_free_sgpr 0
		.amdhsa_accum_offset 4
		.amdhsa_reserve_vcc 0
		.amdhsa_reserve_flat_scratch 0
		.amdhsa_float_round_mode_32 0
		.amdhsa_float_round_mode_16_64 0
		.amdhsa_float_denorm_mode_32 3
		.amdhsa_float_denorm_mode_16_64 3
		.amdhsa_dx10_clamp 1
		.amdhsa_ieee_mode 1
		.amdhsa_fp16_overflow 0
		.amdhsa_tg_split 0
		.amdhsa_exception_fp_ieee_invalid_op 0
		.amdhsa_exception_fp_denorm_src 0
		.amdhsa_exception_fp_ieee_div_zero 0
		.amdhsa_exception_fp_ieee_overflow 0
		.amdhsa_exception_fp_ieee_underflow 0
		.amdhsa_exception_fp_ieee_inexact 0
		.amdhsa_exception_int_div_zero 0
	.end_amdhsa_kernel
	.section	.text._ZN7rocprim17ROCPRIM_400000_NS6detail17trampoline_kernelINS0_14default_configENS1_35adjacent_difference_config_selectorILb1EtEEZNS1_24adjacent_difference_implIS3_Lb1ELb0EPtS7_N6thrust23THRUST_200600_302600_NS5minusItEEEE10hipError_tPvRmT2_T3_mT4_P12ihipStream_tbEUlT_E_NS1_11comp_targetILNS1_3genE0ELNS1_11target_archE4294967295ELNS1_3gpuE0ELNS1_3repE0EEENS1_30default_config_static_selectorELNS0_4arch9wavefront6targetE1EEEvT1_,"axG",@progbits,_ZN7rocprim17ROCPRIM_400000_NS6detail17trampoline_kernelINS0_14default_configENS1_35adjacent_difference_config_selectorILb1EtEEZNS1_24adjacent_difference_implIS3_Lb1ELb0EPtS7_N6thrust23THRUST_200600_302600_NS5minusItEEEE10hipError_tPvRmT2_T3_mT4_P12ihipStream_tbEUlT_E_NS1_11comp_targetILNS1_3genE0ELNS1_11target_archE4294967295ELNS1_3gpuE0ELNS1_3repE0EEENS1_30default_config_static_selectorELNS0_4arch9wavefront6targetE1EEEvT1_,comdat
.Lfunc_end331:
	.size	_ZN7rocprim17ROCPRIM_400000_NS6detail17trampoline_kernelINS0_14default_configENS1_35adjacent_difference_config_selectorILb1EtEEZNS1_24adjacent_difference_implIS3_Lb1ELb0EPtS7_N6thrust23THRUST_200600_302600_NS5minusItEEEE10hipError_tPvRmT2_T3_mT4_P12ihipStream_tbEUlT_E_NS1_11comp_targetILNS1_3genE0ELNS1_11target_archE4294967295ELNS1_3gpuE0ELNS1_3repE0EEENS1_30default_config_static_selectorELNS0_4arch9wavefront6targetE1EEEvT1_, .Lfunc_end331-_ZN7rocprim17ROCPRIM_400000_NS6detail17trampoline_kernelINS0_14default_configENS1_35adjacent_difference_config_selectorILb1EtEEZNS1_24adjacent_difference_implIS3_Lb1ELb0EPtS7_N6thrust23THRUST_200600_302600_NS5minusItEEEE10hipError_tPvRmT2_T3_mT4_P12ihipStream_tbEUlT_E_NS1_11comp_targetILNS1_3genE0ELNS1_11target_archE4294967295ELNS1_3gpuE0ELNS1_3repE0EEENS1_30default_config_static_selectorELNS0_4arch9wavefront6targetE1EEEvT1_
                                        ; -- End function
	.section	.AMDGPU.csdata,"",@progbits
; Kernel info:
; codeLenInByte = 0
; NumSgprs: 4
; NumVgprs: 0
; NumAgprs: 0
; TotalNumVgprs: 0
; ScratchSize: 0
; MemoryBound: 0
; FloatMode: 240
; IeeeMode: 1
; LDSByteSize: 0 bytes/workgroup (compile time only)
; SGPRBlocks: 0
; VGPRBlocks: 0
; NumSGPRsForWavesPerEU: 4
; NumVGPRsForWavesPerEU: 1
; AccumOffset: 4
; Occupancy: 8
; WaveLimiterHint : 0
; COMPUTE_PGM_RSRC2:SCRATCH_EN: 0
; COMPUTE_PGM_RSRC2:USER_SGPR: 6
; COMPUTE_PGM_RSRC2:TRAP_HANDLER: 0
; COMPUTE_PGM_RSRC2:TGID_X_EN: 1
; COMPUTE_PGM_RSRC2:TGID_Y_EN: 0
; COMPUTE_PGM_RSRC2:TGID_Z_EN: 0
; COMPUTE_PGM_RSRC2:TIDIG_COMP_CNT: 0
; COMPUTE_PGM_RSRC3_GFX90A:ACCUM_OFFSET: 0
; COMPUTE_PGM_RSRC3_GFX90A:TG_SPLIT: 0
	.section	.text._ZN7rocprim17ROCPRIM_400000_NS6detail17trampoline_kernelINS0_14default_configENS1_35adjacent_difference_config_selectorILb1EtEEZNS1_24adjacent_difference_implIS3_Lb1ELb0EPtS7_N6thrust23THRUST_200600_302600_NS5minusItEEEE10hipError_tPvRmT2_T3_mT4_P12ihipStream_tbEUlT_E_NS1_11comp_targetILNS1_3genE10ELNS1_11target_archE1201ELNS1_3gpuE5ELNS1_3repE0EEENS1_30default_config_static_selectorELNS0_4arch9wavefront6targetE1EEEvT1_,"axG",@progbits,_ZN7rocprim17ROCPRIM_400000_NS6detail17trampoline_kernelINS0_14default_configENS1_35adjacent_difference_config_selectorILb1EtEEZNS1_24adjacent_difference_implIS3_Lb1ELb0EPtS7_N6thrust23THRUST_200600_302600_NS5minusItEEEE10hipError_tPvRmT2_T3_mT4_P12ihipStream_tbEUlT_E_NS1_11comp_targetILNS1_3genE10ELNS1_11target_archE1201ELNS1_3gpuE5ELNS1_3repE0EEENS1_30default_config_static_selectorELNS0_4arch9wavefront6targetE1EEEvT1_,comdat
	.protected	_ZN7rocprim17ROCPRIM_400000_NS6detail17trampoline_kernelINS0_14default_configENS1_35adjacent_difference_config_selectorILb1EtEEZNS1_24adjacent_difference_implIS3_Lb1ELb0EPtS7_N6thrust23THRUST_200600_302600_NS5minusItEEEE10hipError_tPvRmT2_T3_mT4_P12ihipStream_tbEUlT_E_NS1_11comp_targetILNS1_3genE10ELNS1_11target_archE1201ELNS1_3gpuE5ELNS1_3repE0EEENS1_30default_config_static_selectorELNS0_4arch9wavefront6targetE1EEEvT1_ ; -- Begin function _ZN7rocprim17ROCPRIM_400000_NS6detail17trampoline_kernelINS0_14default_configENS1_35adjacent_difference_config_selectorILb1EtEEZNS1_24adjacent_difference_implIS3_Lb1ELb0EPtS7_N6thrust23THRUST_200600_302600_NS5minusItEEEE10hipError_tPvRmT2_T3_mT4_P12ihipStream_tbEUlT_E_NS1_11comp_targetILNS1_3genE10ELNS1_11target_archE1201ELNS1_3gpuE5ELNS1_3repE0EEENS1_30default_config_static_selectorELNS0_4arch9wavefront6targetE1EEEvT1_
	.globl	_ZN7rocprim17ROCPRIM_400000_NS6detail17trampoline_kernelINS0_14default_configENS1_35adjacent_difference_config_selectorILb1EtEEZNS1_24adjacent_difference_implIS3_Lb1ELb0EPtS7_N6thrust23THRUST_200600_302600_NS5minusItEEEE10hipError_tPvRmT2_T3_mT4_P12ihipStream_tbEUlT_E_NS1_11comp_targetILNS1_3genE10ELNS1_11target_archE1201ELNS1_3gpuE5ELNS1_3repE0EEENS1_30default_config_static_selectorELNS0_4arch9wavefront6targetE1EEEvT1_
	.p2align	8
	.type	_ZN7rocprim17ROCPRIM_400000_NS6detail17trampoline_kernelINS0_14default_configENS1_35adjacent_difference_config_selectorILb1EtEEZNS1_24adjacent_difference_implIS3_Lb1ELb0EPtS7_N6thrust23THRUST_200600_302600_NS5minusItEEEE10hipError_tPvRmT2_T3_mT4_P12ihipStream_tbEUlT_E_NS1_11comp_targetILNS1_3genE10ELNS1_11target_archE1201ELNS1_3gpuE5ELNS1_3repE0EEENS1_30default_config_static_selectorELNS0_4arch9wavefront6targetE1EEEvT1_,@function
_ZN7rocprim17ROCPRIM_400000_NS6detail17trampoline_kernelINS0_14default_configENS1_35adjacent_difference_config_selectorILb1EtEEZNS1_24adjacent_difference_implIS3_Lb1ELb0EPtS7_N6thrust23THRUST_200600_302600_NS5minusItEEEE10hipError_tPvRmT2_T3_mT4_P12ihipStream_tbEUlT_E_NS1_11comp_targetILNS1_3genE10ELNS1_11target_archE1201ELNS1_3gpuE5ELNS1_3repE0EEENS1_30default_config_static_selectorELNS0_4arch9wavefront6targetE1EEEvT1_: ; @_ZN7rocprim17ROCPRIM_400000_NS6detail17trampoline_kernelINS0_14default_configENS1_35adjacent_difference_config_selectorILb1EtEEZNS1_24adjacent_difference_implIS3_Lb1ELb0EPtS7_N6thrust23THRUST_200600_302600_NS5minusItEEEE10hipError_tPvRmT2_T3_mT4_P12ihipStream_tbEUlT_E_NS1_11comp_targetILNS1_3genE10ELNS1_11target_archE1201ELNS1_3gpuE5ELNS1_3repE0EEENS1_30default_config_static_selectorELNS0_4arch9wavefront6targetE1EEEvT1_
; %bb.0:
	.section	.rodata,"a",@progbits
	.p2align	6, 0x0
	.amdhsa_kernel _ZN7rocprim17ROCPRIM_400000_NS6detail17trampoline_kernelINS0_14default_configENS1_35adjacent_difference_config_selectorILb1EtEEZNS1_24adjacent_difference_implIS3_Lb1ELb0EPtS7_N6thrust23THRUST_200600_302600_NS5minusItEEEE10hipError_tPvRmT2_T3_mT4_P12ihipStream_tbEUlT_E_NS1_11comp_targetILNS1_3genE10ELNS1_11target_archE1201ELNS1_3gpuE5ELNS1_3repE0EEENS1_30default_config_static_selectorELNS0_4arch9wavefront6targetE1EEEvT1_
		.amdhsa_group_segment_fixed_size 0
		.amdhsa_private_segment_fixed_size 0
		.amdhsa_kernarg_size 56
		.amdhsa_user_sgpr_count 6
		.amdhsa_user_sgpr_private_segment_buffer 1
		.amdhsa_user_sgpr_dispatch_ptr 0
		.amdhsa_user_sgpr_queue_ptr 0
		.amdhsa_user_sgpr_kernarg_segment_ptr 1
		.amdhsa_user_sgpr_dispatch_id 0
		.amdhsa_user_sgpr_flat_scratch_init 0
		.amdhsa_user_sgpr_kernarg_preload_length 0
		.amdhsa_user_sgpr_kernarg_preload_offset 0
		.amdhsa_user_sgpr_private_segment_size 0
		.amdhsa_uses_dynamic_stack 0
		.amdhsa_system_sgpr_private_segment_wavefront_offset 0
		.amdhsa_system_sgpr_workgroup_id_x 1
		.amdhsa_system_sgpr_workgroup_id_y 0
		.amdhsa_system_sgpr_workgroup_id_z 0
		.amdhsa_system_sgpr_workgroup_info 0
		.amdhsa_system_vgpr_workitem_id 0
		.amdhsa_next_free_vgpr 1
		.amdhsa_next_free_sgpr 0
		.amdhsa_accum_offset 4
		.amdhsa_reserve_vcc 0
		.amdhsa_reserve_flat_scratch 0
		.amdhsa_float_round_mode_32 0
		.amdhsa_float_round_mode_16_64 0
		.amdhsa_float_denorm_mode_32 3
		.amdhsa_float_denorm_mode_16_64 3
		.amdhsa_dx10_clamp 1
		.amdhsa_ieee_mode 1
		.amdhsa_fp16_overflow 0
		.amdhsa_tg_split 0
		.amdhsa_exception_fp_ieee_invalid_op 0
		.amdhsa_exception_fp_denorm_src 0
		.amdhsa_exception_fp_ieee_div_zero 0
		.amdhsa_exception_fp_ieee_overflow 0
		.amdhsa_exception_fp_ieee_underflow 0
		.amdhsa_exception_fp_ieee_inexact 0
		.amdhsa_exception_int_div_zero 0
	.end_amdhsa_kernel
	.section	.text._ZN7rocprim17ROCPRIM_400000_NS6detail17trampoline_kernelINS0_14default_configENS1_35adjacent_difference_config_selectorILb1EtEEZNS1_24adjacent_difference_implIS3_Lb1ELb0EPtS7_N6thrust23THRUST_200600_302600_NS5minusItEEEE10hipError_tPvRmT2_T3_mT4_P12ihipStream_tbEUlT_E_NS1_11comp_targetILNS1_3genE10ELNS1_11target_archE1201ELNS1_3gpuE5ELNS1_3repE0EEENS1_30default_config_static_selectorELNS0_4arch9wavefront6targetE1EEEvT1_,"axG",@progbits,_ZN7rocprim17ROCPRIM_400000_NS6detail17trampoline_kernelINS0_14default_configENS1_35adjacent_difference_config_selectorILb1EtEEZNS1_24adjacent_difference_implIS3_Lb1ELb0EPtS7_N6thrust23THRUST_200600_302600_NS5minusItEEEE10hipError_tPvRmT2_T3_mT4_P12ihipStream_tbEUlT_E_NS1_11comp_targetILNS1_3genE10ELNS1_11target_archE1201ELNS1_3gpuE5ELNS1_3repE0EEENS1_30default_config_static_selectorELNS0_4arch9wavefront6targetE1EEEvT1_,comdat
.Lfunc_end332:
	.size	_ZN7rocprim17ROCPRIM_400000_NS6detail17trampoline_kernelINS0_14default_configENS1_35adjacent_difference_config_selectorILb1EtEEZNS1_24adjacent_difference_implIS3_Lb1ELb0EPtS7_N6thrust23THRUST_200600_302600_NS5minusItEEEE10hipError_tPvRmT2_T3_mT4_P12ihipStream_tbEUlT_E_NS1_11comp_targetILNS1_3genE10ELNS1_11target_archE1201ELNS1_3gpuE5ELNS1_3repE0EEENS1_30default_config_static_selectorELNS0_4arch9wavefront6targetE1EEEvT1_, .Lfunc_end332-_ZN7rocprim17ROCPRIM_400000_NS6detail17trampoline_kernelINS0_14default_configENS1_35adjacent_difference_config_selectorILb1EtEEZNS1_24adjacent_difference_implIS3_Lb1ELb0EPtS7_N6thrust23THRUST_200600_302600_NS5minusItEEEE10hipError_tPvRmT2_T3_mT4_P12ihipStream_tbEUlT_E_NS1_11comp_targetILNS1_3genE10ELNS1_11target_archE1201ELNS1_3gpuE5ELNS1_3repE0EEENS1_30default_config_static_selectorELNS0_4arch9wavefront6targetE1EEEvT1_
                                        ; -- End function
	.section	.AMDGPU.csdata,"",@progbits
; Kernel info:
; codeLenInByte = 0
; NumSgprs: 4
; NumVgprs: 0
; NumAgprs: 0
; TotalNumVgprs: 0
; ScratchSize: 0
; MemoryBound: 0
; FloatMode: 240
; IeeeMode: 1
; LDSByteSize: 0 bytes/workgroup (compile time only)
; SGPRBlocks: 0
; VGPRBlocks: 0
; NumSGPRsForWavesPerEU: 4
; NumVGPRsForWavesPerEU: 1
; AccumOffset: 4
; Occupancy: 8
; WaveLimiterHint : 0
; COMPUTE_PGM_RSRC2:SCRATCH_EN: 0
; COMPUTE_PGM_RSRC2:USER_SGPR: 6
; COMPUTE_PGM_RSRC2:TRAP_HANDLER: 0
; COMPUTE_PGM_RSRC2:TGID_X_EN: 1
; COMPUTE_PGM_RSRC2:TGID_Y_EN: 0
; COMPUTE_PGM_RSRC2:TGID_Z_EN: 0
; COMPUTE_PGM_RSRC2:TIDIG_COMP_CNT: 0
; COMPUTE_PGM_RSRC3_GFX90A:ACCUM_OFFSET: 0
; COMPUTE_PGM_RSRC3_GFX90A:TG_SPLIT: 0
	.section	.text._ZN7rocprim17ROCPRIM_400000_NS6detail17trampoline_kernelINS0_14default_configENS1_35adjacent_difference_config_selectorILb1EtEEZNS1_24adjacent_difference_implIS3_Lb1ELb0EPtS7_N6thrust23THRUST_200600_302600_NS5minusItEEEE10hipError_tPvRmT2_T3_mT4_P12ihipStream_tbEUlT_E_NS1_11comp_targetILNS1_3genE5ELNS1_11target_archE942ELNS1_3gpuE9ELNS1_3repE0EEENS1_30default_config_static_selectorELNS0_4arch9wavefront6targetE1EEEvT1_,"axG",@progbits,_ZN7rocprim17ROCPRIM_400000_NS6detail17trampoline_kernelINS0_14default_configENS1_35adjacent_difference_config_selectorILb1EtEEZNS1_24adjacent_difference_implIS3_Lb1ELb0EPtS7_N6thrust23THRUST_200600_302600_NS5minusItEEEE10hipError_tPvRmT2_T3_mT4_P12ihipStream_tbEUlT_E_NS1_11comp_targetILNS1_3genE5ELNS1_11target_archE942ELNS1_3gpuE9ELNS1_3repE0EEENS1_30default_config_static_selectorELNS0_4arch9wavefront6targetE1EEEvT1_,comdat
	.protected	_ZN7rocprim17ROCPRIM_400000_NS6detail17trampoline_kernelINS0_14default_configENS1_35adjacent_difference_config_selectorILb1EtEEZNS1_24adjacent_difference_implIS3_Lb1ELb0EPtS7_N6thrust23THRUST_200600_302600_NS5minusItEEEE10hipError_tPvRmT2_T3_mT4_P12ihipStream_tbEUlT_E_NS1_11comp_targetILNS1_3genE5ELNS1_11target_archE942ELNS1_3gpuE9ELNS1_3repE0EEENS1_30default_config_static_selectorELNS0_4arch9wavefront6targetE1EEEvT1_ ; -- Begin function _ZN7rocprim17ROCPRIM_400000_NS6detail17trampoline_kernelINS0_14default_configENS1_35adjacent_difference_config_selectorILb1EtEEZNS1_24adjacent_difference_implIS3_Lb1ELb0EPtS7_N6thrust23THRUST_200600_302600_NS5minusItEEEE10hipError_tPvRmT2_T3_mT4_P12ihipStream_tbEUlT_E_NS1_11comp_targetILNS1_3genE5ELNS1_11target_archE942ELNS1_3gpuE9ELNS1_3repE0EEENS1_30default_config_static_selectorELNS0_4arch9wavefront6targetE1EEEvT1_
	.globl	_ZN7rocprim17ROCPRIM_400000_NS6detail17trampoline_kernelINS0_14default_configENS1_35adjacent_difference_config_selectorILb1EtEEZNS1_24adjacent_difference_implIS3_Lb1ELb0EPtS7_N6thrust23THRUST_200600_302600_NS5minusItEEEE10hipError_tPvRmT2_T3_mT4_P12ihipStream_tbEUlT_E_NS1_11comp_targetILNS1_3genE5ELNS1_11target_archE942ELNS1_3gpuE9ELNS1_3repE0EEENS1_30default_config_static_selectorELNS0_4arch9wavefront6targetE1EEEvT1_
	.p2align	8
	.type	_ZN7rocprim17ROCPRIM_400000_NS6detail17trampoline_kernelINS0_14default_configENS1_35adjacent_difference_config_selectorILb1EtEEZNS1_24adjacent_difference_implIS3_Lb1ELb0EPtS7_N6thrust23THRUST_200600_302600_NS5minusItEEEE10hipError_tPvRmT2_T3_mT4_P12ihipStream_tbEUlT_E_NS1_11comp_targetILNS1_3genE5ELNS1_11target_archE942ELNS1_3gpuE9ELNS1_3repE0EEENS1_30default_config_static_selectorELNS0_4arch9wavefront6targetE1EEEvT1_,@function
_ZN7rocprim17ROCPRIM_400000_NS6detail17trampoline_kernelINS0_14default_configENS1_35adjacent_difference_config_selectorILb1EtEEZNS1_24adjacent_difference_implIS3_Lb1ELb0EPtS7_N6thrust23THRUST_200600_302600_NS5minusItEEEE10hipError_tPvRmT2_T3_mT4_P12ihipStream_tbEUlT_E_NS1_11comp_targetILNS1_3genE5ELNS1_11target_archE942ELNS1_3gpuE9ELNS1_3repE0EEENS1_30default_config_static_selectorELNS0_4arch9wavefront6targetE1EEEvT1_: ; @_ZN7rocprim17ROCPRIM_400000_NS6detail17trampoline_kernelINS0_14default_configENS1_35adjacent_difference_config_selectorILb1EtEEZNS1_24adjacent_difference_implIS3_Lb1ELb0EPtS7_N6thrust23THRUST_200600_302600_NS5minusItEEEE10hipError_tPvRmT2_T3_mT4_P12ihipStream_tbEUlT_E_NS1_11comp_targetILNS1_3genE5ELNS1_11target_archE942ELNS1_3gpuE9ELNS1_3repE0EEENS1_30default_config_static_selectorELNS0_4arch9wavefront6targetE1EEEvT1_
; %bb.0:
	.section	.rodata,"a",@progbits
	.p2align	6, 0x0
	.amdhsa_kernel _ZN7rocprim17ROCPRIM_400000_NS6detail17trampoline_kernelINS0_14default_configENS1_35adjacent_difference_config_selectorILb1EtEEZNS1_24adjacent_difference_implIS3_Lb1ELb0EPtS7_N6thrust23THRUST_200600_302600_NS5minusItEEEE10hipError_tPvRmT2_T3_mT4_P12ihipStream_tbEUlT_E_NS1_11comp_targetILNS1_3genE5ELNS1_11target_archE942ELNS1_3gpuE9ELNS1_3repE0EEENS1_30default_config_static_selectorELNS0_4arch9wavefront6targetE1EEEvT1_
		.amdhsa_group_segment_fixed_size 0
		.amdhsa_private_segment_fixed_size 0
		.amdhsa_kernarg_size 56
		.amdhsa_user_sgpr_count 6
		.amdhsa_user_sgpr_private_segment_buffer 1
		.amdhsa_user_sgpr_dispatch_ptr 0
		.amdhsa_user_sgpr_queue_ptr 0
		.amdhsa_user_sgpr_kernarg_segment_ptr 1
		.amdhsa_user_sgpr_dispatch_id 0
		.amdhsa_user_sgpr_flat_scratch_init 0
		.amdhsa_user_sgpr_kernarg_preload_length 0
		.amdhsa_user_sgpr_kernarg_preload_offset 0
		.amdhsa_user_sgpr_private_segment_size 0
		.amdhsa_uses_dynamic_stack 0
		.amdhsa_system_sgpr_private_segment_wavefront_offset 0
		.amdhsa_system_sgpr_workgroup_id_x 1
		.amdhsa_system_sgpr_workgroup_id_y 0
		.amdhsa_system_sgpr_workgroup_id_z 0
		.amdhsa_system_sgpr_workgroup_info 0
		.amdhsa_system_vgpr_workitem_id 0
		.amdhsa_next_free_vgpr 1
		.amdhsa_next_free_sgpr 0
		.amdhsa_accum_offset 4
		.amdhsa_reserve_vcc 0
		.amdhsa_reserve_flat_scratch 0
		.amdhsa_float_round_mode_32 0
		.amdhsa_float_round_mode_16_64 0
		.amdhsa_float_denorm_mode_32 3
		.amdhsa_float_denorm_mode_16_64 3
		.amdhsa_dx10_clamp 1
		.amdhsa_ieee_mode 1
		.amdhsa_fp16_overflow 0
		.amdhsa_tg_split 0
		.amdhsa_exception_fp_ieee_invalid_op 0
		.amdhsa_exception_fp_denorm_src 0
		.amdhsa_exception_fp_ieee_div_zero 0
		.amdhsa_exception_fp_ieee_overflow 0
		.amdhsa_exception_fp_ieee_underflow 0
		.amdhsa_exception_fp_ieee_inexact 0
		.amdhsa_exception_int_div_zero 0
	.end_amdhsa_kernel
	.section	.text._ZN7rocprim17ROCPRIM_400000_NS6detail17trampoline_kernelINS0_14default_configENS1_35adjacent_difference_config_selectorILb1EtEEZNS1_24adjacent_difference_implIS3_Lb1ELb0EPtS7_N6thrust23THRUST_200600_302600_NS5minusItEEEE10hipError_tPvRmT2_T3_mT4_P12ihipStream_tbEUlT_E_NS1_11comp_targetILNS1_3genE5ELNS1_11target_archE942ELNS1_3gpuE9ELNS1_3repE0EEENS1_30default_config_static_selectorELNS0_4arch9wavefront6targetE1EEEvT1_,"axG",@progbits,_ZN7rocprim17ROCPRIM_400000_NS6detail17trampoline_kernelINS0_14default_configENS1_35adjacent_difference_config_selectorILb1EtEEZNS1_24adjacent_difference_implIS3_Lb1ELb0EPtS7_N6thrust23THRUST_200600_302600_NS5minusItEEEE10hipError_tPvRmT2_T3_mT4_P12ihipStream_tbEUlT_E_NS1_11comp_targetILNS1_3genE5ELNS1_11target_archE942ELNS1_3gpuE9ELNS1_3repE0EEENS1_30default_config_static_selectorELNS0_4arch9wavefront6targetE1EEEvT1_,comdat
.Lfunc_end333:
	.size	_ZN7rocprim17ROCPRIM_400000_NS6detail17trampoline_kernelINS0_14default_configENS1_35adjacent_difference_config_selectorILb1EtEEZNS1_24adjacent_difference_implIS3_Lb1ELb0EPtS7_N6thrust23THRUST_200600_302600_NS5minusItEEEE10hipError_tPvRmT2_T3_mT4_P12ihipStream_tbEUlT_E_NS1_11comp_targetILNS1_3genE5ELNS1_11target_archE942ELNS1_3gpuE9ELNS1_3repE0EEENS1_30default_config_static_selectorELNS0_4arch9wavefront6targetE1EEEvT1_, .Lfunc_end333-_ZN7rocprim17ROCPRIM_400000_NS6detail17trampoline_kernelINS0_14default_configENS1_35adjacent_difference_config_selectorILb1EtEEZNS1_24adjacent_difference_implIS3_Lb1ELb0EPtS7_N6thrust23THRUST_200600_302600_NS5minusItEEEE10hipError_tPvRmT2_T3_mT4_P12ihipStream_tbEUlT_E_NS1_11comp_targetILNS1_3genE5ELNS1_11target_archE942ELNS1_3gpuE9ELNS1_3repE0EEENS1_30default_config_static_selectorELNS0_4arch9wavefront6targetE1EEEvT1_
                                        ; -- End function
	.section	.AMDGPU.csdata,"",@progbits
; Kernel info:
; codeLenInByte = 0
; NumSgprs: 4
; NumVgprs: 0
; NumAgprs: 0
; TotalNumVgprs: 0
; ScratchSize: 0
; MemoryBound: 0
; FloatMode: 240
; IeeeMode: 1
; LDSByteSize: 0 bytes/workgroup (compile time only)
; SGPRBlocks: 0
; VGPRBlocks: 0
; NumSGPRsForWavesPerEU: 4
; NumVGPRsForWavesPerEU: 1
; AccumOffset: 4
; Occupancy: 8
; WaveLimiterHint : 0
; COMPUTE_PGM_RSRC2:SCRATCH_EN: 0
; COMPUTE_PGM_RSRC2:USER_SGPR: 6
; COMPUTE_PGM_RSRC2:TRAP_HANDLER: 0
; COMPUTE_PGM_RSRC2:TGID_X_EN: 1
; COMPUTE_PGM_RSRC2:TGID_Y_EN: 0
; COMPUTE_PGM_RSRC2:TGID_Z_EN: 0
; COMPUTE_PGM_RSRC2:TIDIG_COMP_CNT: 0
; COMPUTE_PGM_RSRC3_GFX90A:ACCUM_OFFSET: 0
; COMPUTE_PGM_RSRC3_GFX90A:TG_SPLIT: 0
	.section	.text._ZN7rocprim17ROCPRIM_400000_NS6detail17trampoline_kernelINS0_14default_configENS1_35adjacent_difference_config_selectorILb1EtEEZNS1_24adjacent_difference_implIS3_Lb1ELb0EPtS7_N6thrust23THRUST_200600_302600_NS5minusItEEEE10hipError_tPvRmT2_T3_mT4_P12ihipStream_tbEUlT_E_NS1_11comp_targetILNS1_3genE4ELNS1_11target_archE910ELNS1_3gpuE8ELNS1_3repE0EEENS1_30default_config_static_selectorELNS0_4arch9wavefront6targetE1EEEvT1_,"axG",@progbits,_ZN7rocprim17ROCPRIM_400000_NS6detail17trampoline_kernelINS0_14default_configENS1_35adjacent_difference_config_selectorILb1EtEEZNS1_24adjacent_difference_implIS3_Lb1ELb0EPtS7_N6thrust23THRUST_200600_302600_NS5minusItEEEE10hipError_tPvRmT2_T3_mT4_P12ihipStream_tbEUlT_E_NS1_11comp_targetILNS1_3genE4ELNS1_11target_archE910ELNS1_3gpuE8ELNS1_3repE0EEENS1_30default_config_static_selectorELNS0_4arch9wavefront6targetE1EEEvT1_,comdat
	.protected	_ZN7rocprim17ROCPRIM_400000_NS6detail17trampoline_kernelINS0_14default_configENS1_35adjacent_difference_config_selectorILb1EtEEZNS1_24adjacent_difference_implIS3_Lb1ELb0EPtS7_N6thrust23THRUST_200600_302600_NS5minusItEEEE10hipError_tPvRmT2_T3_mT4_P12ihipStream_tbEUlT_E_NS1_11comp_targetILNS1_3genE4ELNS1_11target_archE910ELNS1_3gpuE8ELNS1_3repE0EEENS1_30default_config_static_selectorELNS0_4arch9wavefront6targetE1EEEvT1_ ; -- Begin function _ZN7rocprim17ROCPRIM_400000_NS6detail17trampoline_kernelINS0_14default_configENS1_35adjacent_difference_config_selectorILb1EtEEZNS1_24adjacent_difference_implIS3_Lb1ELb0EPtS7_N6thrust23THRUST_200600_302600_NS5minusItEEEE10hipError_tPvRmT2_T3_mT4_P12ihipStream_tbEUlT_E_NS1_11comp_targetILNS1_3genE4ELNS1_11target_archE910ELNS1_3gpuE8ELNS1_3repE0EEENS1_30default_config_static_selectorELNS0_4arch9wavefront6targetE1EEEvT1_
	.globl	_ZN7rocprim17ROCPRIM_400000_NS6detail17trampoline_kernelINS0_14default_configENS1_35adjacent_difference_config_selectorILb1EtEEZNS1_24adjacent_difference_implIS3_Lb1ELb0EPtS7_N6thrust23THRUST_200600_302600_NS5minusItEEEE10hipError_tPvRmT2_T3_mT4_P12ihipStream_tbEUlT_E_NS1_11comp_targetILNS1_3genE4ELNS1_11target_archE910ELNS1_3gpuE8ELNS1_3repE0EEENS1_30default_config_static_selectorELNS0_4arch9wavefront6targetE1EEEvT1_
	.p2align	8
	.type	_ZN7rocprim17ROCPRIM_400000_NS6detail17trampoline_kernelINS0_14default_configENS1_35adjacent_difference_config_selectorILb1EtEEZNS1_24adjacent_difference_implIS3_Lb1ELb0EPtS7_N6thrust23THRUST_200600_302600_NS5minusItEEEE10hipError_tPvRmT2_T3_mT4_P12ihipStream_tbEUlT_E_NS1_11comp_targetILNS1_3genE4ELNS1_11target_archE910ELNS1_3gpuE8ELNS1_3repE0EEENS1_30default_config_static_selectorELNS0_4arch9wavefront6targetE1EEEvT1_,@function
_ZN7rocprim17ROCPRIM_400000_NS6detail17trampoline_kernelINS0_14default_configENS1_35adjacent_difference_config_selectorILb1EtEEZNS1_24adjacent_difference_implIS3_Lb1ELb0EPtS7_N6thrust23THRUST_200600_302600_NS5minusItEEEE10hipError_tPvRmT2_T3_mT4_P12ihipStream_tbEUlT_E_NS1_11comp_targetILNS1_3genE4ELNS1_11target_archE910ELNS1_3gpuE8ELNS1_3repE0EEENS1_30default_config_static_selectorELNS0_4arch9wavefront6targetE1EEEvT1_: ; @_ZN7rocprim17ROCPRIM_400000_NS6detail17trampoline_kernelINS0_14default_configENS1_35adjacent_difference_config_selectorILb1EtEEZNS1_24adjacent_difference_implIS3_Lb1ELb0EPtS7_N6thrust23THRUST_200600_302600_NS5minusItEEEE10hipError_tPvRmT2_T3_mT4_P12ihipStream_tbEUlT_E_NS1_11comp_targetILNS1_3genE4ELNS1_11target_archE910ELNS1_3gpuE8ELNS1_3repE0EEENS1_30default_config_static_selectorELNS0_4arch9wavefront6targetE1EEEvT1_
; %bb.0:
	s_load_dwordx8 s[8:15], s[4:5], 0x0
	s_mov_b32 s0, 0xfc3c3710
	s_load_dwordx4 s[16:19], s[4:5], 0x28
	s_movk_i32 s2, 0x440
	s_mov_b32 s7, 0
	s_waitcnt lgkmcnt(0)
	s_lshl_b64 s[10:11], s[10:11], 1
	s_add_u32 s26, s8, s10
	s_addc_u32 s27, s9, s11
	s_add_u32 s0, 0x10c, s0
	s_addc_u32 s3, 0, 0
	v_add_co_u32_e64 v1, s[0:1], s0, 2.0
	s_cmp_lg_u64 s[0:1], 0
	s_addc_u32 s0, s3, 0x3c3c3b
	v_readfirstlane_b32 s3, v1
	s_mul_hi_u32 s4, s3, 0xfffffbc0
	s_mul_i32 s1, s0, 0xfffffbc0
	s_sub_i32 s4, s4, s3
	s_add_i32 s4, s4, s1
	s_mul_i32 s9, s3, 0xfffffbc0
	s_mul_hi_u32 s1, s3, s4
	s_mul_i32 s5, s3, s4
	s_mul_hi_u32 s3, s3, s9
	s_add_u32 s3, s3, s5
	s_addc_u32 s1, 0, s1
	s_mul_hi_u32 s20, s0, s9
	s_mul_i32 s9, s0, s9
	s_add_u32 s3, s3, s9
	s_mul_hi_u32 s5, s0, s4
	s_addc_u32 s1, s1, s20
	s_addc_u32 s3, s5, 0
	s_mul_i32 s4, s0, s4
	s_add_u32 s1, s1, s4
	s_addc_u32 s3, 0, s3
	v_add_co_u32_e32 v1, vcc, s1, v1
	s_cmp_lg_u64 vcc, 0
	s_addc_u32 s0, s0, s3
	v_readfirstlane_b32 s4, v1
	s_mul_i32 s3, s14, s0
	s_mul_hi_u32 s5, s14, s4
	s_mul_hi_u32 s1, s14, s0
	s_add_u32 s3, s5, s3
	s_addc_u32 s1, 0, s1
	s_mul_hi_u32 s9, s15, s4
	s_mul_i32 s4, s15, s4
	s_add_u32 s3, s3, s4
	s_mul_hi_u32 s5, s15, s0
	s_addc_u32 s1, s1, s9
	s_addc_u32 s3, s5, 0
	s_mul_i32 s0, s15, s0
	s_add_u32 s0, s1, s0
	s_addc_u32 s1, 0, s3
	s_add_u32 s3, s0, 1
	s_addc_u32 s4, s1, 0
	s_add_u32 s5, s0, 2
	s_mul_i32 s20, s1, 0x440
	s_mul_hi_u32 s21, s0, 0x440
	s_addc_u32 s9, s1, 0
	s_add_i32 s21, s21, s20
	s_mul_i32 s20, s0, 0x440
	v_mov_b32_e32 v1, s20
	v_sub_co_u32_e32 v1, vcc, s14, v1
	s_cmp_lg_u64 vcc, 0
	s_subb_u32 s20, s15, s21
	v_subrev_co_u32_e32 v2, vcc, s2, v1
	s_cmp_lg_u64 vcc, 0
	s_subb_u32 s2, s20, 0
	v_readfirstlane_b32 s21, v2
	s_cmpk_gt_u32 s21, 0x43f
	s_cselect_b32 s21, -1, 0
	s_cmp_eq_u32 s2, 0
	s_cselect_b32 s2, s21, -1
	s_cmp_lg_u32 s2, 0
	s_cselect_b32 s2, s5, s3
	s_cselect_b32 s3, s9, s4
	v_readfirstlane_b32 s4, v1
	s_cmpk_gt_u32 s4, 0x43f
	s_cselect_b32 s4, -1, 0
	s_cmp_eq_u32 s20, 0
	s_cselect_b32 s4, s4, -1
	s_cmp_lg_u32 s4, 0
	s_cselect_b32 s3, s3, s1
	s_cselect_b32 s2, s2, s0
	s_mul_i32 s0, s3, 0x440
	s_mul_hi_u32 s1, s2, 0x440
	s_add_i32 s1, s1, s0
	s_mul_i32 s0, s2, 0x440
	s_sub_u32 s0, s14, s0
	s_subb_u32 s1, s15, s1
	s_cmp_lg_u64 s[0:1], 0
	s_cselect_b64 s[0:1], -1, 0
	v_cndmask_b32_e64 v1, 0, 1, s[0:1]
	v_readfirstlane_b32 s0, v1
	s_add_u32 s2, s2, s0
	s_addc_u32 s3, s3, 0
	s_add_u32 s4, s18, s6
	s_addc_u32 s5, s19, 0
	s_add_u32 s20, s2, -1
	s_addc_u32 s21, s3, -1
	v_pk_mov_b32 v[2:3], s[20:21], s[20:21] op_sel:[0,1]
	v_cmp_ge_u64_e64 s[0:1], s[4:5], v[2:3]
	s_mul_i32 s8, s6, 0x440
	s_mov_b64 s[22:23], -1
	s_and_b64 vcc, exec, s[0:1]
	s_mul_i32 s15, s20, 0xfffffbc0
	s_cbranch_vccz .LBB334_36
; %bb.1:
	s_mov_b32 s9, s7
	s_add_i32 s28, s15, s14
	s_lshl_b64 s[22:23], s[8:9], 1
	s_add_u32 s22, s26, s22
	s_addc_u32 s23, s27, s23
	v_cmp_gt_u32_e32 vcc, s28, v0
                                        ; implicit-def: $vgpr1
	s_and_saveexec_b64 s[24:25], vcc
	s_cbranch_execz .LBB334_3
; %bb.2:
	v_lshlrev_b32_e32 v1, 1, v0
	global_load_ushort v1, v1, s[22:23]
.LBB334_3:
	s_or_b64 exec, exec, s[24:25]
	v_or_b32_e32 v2, 64, v0
	v_cmp_gt_u32_e32 vcc, s28, v2
                                        ; implicit-def: $vgpr2
	s_and_saveexec_b64 s[24:25], vcc
	s_cbranch_execz .LBB334_5
; %bb.4:
	v_lshlrev_b32_e32 v2, 1, v0
	global_load_ushort v2, v2, s[22:23] offset:128
.LBB334_5:
	s_or_b64 exec, exec, s[24:25]
	v_or_b32_e32 v3, 0x80, v0
	v_cmp_gt_u32_e32 vcc, s28, v3
                                        ; implicit-def: $vgpr3
	s_and_saveexec_b64 s[24:25], vcc
	s_cbranch_execz .LBB334_7
; %bb.6:
	v_lshlrev_b32_e32 v3, 1, v0
	global_load_ushort v3, v3, s[22:23] offset:256
.LBB334_7:
	s_or_b64 exec, exec, s[24:25]
	v_or_b32_e32 v4, 0xc0, v0
	v_cmp_gt_u32_e32 vcc, s28, v4
                                        ; implicit-def: $vgpr4
	s_and_saveexec_b64 s[24:25], vcc
	s_cbranch_execz .LBB334_9
; %bb.8:
	v_lshlrev_b32_e32 v4, 1, v0
	global_load_ushort v4, v4, s[22:23] offset:384
.LBB334_9:
	s_or_b64 exec, exec, s[24:25]
	v_or_b32_e32 v5, 0x100, v0
	v_cmp_gt_u32_e32 vcc, s28, v5
                                        ; implicit-def: $vgpr5
	s_and_saveexec_b64 s[24:25], vcc
	s_cbranch_execz .LBB334_11
; %bb.10:
	v_lshlrev_b32_e32 v5, 1, v0
	global_load_ushort v5, v5, s[22:23] offset:512
.LBB334_11:
	s_or_b64 exec, exec, s[24:25]
	v_or_b32_e32 v6, 0x140, v0
	v_cmp_gt_u32_e32 vcc, s28, v6
                                        ; implicit-def: $vgpr6
	s_and_saveexec_b64 s[24:25], vcc
	s_cbranch_execz .LBB334_13
; %bb.12:
	v_lshlrev_b32_e32 v6, 1, v0
	global_load_ushort v6, v6, s[22:23] offset:640
.LBB334_13:
	s_or_b64 exec, exec, s[24:25]
	v_or_b32_e32 v7, 0x180, v0
	v_cmp_gt_u32_e32 vcc, s28, v7
                                        ; implicit-def: $vgpr7
	s_and_saveexec_b64 s[24:25], vcc
	s_cbranch_execz .LBB334_15
; %bb.14:
	v_lshlrev_b32_e32 v7, 1, v0
	global_load_ushort v7, v7, s[22:23] offset:768
.LBB334_15:
	s_or_b64 exec, exec, s[24:25]
	v_or_b32_e32 v8, 0x1c0, v0
	v_cmp_gt_u32_e32 vcc, s28, v8
                                        ; implicit-def: $vgpr8
	s_and_saveexec_b64 s[24:25], vcc
	s_cbranch_execz .LBB334_17
; %bb.16:
	v_lshlrev_b32_e32 v8, 1, v0
	global_load_ushort v8, v8, s[22:23] offset:896
.LBB334_17:
	s_or_b64 exec, exec, s[24:25]
	v_or_b32_e32 v9, 0x200, v0
	v_cmp_gt_u32_e32 vcc, s28, v9
                                        ; implicit-def: $vgpr9
	s_and_saveexec_b64 s[24:25], vcc
	s_cbranch_execz .LBB334_19
; %bb.18:
	v_lshlrev_b32_e32 v9, 1, v0
	global_load_ushort v9, v9, s[22:23] offset:1024
.LBB334_19:
	s_or_b64 exec, exec, s[24:25]
	v_or_b32_e32 v10, 0x240, v0
	v_cmp_gt_u32_e32 vcc, s28, v10
                                        ; implicit-def: $vgpr10
	s_and_saveexec_b64 s[24:25], vcc
	s_cbranch_execz .LBB334_21
; %bb.20:
	v_lshlrev_b32_e32 v10, 1, v0
	global_load_ushort v10, v10, s[22:23] offset:1152
.LBB334_21:
	s_or_b64 exec, exec, s[24:25]
	v_or_b32_e32 v11, 0x280, v0
	v_cmp_gt_u32_e32 vcc, s28, v11
                                        ; implicit-def: $vgpr11
	s_and_saveexec_b64 s[24:25], vcc
	s_cbranch_execz .LBB334_23
; %bb.22:
	v_lshlrev_b32_e32 v11, 1, v0
	global_load_ushort v11, v11, s[22:23] offset:1280
.LBB334_23:
	s_or_b64 exec, exec, s[24:25]
	v_or_b32_e32 v12, 0x2c0, v0
	v_cmp_gt_u32_e32 vcc, s28, v12
                                        ; implicit-def: $vgpr12
	s_and_saveexec_b64 s[24:25], vcc
	s_cbranch_execz .LBB334_25
; %bb.24:
	v_lshlrev_b32_e32 v12, 1, v0
	global_load_ushort v12, v12, s[22:23] offset:1408
.LBB334_25:
	s_or_b64 exec, exec, s[24:25]
	v_or_b32_e32 v13, 0x300, v0
	v_cmp_gt_u32_e32 vcc, s28, v13
                                        ; implicit-def: $vgpr13
	s_and_saveexec_b64 s[24:25], vcc
	s_cbranch_execz .LBB334_27
; %bb.26:
	v_lshlrev_b32_e32 v13, 1, v0
	global_load_ushort v13, v13, s[22:23] offset:1536
.LBB334_27:
	s_or_b64 exec, exec, s[24:25]
	v_or_b32_e32 v14, 0x340, v0
	v_cmp_gt_u32_e32 vcc, s28, v14
                                        ; implicit-def: $vgpr14
	s_and_saveexec_b64 s[24:25], vcc
	s_cbranch_execz .LBB334_29
; %bb.28:
	v_lshlrev_b32_e32 v14, 1, v0
	global_load_ushort v14, v14, s[22:23] offset:1664
.LBB334_29:
	s_or_b64 exec, exec, s[24:25]
	v_or_b32_e32 v15, 0x380, v0
	v_cmp_gt_u32_e32 vcc, s28, v15
                                        ; implicit-def: $vgpr15
	s_and_saveexec_b64 s[24:25], vcc
	s_cbranch_execz .LBB334_31
; %bb.30:
	v_lshlrev_b32_e32 v15, 1, v0
	global_load_ushort v15, v15, s[22:23] offset:1792
.LBB334_31:
	s_or_b64 exec, exec, s[24:25]
	v_or_b32_e32 v16, 0x3c0, v0
	v_cmp_gt_u32_e32 vcc, s28, v16
                                        ; implicit-def: $vgpr16
	s_and_saveexec_b64 s[24:25], vcc
	s_cbranch_execz .LBB334_33
; %bb.32:
	v_lshlrev_b32_e32 v16, 1, v0
	global_load_ushort v16, v16, s[22:23] offset:1920
.LBB334_33:
	s_or_b64 exec, exec, s[24:25]
	v_or_b32_e32 v17, 0x400, v0
	v_cmp_gt_u32_e32 vcc, s28, v17
                                        ; implicit-def: $vgpr17
	s_and_saveexec_b64 s[24:25], vcc
	s_cbranch_execz .LBB334_35
; %bb.34:
	v_lshlrev_b32_e32 v17, 1, v0
	global_load_ushort v17, v17, s[22:23] offset:2048
.LBB334_35:
	s_or_b64 exec, exec, s[24:25]
	v_lshlrev_b32_e32 v18, 1, v0
	s_mov_b64 s[22:23], 0
	s_waitcnt vmcnt(0)
	ds_write_b16 v18, v1
	ds_write_b16 v18, v2 offset:128
	ds_write_b16 v18, v3 offset:256
	;; [unrolled: 1-line block ×16, first 2 shown]
	s_waitcnt lgkmcnt(0)
	; wave barrier
.LBB334_36:
	s_and_b64 vcc, exec, s[22:23]
	v_lshlrev_b32_e32 v1, 1, v0
	s_cbranch_vccz .LBB334_38
; %bb.37:
	s_mov_b32 s9, 0
	s_lshl_b64 s[22:23], s[8:9], 1
	s_add_u32 s22, s26, s22
	s_addc_u32 s23, s27, s23
	global_load_ushort v2, v1, s[22:23]
	global_load_ushort v3, v1, s[22:23] offset:128
	global_load_ushort v4, v1, s[22:23] offset:256
	global_load_ushort v5, v1, s[22:23] offset:384
	global_load_ushort v6, v1, s[22:23] offset:512
	global_load_ushort v7, v1, s[22:23] offset:640
	global_load_ushort v8, v1, s[22:23] offset:768
	global_load_ushort v9, v1, s[22:23] offset:896
	global_load_ushort v10, v1, s[22:23] offset:1024
	global_load_ushort v11, v1, s[22:23] offset:1152
	global_load_ushort v12, v1, s[22:23] offset:1280
	global_load_ushort v13, v1, s[22:23] offset:1408
	global_load_ushort v14, v1, s[22:23] offset:1536
	global_load_ushort v15, v1, s[22:23] offset:1664
	global_load_ushort v16, v1, s[22:23] offset:1792
	global_load_ushort v17, v1, s[22:23] offset:1920
	global_load_ushort v18, v1, s[22:23] offset:2048
	s_waitcnt vmcnt(16)
	ds_write_b16 v1, v2
	s_waitcnt vmcnt(15)
	ds_write_b16 v1, v3 offset:128
	s_waitcnt vmcnt(14)
	ds_write_b16 v1, v4 offset:256
	;; [unrolled: 2-line block ×16, first 2 shown]
	s_waitcnt lgkmcnt(0)
	; wave barrier
.LBB334_38:
	v_mul_u32_u24_e32 v2, 17, v0
	v_lshlrev_b32_e32 v5, 1, v2
	s_waitcnt lgkmcnt(0)
	ds_read_b96 v[2:4], v5 offset:20
	ds_read_b96 v[6:8], v5
	ds_read_b64 v[10:11], v5 offset:12
	ds_read_u16 v5, v5 offset:32
	s_cmp_eq_u64 s[4:5], 0
	s_waitcnt lgkmcnt(3)
	v_alignbit_b32 v9, v4, v3, 16
	v_alignbit_b32 v3, v3, v2, 16
	v_lshrrev_b32_e32 v4, 16, v4
	s_waitcnt lgkmcnt(2)
	v_alignbit_b32 v12, v8, v7, 16
	v_alignbit_b32 v7, v7, v6, 16
	v_lshrrev_b32_e32 v8, 16, v8
	s_waitcnt lgkmcnt(0)
	; wave barrier
	s_waitcnt lgkmcnt(0)
	s_cbranch_scc1 .LBB334_43
; %bb.39:
	s_lshl_b64 s[18:19], s[18:19], 1
	s_add_u32 s9, s16, s18
	s_addc_u32 s16, s17, s19
	s_lshl_b64 s[6:7], s[6:7], 1
	s_add_u32 s6, s9, s6
	s_addc_u32 s7, s16, s7
	v_mov_b32_e32 v13, 0
	global_load_ushort v23, v13, s[6:7] offset:-2
	s_cmp_eq_u64 s[4:5], s[20:21]
	s_cbranch_scc1 .LBB334_44
; %bb.40:
	v_cmp_ne_u32_e32 vcc, 0, v0
	s_waitcnt vmcnt(0)
	v_mov_b32_e32 v13, v23
	ds_write_b16 v1, v5
	s_waitcnt lgkmcnt(0)
	; wave barrier
	s_waitcnt lgkmcnt(0)
	s_and_saveexec_b64 s[6:7], vcc
	s_cbranch_execz .LBB334_42
; %bb.41:
	v_add_u32_e32 v13, -2, v1
	ds_read_u16 v13, v13
.LBB334_42:
	s_or_b64 exec, exec, s[6:7]
	s_mov_b32 s5, 0x5040100
	v_perm_b32 v16, v7, v6, s5
	v_perm_b32 v20, v10, v8, s5
	;; [unrolled: 1-line block ×3, first 2 shown]
	s_mov_b32 s5, 0xffff
	s_waitcnt lgkmcnt(0)
	v_sub_u16_e32 v14, v6, v13
	v_alignbit_b32 v19, v12, v7, 16
	v_lshrrev_b32_e32 v17, 16, v12
	v_alignbit_b32 v22, v11, v10, 16
	v_lshrrev_b32_e32 v15, 16, v11
	v_alignbit_b32 v21, v9, v3, 16
	v_bfi_b32 v13, s5, v4, v9
	s_branch .LBB334_48
.LBB334_43:
                                        ; implicit-def: $vgpr21
                                        ; implicit-def: $vgpr18
                                        ; implicit-def: $vgpr22
                                        ; implicit-def: $vgpr20
                                        ; implicit-def: $vgpr19
                                        ; implicit-def: $vgpr16
                                        ; implicit-def: $vgpr13
                                        ; implicit-def: $vgpr14
                                        ; implicit-def: $vgpr17
                                        ; implicit-def: $vgpr15
	s_branch .LBB334_49
.LBB334_44:
                                        ; implicit-def: $vgpr21
                                        ; implicit-def: $vgpr18
                                        ; implicit-def: $vgpr22
                                        ; implicit-def: $vgpr20
                                        ; implicit-def: $vgpr19
                                        ; implicit-def: $vgpr16
                                        ; implicit-def: $vgpr13
                                        ; implicit-def: $vgpr14
                                        ; implicit-def: $vgpr17
                                        ; implicit-def: $vgpr15
	s_cbranch_execz .LBB334_48
; %bb.45:
	v_mul_u32_u24_e32 v14, 17, v0
	v_cmp_ne_u32_e32 vcc, 0, v0
	ds_write_b16 v1, v5
	s_waitcnt lgkmcnt(0)
	; wave barrier
	s_waitcnt lgkmcnt(0)
	s_and_saveexec_b64 s[6:7], vcc
	s_cbranch_execz .LBB334_47
; %bb.46:
	v_add_u32_e32 v13, -2, v1
	s_waitcnt vmcnt(0)
	ds_read_u16 v23, v13
.LBB334_47:
	s_or_b64 exec, exec, s[6:7]
	s_mulk_i32 s4, 0xfbc0
	s_add_i32 s4, s4, s14
	v_add_u32_e32 v13, 16, v14
	v_add_u32_e32 v15, 15, v14
	v_cmp_gt_u32_e32 vcc, s4, v13
	v_cndmask_b32_e32 v13, 0, v4, vcc
	v_lshrrev_b32_e32 v16, 16, v9
	v_cmp_gt_u32_e32 vcc, s4, v15
	v_cndmask_b32_e32 v15, 0, v16, vcc
	s_mov_b32 s5, 0x5040100
	v_perm_b32 v13, v15, v13, s5
	v_add_u32_e32 v15, 13, v14
	v_add_u32_e32 v16, 14, v14
	v_lshrrev_b32_e32 v19, 16, v3
	v_cmp_gt_u32_e32 vcc, s4, v15
	v_add_u32_e32 v17, 11, v14
	v_cndmask_b32_e32 v21, 0, v19, vcc
	v_cmp_gt_u32_e32 vcc, s4, v16
	v_add_u32_e32 v18, 12, v14
	v_cndmask_b32_e32 v24, 0, v9, vcc
	v_cmp_gt_u32_e32 vcc, s4, v17
	v_cndmask_b32_e32 v25, 0, v2, vcc
	v_cmp_gt_u32_e32 vcc, s4, v18
	v_add_u32_e32 v15, 10, v14
	v_cndmask_b32_e32 v18, 0, v3, vcc
	v_lshrrev_b32_e32 v16, 16, v11
	v_cmp_gt_u32_e32 vcc, s4, v15
	v_cndmask_b32_e32 v15, 0, v16, vcc
	v_add_u32_e32 v16, 8, v14
	v_add_u32_e32 v17, 9, v14
	v_lshrrev_b32_e32 v22, 16, v10
	v_cmp_gt_u32_e32 vcc, s4, v16
	v_add_u32_e32 v19, 6, v14
	v_cndmask_b32_e32 v22, 0, v22, vcc
	v_cmp_gt_u32_e32 vcc, s4, v17
	v_add_u32_e32 v20, 7, v14
	v_cndmask_b32_e32 v26, 0, v11, vcc
	v_cmp_gt_u32_e32 vcc, s4, v19
	v_cndmask_b32_e32 v27, 0, v8, vcc
	v_cmp_gt_u32_e32 vcc, s4, v20
	v_add_u32_e32 v16, 5, v14
	v_cndmask_b32_e32 v20, 0, v10, vcc
	v_lshrrev_b32_e32 v17, 16, v12
	v_cmp_gt_u32_e32 vcc, s4, v16
	v_add_u32_e32 v16, 3, v14
	v_cndmask_b32_e32 v17, 0, v17, vcc
	v_add_u32_e32 v19, 4, v14
	v_lshrrev_b32_e32 v30, 16, v7
	v_cmp_gt_u32_e32 vcc, s4, v16
	v_add_u32_e32 v28, 1, v14
	v_cndmask_b32_e32 v30, 0, v30, vcc
	v_cmp_gt_u32_e32 vcc, s4, v19
	v_add_u32_e32 v29, 2, v14
	v_cndmask_b32_e32 v19, 0, v12, vcc
	v_cmp_gt_u32_e32 vcc, s4, v28
	v_cndmask_b32_e32 v16, 0, v6, vcc
	v_cmp_gt_u32_e32 vcc, s4, v29
	;; [unrolled: 2-line block ×3, first 2 shown]
	s_waitcnt vmcnt(0) lgkmcnt(0)
	v_cndmask_b32_e32 v14, 0, v23, vcc
	v_sub_u16_e32 v14, v6, v14
	v_perm_b32 v16, v28, v16, s5
	v_perm_b32 v19, v19, v30, s5
	;; [unrolled: 1-line block ×6, first 2 shown]
.LBB334_48:
	s_cbranch_execnz .LBB334_57
.LBB334_49:
	s_cmp_eq_u64 s[2:3], 1
	v_cmp_ne_u32_e32 vcc, 0, v0
	s_cbranch_scc1 .LBB334_53
; %bb.50:
	s_mov_b32 s5, 0x5040100
	s_mov_b32 s4, 0xffff
	v_mov_b32_e32 v14, v6
	ds_write_b16 v1, v5
	s_waitcnt lgkmcnt(0)
	; wave barrier
	s_waitcnt lgkmcnt(0)
	s_and_saveexec_b64 s[2:3], vcc
	s_cbranch_execz .LBB334_52
; %bb.51:
	v_add_u32_e32 v13, -2, v1
	ds_read_u16 v13, v13
	s_waitcnt lgkmcnt(0)
	v_sub_u16_e32 v14, v6, v13
.LBB334_52:
	s_or_b64 exec, exec, s[2:3]
	v_perm_b32 v16, v7, v6, s5
	v_alignbit_b32 v19, v12, v7, 16
	v_lshrrev_b32_e32 v17, 16, v12
	v_perm_b32 v20, v10, v8, s5
	v_alignbit_b32 v22, v11, v10, 16
	v_lshrrev_b32_e32 v15, 16, v11
	v_perm_b32 v18, v3, v2, s5
	v_alignbit_b32 v21, v9, v3, 16
	v_bfi_b32 v13, s4, v4, v9
	s_cbranch_execz .LBB334_54
	s_branch .LBB334_57
.LBB334_53:
                                        ; implicit-def: $vgpr21
                                        ; implicit-def: $vgpr18
                                        ; implicit-def: $vgpr22
                                        ; implicit-def: $vgpr20
                                        ; implicit-def: $vgpr19
                                        ; implicit-def: $vgpr16
                                        ; implicit-def: $vgpr13
                                        ; implicit-def: $vgpr14
                                        ; implicit-def: $vgpr17
                                        ; implicit-def: $vgpr15
.LBB334_54:
	v_mad_u32_u24 v13, v0, 17, 16
	v_mad_u32_u24 v14, v0, 17, 15
	v_cmp_gt_u32_e32 vcc, s14, v13
	v_cndmask_b32_e32 v13, 0, v4, vcc
	v_lshrrev_b32_e32 v15, 16, v9
	v_cmp_gt_u32_e32 vcc, s14, v14
	v_cndmask_b32_e32 v14, 0, v15, vcc
	v_mad_u32_u24 v15, v0, 17, 14
	v_mad_u32_u24 v16, v0, 17, 13
	v_cmp_gt_u32_e32 vcc, s14, v15
	v_mad_u32_u24 v18, v0, 17, 11
	v_lshrrev_b32_e32 v20, 16, v3
	v_cndmask_b32_e32 v21, 0, v9, vcc
	v_cmp_gt_u32_e32 vcc, s14, v16
	v_mad_u32_u24 v19, v0, 17, 12
	s_waitcnt vmcnt(0)
	v_cndmask_b32_e32 v23, 0, v20, vcc
	v_cmp_gt_u32_e32 vcc, s14, v18
	v_mad_u32_u24 v16, v0, 17, 9
	v_cndmask_b32_e32 v18, 0, v2, vcc
	v_cmp_gt_u32_e32 vcc, s14, v19
	v_mad_u32_u24 v19, v0, 17, 8
	v_cmp_gt_u32_e64 s[2:3], s14, v16
	v_cndmask_b32_e64 v22, 0, v11, s[2:3]
	v_cmp_gt_u32_e64 s[2:3], s14, v19
	v_mad_u32_u24 v19, v0, 17, 4
	v_mad_u32_u24 v27, v0, 17, 3
	v_cmp_gt_u32_e64 s[4:5], s14, v19
	v_mad_u32_u24 v28, v0, 17, 1
	v_lshrrev_b32_e32 v30, 16, v7
	v_cndmask_b32_e64 v19, 0, v12, s[4:5]
	v_cmp_gt_u32_e64 s[4:5], s14, v27
	v_mad_u32_u24 v20, v0, 17, 6
	v_lshrrev_b32_e32 v25, 16, v10
	v_mad_u32_u24 v29, v0, 17, 2
	v_cndmask_b32_e64 v27, 0, v30, s[4:5]
	v_cmp_gt_u32_e64 s[4:5], s14, v28
	v_mul_u32_u24_e32 v17, 17, v0
	v_mad_u32_u24 v26, v0, 17, 7
	v_cndmask_b32_e64 v25, 0, v25, s[2:3]
	v_cmp_gt_u32_e64 s[2:3], s14, v20
	v_cndmask_b32_e64 v28, 0, v6, s[4:5]
	v_cmp_gt_u32_e64 s[4:5], s14, v29
	v_mad_u32_u24 v15, v0, 17, 10
	v_cndmask_b32_e64 v20, 0, v8, s[2:3]
	v_cmp_gt_u32_e64 s[2:3], s14, v26
	v_mad_u32_u24 v16, v0, 17, 5
	v_cndmask_b32_e64 v29, 0, v7, s[4:5]
	v_cmp_ne_u32_e64 s[4:5], 0, v0
	v_cmp_gt_u32_e64 s[6:7], s14, v17
	s_mov_b32 s9, 0x5040100
	v_cndmask_b32_e32 v24, 0, v3, vcc
	v_cmp_gt_u32_e32 vcc, s14, v15
	v_lshrrev_b32_e32 v15, 16, v11
	v_cndmask_b32_e64 v26, 0, v10, s[2:3]
	v_cmp_gt_u32_e64 s[2:3], s14, v16
	v_lshrrev_b32_e32 v16, 16, v12
	s_and_b64 s[6:7], s[4:5], s[6:7]
	ds_write_b16 v1, v5
	s_waitcnt lgkmcnt(0)
	; wave barrier
	s_waitcnt lgkmcnt(0)
	s_and_saveexec_b64 s[4:5], s[6:7]
	s_cbranch_execz .LBB334_56
; %bb.55:
	v_add_u32_e32 v17, -2, v1
	ds_read_u16 v17, v17
	s_waitcnt lgkmcnt(0)
	v_sub_u16_e32 v6, v6, v17
.LBB334_56:
	s_or_b64 exec, exec, s[4:5]
	v_perm_b32 v13, v14, v13, s9
	v_cndmask_b32_e32 v15, 0, v15, vcc
	v_cndmask_b32_e64 v17, 0, v16, s[2:3]
	v_perm_b32 v16, v29, v28, s9
	v_perm_b32 v19, v19, v27, s9
	;; [unrolled: 1-line block ×6, first 2 shown]
	v_mov_b32_e32 v14, v6
.LBB334_57:
	s_add_u32 s4, s12, s10
	v_pk_sub_i16 v6, v12, v19
	v_pk_sub_i16 v16, v7, v16
	v_sub_u16_e32 v7, v8, v17
	v_sub_u16_e32 v15, v2, v15
	v_pk_sub_i16 v2, v9, v21
	v_pk_sub_i16 v17, v3, v18
	v_sub_u16_sdwa v3, v4, v13 dst_sel:DWORD dst_unused:UNUSED_PAD src0_sel:DWORD src1_sel:WORD_1
	s_addc_u32 s5, s13, s11
	v_pk_sub_i16 v11, v11, v22
	v_pk_sub_i16 v10, v10, v20
	v_sub_u16_e32 v5, v5, v13
	s_and_b64 vcc, exec, s[0:1]
	v_mul_u32_u24_e32 v9, 34, v0
	v_alignbit_b32 v8, v7, v6, 16
	v_alignbit_b32 v7, v6, v16, 16
	;; [unrolled: 1-line block ×4, first 2 shown]
	v_lshlrev_b32_e32 v18, 5, v0
	s_waitcnt lgkmcnt(0)
	; wave barrier
	s_cbranch_vccz .LBB334_91
; %bb.58:
	s_mov_b32 s2, 0x5040100
	v_perm_b32 v6, v16, v14, s2
	v_perm_b32 v2, v17, v15, s2
	ds_write_b96 v9, v[6:8]
	ds_write_b64 v9, v[10:11] offset:12
	ds_write_b96 v9, v[2:4] offset:20
	ds_write_b16 v9, v5 offset:32
	v_sub_u32_e32 v2, v9, v18
	s_waitcnt lgkmcnt(0)
	; wave barrier
	s_waitcnt lgkmcnt(0)
	ds_read_u16 v32, v2 offset:128
	ds_read_u16 v31, v2 offset:256
	;; [unrolled: 1-line block ×9, first 2 shown]
	s_waitcnt vmcnt(0)
	ds_read_u16 v23, v2 offset:1280
	ds_read_u16 v22, v2 offset:1408
	;; [unrolled: 1-line block ×7, first 2 shown]
	s_mov_b32 s9, 0
	s_add_i32 s15, s15, s14
	s_lshl_b64 s[0:1], s[8:9], 1
	s_add_u32 s0, s4, s0
	s_addc_u32 s1, s5, s1
	v_mov_b32_e32 v13, s1
	v_add_co_u32_e32 v12, vcc, s0, v1
	v_addc_co_u32_e32 v13, vcc, 0, v13, vcc
	v_cmp_gt_u32_e32 vcc, s15, v0
	s_and_saveexec_b64 s[0:1], vcc
	s_cbranch_execz .LBB334_60
; %bb.59:
	v_sub_u32_e32 v33, 0, v18
	v_add_u32_e32 v33, v9, v33
	ds_read_u16 v33, v33
	s_waitcnt lgkmcnt(0)
	global_store_short v[12:13], v33, off
.LBB334_60:
	s_or_b64 exec, exec, s[0:1]
	v_or_b32_e32 v33, 64, v0
	v_cmp_gt_u32_e32 vcc, s15, v33
	s_and_saveexec_b64 s[0:1], vcc
	s_cbranch_execz .LBB334_62
; %bb.61:
	s_waitcnt lgkmcnt(14)
	global_store_short v[12:13], v32, off offset:128
.LBB334_62:
	s_or_b64 exec, exec, s[0:1]
	s_waitcnt lgkmcnt(14)
	v_or_b32_e32 v32, 0x80, v0
	v_cmp_gt_u32_e32 vcc, s15, v32
	s_and_saveexec_b64 s[0:1], vcc
	s_cbranch_execz .LBB334_64
; %bb.63:
	global_store_short v[12:13], v31, off offset:256
.LBB334_64:
	s_or_b64 exec, exec, s[0:1]
	v_or_b32_e32 v31, 0xc0, v0
	v_cmp_gt_u32_e32 vcc, s15, v31
	s_and_saveexec_b64 s[0:1], vcc
	s_cbranch_execz .LBB334_66
; %bb.65:
	s_waitcnt lgkmcnt(13)
	global_store_short v[12:13], v30, off offset:384
.LBB334_66:
	s_or_b64 exec, exec, s[0:1]
	s_waitcnt lgkmcnt(13)
	v_or_b32_e32 v30, 0x100, v0
	v_cmp_gt_u32_e32 vcc, s15, v30
	s_and_saveexec_b64 s[0:1], vcc
	s_cbranch_execz .LBB334_68
; %bb.67:
	s_waitcnt lgkmcnt(12)
	global_store_short v[12:13], v29, off offset:512
.LBB334_68:
	s_or_b64 exec, exec, s[0:1]
	s_waitcnt lgkmcnt(12)
	v_or_b32_e32 v29, 0x140, v0
	v_cmp_gt_u32_e32 vcc, s15, v29
	s_and_saveexec_b64 s[0:1], vcc
	s_cbranch_execz .LBB334_70
; %bb.69:
	s_waitcnt lgkmcnt(11)
	global_store_short v[12:13], v28, off offset:640
.LBB334_70:
	s_or_b64 exec, exec, s[0:1]
	s_waitcnt lgkmcnt(11)
	v_or_b32_e32 v28, 0x180, v0
	v_cmp_gt_u32_e32 vcc, s15, v28
	s_and_saveexec_b64 s[0:1], vcc
	s_cbranch_execz .LBB334_72
; %bb.71:
	s_waitcnt lgkmcnt(10)
	global_store_short v[12:13], v27, off offset:768
.LBB334_72:
	s_or_b64 exec, exec, s[0:1]
	s_waitcnt lgkmcnt(10)
	v_or_b32_e32 v27, 0x1c0, v0
	v_cmp_gt_u32_e32 vcc, s15, v27
	s_and_saveexec_b64 s[0:1], vcc
	s_cbranch_execz .LBB334_74
; %bb.73:
	s_waitcnt lgkmcnt(9)
	global_store_short v[12:13], v26, off offset:896
.LBB334_74:
	s_or_b64 exec, exec, s[0:1]
	s_waitcnt lgkmcnt(9)
	v_or_b32_e32 v26, 0x200, v0
	v_cmp_gt_u32_e32 vcc, s15, v26
	s_and_saveexec_b64 s[0:1], vcc
	s_cbranch_execz .LBB334_76
; %bb.75:
	s_waitcnt lgkmcnt(8)
	global_store_short v[12:13], v25, off offset:1024
.LBB334_76:
	s_or_b64 exec, exec, s[0:1]
	s_waitcnt lgkmcnt(8)
	v_or_b32_e32 v25, 0x240, v0
	v_cmp_gt_u32_e32 vcc, s15, v25
	s_and_saveexec_b64 s[0:1], vcc
	s_cbranch_execz .LBB334_78
; %bb.77:
	s_waitcnt lgkmcnt(7)
	global_store_short v[12:13], v24, off offset:1152
.LBB334_78:
	s_or_b64 exec, exec, s[0:1]
	s_waitcnt lgkmcnt(7)
	v_or_b32_e32 v24, 0x280, v0
	v_cmp_gt_u32_e32 vcc, s15, v24
	s_and_saveexec_b64 s[0:1], vcc
	s_cbranch_execz .LBB334_80
; %bb.79:
	s_waitcnt lgkmcnt(6)
	global_store_short v[12:13], v23, off offset:1280
.LBB334_80:
	s_or_b64 exec, exec, s[0:1]
	s_waitcnt lgkmcnt(6)
	v_or_b32_e32 v23, 0x2c0, v0
	v_cmp_gt_u32_e32 vcc, s15, v23
	s_and_saveexec_b64 s[0:1], vcc
	s_cbranch_execz .LBB334_82
; %bb.81:
	s_waitcnt lgkmcnt(5)
	global_store_short v[12:13], v22, off offset:1408
.LBB334_82:
	s_or_b64 exec, exec, s[0:1]
	s_waitcnt lgkmcnt(5)
	v_or_b32_e32 v22, 0x300, v0
	v_cmp_gt_u32_e32 vcc, s15, v22
	s_and_saveexec_b64 s[0:1], vcc
	s_cbranch_execz .LBB334_84
; %bb.83:
	s_waitcnt lgkmcnt(4)
	global_store_short v[12:13], v21, off offset:1536
.LBB334_84:
	s_or_b64 exec, exec, s[0:1]
	s_waitcnt lgkmcnt(4)
	v_or_b32_e32 v21, 0x340, v0
	v_cmp_gt_u32_e32 vcc, s15, v21
	s_and_saveexec_b64 s[0:1], vcc
	s_cbranch_execz .LBB334_86
; %bb.85:
	s_waitcnt lgkmcnt(3)
	global_store_short v[12:13], v20, off offset:1664
.LBB334_86:
	s_or_b64 exec, exec, s[0:1]
	s_waitcnt lgkmcnt(3)
	v_or_b32_e32 v20, 0x380, v0
	v_cmp_gt_u32_e32 vcc, s15, v20
	s_and_saveexec_b64 s[0:1], vcc
	s_cbranch_execz .LBB334_88
; %bb.87:
	s_waitcnt lgkmcnt(2)
	global_store_short v[12:13], v19, off offset:1792
.LBB334_88:
	s_or_b64 exec, exec, s[0:1]
	s_waitcnt lgkmcnt(2)
	v_or_b32_e32 v19, 0x3c0, v0
	v_cmp_gt_u32_e32 vcc, s15, v19
	s_and_saveexec_b64 s[0:1], vcc
	s_cbranch_execz .LBB334_90
; %bb.89:
	s_waitcnt lgkmcnt(1)
	global_store_short v[12:13], v6, off offset:1920
.LBB334_90:
	s_or_b64 exec, exec, s[0:1]
	v_or_b32_e32 v0, 0x400, v0
	v_cmp_gt_u32_e64 s[0:1], s15, v0
	s_branch .LBB334_93
.LBB334_91:
	s_mov_b64 s[0:1], 0
                                        ; implicit-def: $vgpr2
                                        ; implicit-def: $vgpr12_vgpr13
	s_cbranch_execz .LBB334_93
; %bb.92:
	s_mov_b32 s9, 0
	s_lshl_b64 s[2:3], s[8:9], 1
	s_add_u32 s2, s4, s2
	s_mov_b32 s4, 0x5040100
	s_waitcnt lgkmcnt(1)
	v_perm_b32 v6, v16, v14, s4
	s_waitcnt lgkmcnt(0)
	v_perm_b32 v2, v17, v15, s4
	v_sub_u32_e32 v0, v9, v18
	ds_write_b96 v9, v[6:8]
	ds_write_b64 v9, v[10:11] offset:12
	ds_write_b96 v9, v[2:4] offset:20
	ds_write_b16 v9, v5 offset:32
	s_waitcnt lgkmcnt(0)
	; wave barrier
	s_waitcnt lgkmcnt(0)
	ds_read_u16 v3, v0
	ds_read_u16 v4, v0 offset:128
	ds_read_u16 v5, v0 offset:256
	;; [unrolled: 1-line block ×16, first 2 shown]
	s_addc_u32 s3, s5, s3
	v_mov_b32_e32 v0, s3
	v_add_co_u32_e32 v12, vcc, s2, v1
	v_addc_co_u32_e32 v13, vcc, 0, v0, vcc
	s_or_b64 s[0:1], s[0:1], exec
	s_waitcnt lgkmcnt(14)
	global_store_short v1, v3, s[2:3]
	global_store_short v1, v4, s[2:3] offset:128
	global_store_short v1, v5, s[2:3] offset:256
	s_waitcnt lgkmcnt(13)
	global_store_short v1, v6, s[2:3] offset:384
	s_waitcnt lgkmcnt(12)
	;; [unrolled: 2-line block ×13, first 2 shown]
	global_store_short v1, v20, s[2:3] offset:1920
.LBB334_93:
	s_and_saveexec_b64 s[2:3], s[0:1]
	s_cbranch_execnz .LBB334_95
; %bb.94:
	s_endpgm
.LBB334_95:
	s_waitcnt lgkmcnt(0)
	global_store_short v[12:13], v2, off offset:2048
	s_endpgm
	.section	.rodata,"a",@progbits
	.p2align	6, 0x0
	.amdhsa_kernel _ZN7rocprim17ROCPRIM_400000_NS6detail17trampoline_kernelINS0_14default_configENS1_35adjacent_difference_config_selectorILb1EtEEZNS1_24adjacent_difference_implIS3_Lb1ELb0EPtS7_N6thrust23THRUST_200600_302600_NS5minusItEEEE10hipError_tPvRmT2_T3_mT4_P12ihipStream_tbEUlT_E_NS1_11comp_targetILNS1_3genE4ELNS1_11target_archE910ELNS1_3gpuE8ELNS1_3repE0EEENS1_30default_config_static_selectorELNS0_4arch9wavefront6targetE1EEEvT1_
		.amdhsa_group_segment_fixed_size 2176
		.amdhsa_private_segment_fixed_size 0
		.amdhsa_kernarg_size 56
		.amdhsa_user_sgpr_count 6
		.amdhsa_user_sgpr_private_segment_buffer 1
		.amdhsa_user_sgpr_dispatch_ptr 0
		.amdhsa_user_sgpr_queue_ptr 0
		.amdhsa_user_sgpr_kernarg_segment_ptr 1
		.amdhsa_user_sgpr_dispatch_id 0
		.amdhsa_user_sgpr_flat_scratch_init 0
		.amdhsa_user_sgpr_kernarg_preload_length 0
		.amdhsa_user_sgpr_kernarg_preload_offset 0
		.amdhsa_user_sgpr_private_segment_size 0
		.amdhsa_uses_dynamic_stack 0
		.amdhsa_system_sgpr_private_segment_wavefront_offset 0
		.amdhsa_system_sgpr_workgroup_id_x 1
		.amdhsa_system_sgpr_workgroup_id_y 0
		.amdhsa_system_sgpr_workgroup_id_z 0
		.amdhsa_system_sgpr_workgroup_info 0
		.amdhsa_system_vgpr_workitem_id 0
		.amdhsa_next_free_vgpr 34
		.amdhsa_next_free_sgpr 29
		.amdhsa_accum_offset 36
		.amdhsa_reserve_vcc 1
		.amdhsa_reserve_flat_scratch 0
		.amdhsa_float_round_mode_32 0
		.amdhsa_float_round_mode_16_64 0
		.amdhsa_float_denorm_mode_32 3
		.amdhsa_float_denorm_mode_16_64 3
		.amdhsa_dx10_clamp 1
		.amdhsa_ieee_mode 1
		.amdhsa_fp16_overflow 0
		.amdhsa_tg_split 0
		.amdhsa_exception_fp_ieee_invalid_op 0
		.amdhsa_exception_fp_denorm_src 0
		.amdhsa_exception_fp_ieee_div_zero 0
		.amdhsa_exception_fp_ieee_overflow 0
		.amdhsa_exception_fp_ieee_underflow 0
		.amdhsa_exception_fp_ieee_inexact 0
		.amdhsa_exception_int_div_zero 0
	.end_amdhsa_kernel
	.section	.text._ZN7rocprim17ROCPRIM_400000_NS6detail17trampoline_kernelINS0_14default_configENS1_35adjacent_difference_config_selectorILb1EtEEZNS1_24adjacent_difference_implIS3_Lb1ELb0EPtS7_N6thrust23THRUST_200600_302600_NS5minusItEEEE10hipError_tPvRmT2_T3_mT4_P12ihipStream_tbEUlT_E_NS1_11comp_targetILNS1_3genE4ELNS1_11target_archE910ELNS1_3gpuE8ELNS1_3repE0EEENS1_30default_config_static_selectorELNS0_4arch9wavefront6targetE1EEEvT1_,"axG",@progbits,_ZN7rocprim17ROCPRIM_400000_NS6detail17trampoline_kernelINS0_14default_configENS1_35adjacent_difference_config_selectorILb1EtEEZNS1_24adjacent_difference_implIS3_Lb1ELb0EPtS7_N6thrust23THRUST_200600_302600_NS5minusItEEEE10hipError_tPvRmT2_T3_mT4_P12ihipStream_tbEUlT_E_NS1_11comp_targetILNS1_3genE4ELNS1_11target_archE910ELNS1_3gpuE8ELNS1_3repE0EEENS1_30default_config_static_selectorELNS0_4arch9wavefront6targetE1EEEvT1_,comdat
.Lfunc_end334:
	.size	_ZN7rocprim17ROCPRIM_400000_NS6detail17trampoline_kernelINS0_14default_configENS1_35adjacent_difference_config_selectorILb1EtEEZNS1_24adjacent_difference_implIS3_Lb1ELb0EPtS7_N6thrust23THRUST_200600_302600_NS5minusItEEEE10hipError_tPvRmT2_T3_mT4_P12ihipStream_tbEUlT_E_NS1_11comp_targetILNS1_3genE4ELNS1_11target_archE910ELNS1_3gpuE8ELNS1_3repE0EEENS1_30default_config_static_selectorELNS0_4arch9wavefront6targetE1EEEvT1_, .Lfunc_end334-_ZN7rocprim17ROCPRIM_400000_NS6detail17trampoline_kernelINS0_14default_configENS1_35adjacent_difference_config_selectorILb1EtEEZNS1_24adjacent_difference_implIS3_Lb1ELb0EPtS7_N6thrust23THRUST_200600_302600_NS5minusItEEEE10hipError_tPvRmT2_T3_mT4_P12ihipStream_tbEUlT_E_NS1_11comp_targetILNS1_3genE4ELNS1_11target_archE910ELNS1_3gpuE8ELNS1_3repE0EEENS1_30default_config_static_selectorELNS0_4arch9wavefront6targetE1EEEvT1_
                                        ; -- End function
	.section	.AMDGPU.csdata,"",@progbits
; Kernel info:
; codeLenInByte = 4432
; NumSgprs: 33
; NumVgprs: 34
; NumAgprs: 0
; TotalNumVgprs: 34
; ScratchSize: 0
; MemoryBound: 0
; FloatMode: 240
; IeeeMode: 1
; LDSByteSize: 2176 bytes/workgroup (compile time only)
; SGPRBlocks: 4
; VGPRBlocks: 4
; NumSGPRsForWavesPerEU: 33
; NumVGPRsForWavesPerEU: 34
; AccumOffset: 36
; Occupancy: 8
; WaveLimiterHint : 1
; COMPUTE_PGM_RSRC2:SCRATCH_EN: 0
; COMPUTE_PGM_RSRC2:USER_SGPR: 6
; COMPUTE_PGM_RSRC2:TRAP_HANDLER: 0
; COMPUTE_PGM_RSRC2:TGID_X_EN: 1
; COMPUTE_PGM_RSRC2:TGID_Y_EN: 0
; COMPUTE_PGM_RSRC2:TGID_Z_EN: 0
; COMPUTE_PGM_RSRC2:TIDIG_COMP_CNT: 0
; COMPUTE_PGM_RSRC3_GFX90A:ACCUM_OFFSET: 8
; COMPUTE_PGM_RSRC3_GFX90A:TG_SPLIT: 0
	.section	.text._ZN7rocprim17ROCPRIM_400000_NS6detail17trampoline_kernelINS0_14default_configENS1_35adjacent_difference_config_selectorILb1EtEEZNS1_24adjacent_difference_implIS3_Lb1ELb0EPtS7_N6thrust23THRUST_200600_302600_NS5minusItEEEE10hipError_tPvRmT2_T3_mT4_P12ihipStream_tbEUlT_E_NS1_11comp_targetILNS1_3genE3ELNS1_11target_archE908ELNS1_3gpuE7ELNS1_3repE0EEENS1_30default_config_static_selectorELNS0_4arch9wavefront6targetE1EEEvT1_,"axG",@progbits,_ZN7rocprim17ROCPRIM_400000_NS6detail17trampoline_kernelINS0_14default_configENS1_35adjacent_difference_config_selectorILb1EtEEZNS1_24adjacent_difference_implIS3_Lb1ELb0EPtS7_N6thrust23THRUST_200600_302600_NS5minusItEEEE10hipError_tPvRmT2_T3_mT4_P12ihipStream_tbEUlT_E_NS1_11comp_targetILNS1_3genE3ELNS1_11target_archE908ELNS1_3gpuE7ELNS1_3repE0EEENS1_30default_config_static_selectorELNS0_4arch9wavefront6targetE1EEEvT1_,comdat
	.protected	_ZN7rocprim17ROCPRIM_400000_NS6detail17trampoline_kernelINS0_14default_configENS1_35adjacent_difference_config_selectorILb1EtEEZNS1_24adjacent_difference_implIS3_Lb1ELb0EPtS7_N6thrust23THRUST_200600_302600_NS5minusItEEEE10hipError_tPvRmT2_T3_mT4_P12ihipStream_tbEUlT_E_NS1_11comp_targetILNS1_3genE3ELNS1_11target_archE908ELNS1_3gpuE7ELNS1_3repE0EEENS1_30default_config_static_selectorELNS0_4arch9wavefront6targetE1EEEvT1_ ; -- Begin function _ZN7rocprim17ROCPRIM_400000_NS6detail17trampoline_kernelINS0_14default_configENS1_35adjacent_difference_config_selectorILb1EtEEZNS1_24adjacent_difference_implIS3_Lb1ELb0EPtS7_N6thrust23THRUST_200600_302600_NS5minusItEEEE10hipError_tPvRmT2_T3_mT4_P12ihipStream_tbEUlT_E_NS1_11comp_targetILNS1_3genE3ELNS1_11target_archE908ELNS1_3gpuE7ELNS1_3repE0EEENS1_30default_config_static_selectorELNS0_4arch9wavefront6targetE1EEEvT1_
	.globl	_ZN7rocprim17ROCPRIM_400000_NS6detail17trampoline_kernelINS0_14default_configENS1_35adjacent_difference_config_selectorILb1EtEEZNS1_24adjacent_difference_implIS3_Lb1ELb0EPtS7_N6thrust23THRUST_200600_302600_NS5minusItEEEE10hipError_tPvRmT2_T3_mT4_P12ihipStream_tbEUlT_E_NS1_11comp_targetILNS1_3genE3ELNS1_11target_archE908ELNS1_3gpuE7ELNS1_3repE0EEENS1_30default_config_static_selectorELNS0_4arch9wavefront6targetE1EEEvT1_
	.p2align	8
	.type	_ZN7rocprim17ROCPRIM_400000_NS6detail17trampoline_kernelINS0_14default_configENS1_35adjacent_difference_config_selectorILb1EtEEZNS1_24adjacent_difference_implIS3_Lb1ELb0EPtS7_N6thrust23THRUST_200600_302600_NS5minusItEEEE10hipError_tPvRmT2_T3_mT4_P12ihipStream_tbEUlT_E_NS1_11comp_targetILNS1_3genE3ELNS1_11target_archE908ELNS1_3gpuE7ELNS1_3repE0EEENS1_30default_config_static_selectorELNS0_4arch9wavefront6targetE1EEEvT1_,@function
_ZN7rocprim17ROCPRIM_400000_NS6detail17trampoline_kernelINS0_14default_configENS1_35adjacent_difference_config_selectorILb1EtEEZNS1_24adjacent_difference_implIS3_Lb1ELb0EPtS7_N6thrust23THRUST_200600_302600_NS5minusItEEEE10hipError_tPvRmT2_T3_mT4_P12ihipStream_tbEUlT_E_NS1_11comp_targetILNS1_3genE3ELNS1_11target_archE908ELNS1_3gpuE7ELNS1_3repE0EEENS1_30default_config_static_selectorELNS0_4arch9wavefront6targetE1EEEvT1_: ; @_ZN7rocprim17ROCPRIM_400000_NS6detail17trampoline_kernelINS0_14default_configENS1_35adjacent_difference_config_selectorILb1EtEEZNS1_24adjacent_difference_implIS3_Lb1ELb0EPtS7_N6thrust23THRUST_200600_302600_NS5minusItEEEE10hipError_tPvRmT2_T3_mT4_P12ihipStream_tbEUlT_E_NS1_11comp_targetILNS1_3genE3ELNS1_11target_archE908ELNS1_3gpuE7ELNS1_3repE0EEENS1_30default_config_static_selectorELNS0_4arch9wavefront6targetE1EEEvT1_
; %bb.0:
	.section	.rodata,"a",@progbits
	.p2align	6, 0x0
	.amdhsa_kernel _ZN7rocprim17ROCPRIM_400000_NS6detail17trampoline_kernelINS0_14default_configENS1_35adjacent_difference_config_selectorILb1EtEEZNS1_24adjacent_difference_implIS3_Lb1ELb0EPtS7_N6thrust23THRUST_200600_302600_NS5minusItEEEE10hipError_tPvRmT2_T3_mT4_P12ihipStream_tbEUlT_E_NS1_11comp_targetILNS1_3genE3ELNS1_11target_archE908ELNS1_3gpuE7ELNS1_3repE0EEENS1_30default_config_static_selectorELNS0_4arch9wavefront6targetE1EEEvT1_
		.amdhsa_group_segment_fixed_size 0
		.amdhsa_private_segment_fixed_size 0
		.amdhsa_kernarg_size 56
		.amdhsa_user_sgpr_count 6
		.amdhsa_user_sgpr_private_segment_buffer 1
		.amdhsa_user_sgpr_dispatch_ptr 0
		.amdhsa_user_sgpr_queue_ptr 0
		.amdhsa_user_sgpr_kernarg_segment_ptr 1
		.amdhsa_user_sgpr_dispatch_id 0
		.amdhsa_user_sgpr_flat_scratch_init 0
		.amdhsa_user_sgpr_kernarg_preload_length 0
		.amdhsa_user_sgpr_kernarg_preload_offset 0
		.amdhsa_user_sgpr_private_segment_size 0
		.amdhsa_uses_dynamic_stack 0
		.amdhsa_system_sgpr_private_segment_wavefront_offset 0
		.amdhsa_system_sgpr_workgroup_id_x 1
		.amdhsa_system_sgpr_workgroup_id_y 0
		.amdhsa_system_sgpr_workgroup_id_z 0
		.amdhsa_system_sgpr_workgroup_info 0
		.amdhsa_system_vgpr_workitem_id 0
		.amdhsa_next_free_vgpr 1
		.amdhsa_next_free_sgpr 0
		.amdhsa_accum_offset 4
		.amdhsa_reserve_vcc 0
		.amdhsa_reserve_flat_scratch 0
		.amdhsa_float_round_mode_32 0
		.amdhsa_float_round_mode_16_64 0
		.amdhsa_float_denorm_mode_32 3
		.amdhsa_float_denorm_mode_16_64 3
		.amdhsa_dx10_clamp 1
		.amdhsa_ieee_mode 1
		.amdhsa_fp16_overflow 0
		.amdhsa_tg_split 0
		.amdhsa_exception_fp_ieee_invalid_op 0
		.amdhsa_exception_fp_denorm_src 0
		.amdhsa_exception_fp_ieee_div_zero 0
		.amdhsa_exception_fp_ieee_overflow 0
		.amdhsa_exception_fp_ieee_underflow 0
		.amdhsa_exception_fp_ieee_inexact 0
		.amdhsa_exception_int_div_zero 0
	.end_amdhsa_kernel
	.section	.text._ZN7rocprim17ROCPRIM_400000_NS6detail17trampoline_kernelINS0_14default_configENS1_35adjacent_difference_config_selectorILb1EtEEZNS1_24adjacent_difference_implIS3_Lb1ELb0EPtS7_N6thrust23THRUST_200600_302600_NS5minusItEEEE10hipError_tPvRmT2_T3_mT4_P12ihipStream_tbEUlT_E_NS1_11comp_targetILNS1_3genE3ELNS1_11target_archE908ELNS1_3gpuE7ELNS1_3repE0EEENS1_30default_config_static_selectorELNS0_4arch9wavefront6targetE1EEEvT1_,"axG",@progbits,_ZN7rocprim17ROCPRIM_400000_NS6detail17trampoline_kernelINS0_14default_configENS1_35adjacent_difference_config_selectorILb1EtEEZNS1_24adjacent_difference_implIS3_Lb1ELb0EPtS7_N6thrust23THRUST_200600_302600_NS5minusItEEEE10hipError_tPvRmT2_T3_mT4_P12ihipStream_tbEUlT_E_NS1_11comp_targetILNS1_3genE3ELNS1_11target_archE908ELNS1_3gpuE7ELNS1_3repE0EEENS1_30default_config_static_selectorELNS0_4arch9wavefront6targetE1EEEvT1_,comdat
.Lfunc_end335:
	.size	_ZN7rocprim17ROCPRIM_400000_NS6detail17trampoline_kernelINS0_14default_configENS1_35adjacent_difference_config_selectorILb1EtEEZNS1_24adjacent_difference_implIS3_Lb1ELb0EPtS7_N6thrust23THRUST_200600_302600_NS5minusItEEEE10hipError_tPvRmT2_T3_mT4_P12ihipStream_tbEUlT_E_NS1_11comp_targetILNS1_3genE3ELNS1_11target_archE908ELNS1_3gpuE7ELNS1_3repE0EEENS1_30default_config_static_selectorELNS0_4arch9wavefront6targetE1EEEvT1_, .Lfunc_end335-_ZN7rocprim17ROCPRIM_400000_NS6detail17trampoline_kernelINS0_14default_configENS1_35adjacent_difference_config_selectorILb1EtEEZNS1_24adjacent_difference_implIS3_Lb1ELb0EPtS7_N6thrust23THRUST_200600_302600_NS5minusItEEEE10hipError_tPvRmT2_T3_mT4_P12ihipStream_tbEUlT_E_NS1_11comp_targetILNS1_3genE3ELNS1_11target_archE908ELNS1_3gpuE7ELNS1_3repE0EEENS1_30default_config_static_selectorELNS0_4arch9wavefront6targetE1EEEvT1_
                                        ; -- End function
	.section	.AMDGPU.csdata,"",@progbits
; Kernel info:
; codeLenInByte = 0
; NumSgprs: 4
; NumVgprs: 0
; NumAgprs: 0
; TotalNumVgprs: 0
; ScratchSize: 0
; MemoryBound: 0
; FloatMode: 240
; IeeeMode: 1
; LDSByteSize: 0 bytes/workgroup (compile time only)
; SGPRBlocks: 0
; VGPRBlocks: 0
; NumSGPRsForWavesPerEU: 4
; NumVGPRsForWavesPerEU: 1
; AccumOffset: 4
; Occupancy: 8
; WaveLimiterHint : 0
; COMPUTE_PGM_RSRC2:SCRATCH_EN: 0
; COMPUTE_PGM_RSRC2:USER_SGPR: 6
; COMPUTE_PGM_RSRC2:TRAP_HANDLER: 0
; COMPUTE_PGM_RSRC2:TGID_X_EN: 1
; COMPUTE_PGM_RSRC2:TGID_Y_EN: 0
; COMPUTE_PGM_RSRC2:TGID_Z_EN: 0
; COMPUTE_PGM_RSRC2:TIDIG_COMP_CNT: 0
; COMPUTE_PGM_RSRC3_GFX90A:ACCUM_OFFSET: 0
; COMPUTE_PGM_RSRC3_GFX90A:TG_SPLIT: 0
	.section	.text._ZN7rocprim17ROCPRIM_400000_NS6detail17trampoline_kernelINS0_14default_configENS1_35adjacent_difference_config_selectorILb1EtEEZNS1_24adjacent_difference_implIS3_Lb1ELb0EPtS7_N6thrust23THRUST_200600_302600_NS5minusItEEEE10hipError_tPvRmT2_T3_mT4_P12ihipStream_tbEUlT_E_NS1_11comp_targetILNS1_3genE2ELNS1_11target_archE906ELNS1_3gpuE6ELNS1_3repE0EEENS1_30default_config_static_selectorELNS0_4arch9wavefront6targetE1EEEvT1_,"axG",@progbits,_ZN7rocprim17ROCPRIM_400000_NS6detail17trampoline_kernelINS0_14default_configENS1_35adjacent_difference_config_selectorILb1EtEEZNS1_24adjacent_difference_implIS3_Lb1ELb0EPtS7_N6thrust23THRUST_200600_302600_NS5minusItEEEE10hipError_tPvRmT2_T3_mT4_P12ihipStream_tbEUlT_E_NS1_11comp_targetILNS1_3genE2ELNS1_11target_archE906ELNS1_3gpuE6ELNS1_3repE0EEENS1_30default_config_static_selectorELNS0_4arch9wavefront6targetE1EEEvT1_,comdat
	.protected	_ZN7rocprim17ROCPRIM_400000_NS6detail17trampoline_kernelINS0_14default_configENS1_35adjacent_difference_config_selectorILb1EtEEZNS1_24adjacent_difference_implIS3_Lb1ELb0EPtS7_N6thrust23THRUST_200600_302600_NS5minusItEEEE10hipError_tPvRmT2_T3_mT4_P12ihipStream_tbEUlT_E_NS1_11comp_targetILNS1_3genE2ELNS1_11target_archE906ELNS1_3gpuE6ELNS1_3repE0EEENS1_30default_config_static_selectorELNS0_4arch9wavefront6targetE1EEEvT1_ ; -- Begin function _ZN7rocprim17ROCPRIM_400000_NS6detail17trampoline_kernelINS0_14default_configENS1_35adjacent_difference_config_selectorILb1EtEEZNS1_24adjacent_difference_implIS3_Lb1ELb0EPtS7_N6thrust23THRUST_200600_302600_NS5minusItEEEE10hipError_tPvRmT2_T3_mT4_P12ihipStream_tbEUlT_E_NS1_11comp_targetILNS1_3genE2ELNS1_11target_archE906ELNS1_3gpuE6ELNS1_3repE0EEENS1_30default_config_static_selectorELNS0_4arch9wavefront6targetE1EEEvT1_
	.globl	_ZN7rocprim17ROCPRIM_400000_NS6detail17trampoline_kernelINS0_14default_configENS1_35adjacent_difference_config_selectorILb1EtEEZNS1_24adjacent_difference_implIS3_Lb1ELb0EPtS7_N6thrust23THRUST_200600_302600_NS5minusItEEEE10hipError_tPvRmT2_T3_mT4_P12ihipStream_tbEUlT_E_NS1_11comp_targetILNS1_3genE2ELNS1_11target_archE906ELNS1_3gpuE6ELNS1_3repE0EEENS1_30default_config_static_selectorELNS0_4arch9wavefront6targetE1EEEvT1_
	.p2align	8
	.type	_ZN7rocprim17ROCPRIM_400000_NS6detail17trampoline_kernelINS0_14default_configENS1_35adjacent_difference_config_selectorILb1EtEEZNS1_24adjacent_difference_implIS3_Lb1ELb0EPtS7_N6thrust23THRUST_200600_302600_NS5minusItEEEE10hipError_tPvRmT2_T3_mT4_P12ihipStream_tbEUlT_E_NS1_11comp_targetILNS1_3genE2ELNS1_11target_archE906ELNS1_3gpuE6ELNS1_3repE0EEENS1_30default_config_static_selectorELNS0_4arch9wavefront6targetE1EEEvT1_,@function
_ZN7rocprim17ROCPRIM_400000_NS6detail17trampoline_kernelINS0_14default_configENS1_35adjacent_difference_config_selectorILb1EtEEZNS1_24adjacent_difference_implIS3_Lb1ELb0EPtS7_N6thrust23THRUST_200600_302600_NS5minusItEEEE10hipError_tPvRmT2_T3_mT4_P12ihipStream_tbEUlT_E_NS1_11comp_targetILNS1_3genE2ELNS1_11target_archE906ELNS1_3gpuE6ELNS1_3repE0EEENS1_30default_config_static_selectorELNS0_4arch9wavefront6targetE1EEEvT1_: ; @_ZN7rocprim17ROCPRIM_400000_NS6detail17trampoline_kernelINS0_14default_configENS1_35adjacent_difference_config_selectorILb1EtEEZNS1_24adjacent_difference_implIS3_Lb1ELb0EPtS7_N6thrust23THRUST_200600_302600_NS5minusItEEEE10hipError_tPvRmT2_T3_mT4_P12ihipStream_tbEUlT_E_NS1_11comp_targetILNS1_3genE2ELNS1_11target_archE906ELNS1_3gpuE6ELNS1_3repE0EEENS1_30default_config_static_selectorELNS0_4arch9wavefront6targetE1EEEvT1_
; %bb.0:
	.section	.rodata,"a",@progbits
	.p2align	6, 0x0
	.amdhsa_kernel _ZN7rocprim17ROCPRIM_400000_NS6detail17trampoline_kernelINS0_14default_configENS1_35adjacent_difference_config_selectorILb1EtEEZNS1_24adjacent_difference_implIS3_Lb1ELb0EPtS7_N6thrust23THRUST_200600_302600_NS5minusItEEEE10hipError_tPvRmT2_T3_mT4_P12ihipStream_tbEUlT_E_NS1_11comp_targetILNS1_3genE2ELNS1_11target_archE906ELNS1_3gpuE6ELNS1_3repE0EEENS1_30default_config_static_selectorELNS0_4arch9wavefront6targetE1EEEvT1_
		.amdhsa_group_segment_fixed_size 0
		.amdhsa_private_segment_fixed_size 0
		.amdhsa_kernarg_size 56
		.amdhsa_user_sgpr_count 6
		.amdhsa_user_sgpr_private_segment_buffer 1
		.amdhsa_user_sgpr_dispatch_ptr 0
		.amdhsa_user_sgpr_queue_ptr 0
		.amdhsa_user_sgpr_kernarg_segment_ptr 1
		.amdhsa_user_sgpr_dispatch_id 0
		.amdhsa_user_sgpr_flat_scratch_init 0
		.amdhsa_user_sgpr_kernarg_preload_length 0
		.amdhsa_user_sgpr_kernarg_preload_offset 0
		.amdhsa_user_sgpr_private_segment_size 0
		.amdhsa_uses_dynamic_stack 0
		.amdhsa_system_sgpr_private_segment_wavefront_offset 0
		.amdhsa_system_sgpr_workgroup_id_x 1
		.amdhsa_system_sgpr_workgroup_id_y 0
		.amdhsa_system_sgpr_workgroup_id_z 0
		.amdhsa_system_sgpr_workgroup_info 0
		.amdhsa_system_vgpr_workitem_id 0
		.amdhsa_next_free_vgpr 1
		.amdhsa_next_free_sgpr 0
		.amdhsa_accum_offset 4
		.amdhsa_reserve_vcc 0
		.amdhsa_reserve_flat_scratch 0
		.amdhsa_float_round_mode_32 0
		.amdhsa_float_round_mode_16_64 0
		.amdhsa_float_denorm_mode_32 3
		.amdhsa_float_denorm_mode_16_64 3
		.amdhsa_dx10_clamp 1
		.amdhsa_ieee_mode 1
		.amdhsa_fp16_overflow 0
		.amdhsa_tg_split 0
		.amdhsa_exception_fp_ieee_invalid_op 0
		.amdhsa_exception_fp_denorm_src 0
		.amdhsa_exception_fp_ieee_div_zero 0
		.amdhsa_exception_fp_ieee_overflow 0
		.amdhsa_exception_fp_ieee_underflow 0
		.amdhsa_exception_fp_ieee_inexact 0
		.amdhsa_exception_int_div_zero 0
	.end_amdhsa_kernel
	.section	.text._ZN7rocprim17ROCPRIM_400000_NS6detail17trampoline_kernelINS0_14default_configENS1_35adjacent_difference_config_selectorILb1EtEEZNS1_24adjacent_difference_implIS3_Lb1ELb0EPtS7_N6thrust23THRUST_200600_302600_NS5minusItEEEE10hipError_tPvRmT2_T3_mT4_P12ihipStream_tbEUlT_E_NS1_11comp_targetILNS1_3genE2ELNS1_11target_archE906ELNS1_3gpuE6ELNS1_3repE0EEENS1_30default_config_static_selectorELNS0_4arch9wavefront6targetE1EEEvT1_,"axG",@progbits,_ZN7rocprim17ROCPRIM_400000_NS6detail17trampoline_kernelINS0_14default_configENS1_35adjacent_difference_config_selectorILb1EtEEZNS1_24adjacent_difference_implIS3_Lb1ELb0EPtS7_N6thrust23THRUST_200600_302600_NS5minusItEEEE10hipError_tPvRmT2_T3_mT4_P12ihipStream_tbEUlT_E_NS1_11comp_targetILNS1_3genE2ELNS1_11target_archE906ELNS1_3gpuE6ELNS1_3repE0EEENS1_30default_config_static_selectorELNS0_4arch9wavefront6targetE1EEEvT1_,comdat
.Lfunc_end336:
	.size	_ZN7rocprim17ROCPRIM_400000_NS6detail17trampoline_kernelINS0_14default_configENS1_35adjacent_difference_config_selectorILb1EtEEZNS1_24adjacent_difference_implIS3_Lb1ELb0EPtS7_N6thrust23THRUST_200600_302600_NS5minusItEEEE10hipError_tPvRmT2_T3_mT4_P12ihipStream_tbEUlT_E_NS1_11comp_targetILNS1_3genE2ELNS1_11target_archE906ELNS1_3gpuE6ELNS1_3repE0EEENS1_30default_config_static_selectorELNS0_4arch9wavefront6targetE1EEEvT1_, .Lfunc_end336-_ZN7rocprim17ROCPRIM_400000_NS6detail17trampoline_kernelINS0_14default_configENS1_35adjacent_difference_config_selectorILb1EtEEZNS1_24adjacent_difference_implIS3_Lb1ELb0EPtS7_N6thrust23THRUST_200600_302600_NS5minusItEEEE10hipError_tPvRmT2_T3_mT4_P12ihipStream_tbEUlT_E_NS1_11comp_targetILNS1_3genE2ELNS1_11target_archE906ELNS1_3gpuE6ELNS1_3repE0EEENS1_30default_config_static_selectorELNS0_4arch9wavefront6targetE1EEEvT1_
                                        ; -- End function
	.section	.AMDGPU.csdata,"",@progbits
; Kernel info:
; codeLenInByte = 0
; NumSgprs: 4
; NumVgprs: 0
; NumAgprs: 0
; TotalNumVgprs: 0
; ScratchSize: 0
; MemoryBound: 0
; FloatMode: 240
; IeeeMode: 1
; LDSByteSize: 0 bytes/workgroup (compile time only)
; SGPRBlocks: 0
; VGPRBlocks: 0
; NumSGPRsForWavesPerEU: 4
; NumVGPRsForWavesPerEU: 1
; AccumOffset: 4
; Occupancy: 8
; WaveLimiterHint : 0
; COMPUTE_PGM_RSRC2:SCRATCH_EN: 0
; COMPUTE_PGM_RSRC2:USER_SGPR: 6
; COMPUTE_PGM_RSRC2:TRAP_HANDLER: 0
; COMPUTE_PGM_RSRC2:TGID_X_EN: 1
; COMPUTE_PGM_RSRC2:TGID_Y_EN: 0
; COMPUTE_PGM_RSRC2:TGID_Z_EN: 0
; COMPUTE_PGM_RSRC2:TIDIG_COMP_CNT: 0
; COMPUTE_PGM_RSRC3_GFX90A:ACCUM_OFFSET: 0
; COMPUTE_PGM_RSRC3_GFX90A:TG_SPLIT: 0
	.section	.text._ZN7rocprim17ROCPRIM_400000_NS6detail17trampoline_kernelINS0_14default_configENS1_35adjacent_difference_config_selectorILb1EtEEZNS1_24adjacent_difference_implIS3_Lb1ELb0EPtS7_N6thrust23THRUST_200600_302600_NS5minusItEEEE10hipError_tPvRmT2_T3_mT4_P12ihipStream_tbEUlT_E_NS1_11comp_targetILNS1_3genE9ELNS1_11target_archE1100ELNS1_3gpuE3ELNS1_3repE0EEENS1_30default_config_static_selectorELNS0_4arch9wavefront6targetE1EEEvT1_,"axG",@progbits,_ZN7rocprim17ROCPRIM_400000_NS6detail17trampoline_kernelINS0_14default_configENS1_35adjacent_difference_config_selectorILb1EtEEZNS1_24adjacent_difference_implIS3_Lb1ELb0EPtS7_N6thrust23THRUST_200600_302600_NS5minusItEEEE10hipError_tPvRmT2_T3_mT4_P12ihipStream_tbEUlT_E_NS1_11comp_targetILNS1_3genE9ELNS1_11target_archE1100ELNS1_3gpuE3ELNS1_3repE0EEENS1_30default_config_static_selectorELNS0_4arch9wavefront6targetE1EEEvT1_,comdat
	.protected	_ZN7rocprim17ROCPRIM_400000_NS6detail17trampoline_kernelINS0_14default_configENS1_35adjacent_difference_config_selectorILb1EtEEZNS1_24adjacent_difference_implIS3_Lb1ELb0EPtS7_N6thrust23THRUST_200600_302600_NS5minusItEEEE10hipError_tPvRmT2_T3_mT4_P12ihipStream_tbEUlT_E_NS1_11comp_targetILNS1_3genE9ELNS1_11target_archE1100ELNS1_3gpuE3ELNS1_3repE0EEENS1_30default_config_static_selectorELNS0_4arch9wavefront6targetE1EEEvT1_ ; -- Begin function _ZN7rocprim17ROCPRIM_400000_NS6detail17trampoline_kernelINS0_14default_configENS1_35adjacent_difference_config_selectorILb1EtEEZNS1_24adjacent_difference_implIS3_Lb1ELb0EPtS7_N6thrust23THRUST_200600_302600_NS5minusItEEEE10hipError_tPvRmT2_T3_mT4_P12ihipStream_tbEUlT_E_NS1_11comp_targetILNS1_3genE9ELNS1_11target_archE1100ELNS1_3gpuE3ELNS1_3repE0EEENS1_30default_config_static_selectorELNS0_4arch9wavefront6targetE1EEEvT1_
	.globl	_ZN7rocprim17ROCPRIM_400000_NS6detail17trampoline_kernelINS0_14default_configENS1_35adjacent_difference_config_selectorILb1EtEEZNS1_24adjacent_difference_implIS3_Lb1ELb0EPtS7_N6thrust23THRUST_200600_302600_NS5minusItEEEE10hipError_tPvRmT2_T3_mT4_P12ihipStream_tbEUlT_E_NS1_11comp_targetILNS1_3genE9ELNS1_11target_archE1100ELNS1_3gpuE3ELNS1_3repE0EEENS1_30default_config_static_selectorELNS0_4arch9wavefront6targetE1EEEvT1_
	.p2align	8
	.type	_ZN7rocprim17ROCPRIM_400000_NS6detail17trampoline_kernelINS0_14default_configENS1_35adjacent_difference_config_selectorILb1EtEEZNS1_24adjacent_difference_implIS3_Lb1ELb0EPtS7_N6thrust23THRUST_200600_302600_NS5minusItEEEE10hipError_tPvRmT2_T3_mT4_P12ihipStream_tbEUlT_E_NS1_11comp_targetILNS1_3genE9ELNS1_11target_archE1100ELNS1_3gpuE3ELNS1_3repE0EEENS1_30default_config_static_selectorELNS0_4arch9wavefront6targetE1EEEvT1_,@function
_ZN7rocprim17ROCPRIM_400000_NS6detail17trampoline_kernelINS0_14default_configENS1_35adjacent_difference_config_selectorILb1EtEEZNS1_24adjacent_difference_implIS3_Lb1ELb0EPtS7_N6thrust23THRUST_200600_302600_NS5minusItEEEE10hipError_tPvRmT2_T3_mT4_P12ihipStream_tbEUlT_E_NS1_11comp_targetILNS1_3genE9ELNS1_11target_archE1100ELNS1_3gpuE3ELNS1_3repE0EEENS1_30default_config_static_selectorELNS0_4arch9wavefront6targetE1EEEvT1_: ; @_ZN7rocprim17ROCPRIM_400000_NS6detail17trampoline_kernelINS0_14default_configENS1_35adjacent_difference_config_selectorILb1EtEEZNS1_24adjacent_difference_implIS3_Lb1ELb0EPtS7_N6thrust23THRUST_200600_302600_NS5minusItEEEE10hipError_tPvRmT2_T3_mT4_P12ihipStream_tbEUlT_E_NS1_11comp_targetILNS1_3genE9ELNS1_11target_archE1100ELNS1_3gpuE3ELNS1_3repE0EEENS1_30default_config_static_selectorELNS0_4arch9wavefront6targetE1EEEvT1_
; %bb.0:
	.section	.rodata,"a",@progbits
	.p2align	6, 0x0
	.amdhsa_kernel _ZN7rocprim17ROCPRIM_400000_NS6detail17trampoline_kernelINS0_14default_configENS1_35adjacent_difference_config_selectorILb1EtEEZNS1_24adjacent_difference_implIS3_Lb1ELb0EPtS7_N6thrust23THRUST_200600_302600_NS5minusItEEEE10hipError_tPvRmT2_T3_mT4_P12ihipStream_tbEUlT_E_NS1_11comp_targetILNS1_3genE9ELNS1_11target_archE1100ELNS1_3gpuE3ELNS1_3repE0EEENS1_30default_config_static_selectorELNS0_4arch9wavefront6targetE1EEEvT1_
		.amdhsa_group_segment_fixed_size 0
		.amdhsa_private_segment_fixed_size 0
		.amdhsa_kernarg_size 56
		.amdhsa_user_sgpr_count 6
		.amdhsa_user_sgpr_private_segment_buffer 1
		.amdhsa_user_sgpr_dispatch_ptr 0
		.amdhsa_user_sgpr_queue_ptr 0
		.amdhsa_user_sgpr_kernarg_segment_ptr 1
		.amdhsa_user_sgpr_dispatch_id 0
		.amdhsa_user_sgpr_flat_scratch_init 0
		.amdhsa_user_sgpr_kernarg_preload_length 0
		.amdhsa_user_sgpr_kernarg_preload_offset 0
		.amdhsa_user_sgpr_private_segment_size 0
		.amdhsa_uses_dynamic_stack 0
		.amdhsa_system_sgpr_private_segment_wavefront_offset 0
		.amdhsa_system_sgpr_workgroup_id_x 1
		.amdhsa_system_sgpr_workgroup_id_y 0
		.amdhsa_system_sgpr_workgroup_id_z 0
		.amdhsa_system_sgpr_workgroup_info 0
		.amdhsa_system_vgpr_workitem_id 0
		.amdhsa_next_free_vgpr 1
		.amdhsa_next_free_sgpr 0
		.amdhsa_accum_offset 4
		.amdhsa_reserve_vcc 0
		.amdhsa_reserve_flat_scratch 0
		.amdhsa_float_round_mode_32 0
		.amdhsa_float_round_mode_16_64 0
		.amdhsa_float_denorm_mode_32 3
		.amdhsa_float_denorm_mode_16_64 3
		.amdhsa_dx10_clamp 1
		.amdhsa_ieee_mode 1
		.amdhsa_fp16_overflow 0
		.amdhsa_tg_split 0
		.amdhsa_exception_fp_ieee_invalid_op 0
		.amdhsa_exception_fp_denorm_src 0
		.amdhsa_exception_fp_ieee_div_zero 0
		.amdhsa_exception_fp_ieee_overflow 0
		.amdhsa_exception_fp_ieee_underflow 0
		.amdhsa_exception_fp_ieee_inexact 0
		.amdhsa_exception_int_div_zero 0
	.end_amdhsa_kernel
	.section	.text._ZN7rocprim17ROCPRIM_400000_NS6detail17trampoline_kernelINS0_14default_configENS1_35adjacent_difference_config_selectorILb1EtEEZNS1_24adjacent_difference_implIS3_Lb1ELb0EPtS7_N6thrust23THRUST_200600_302600_NS5minusItEEEE10hipError_tPvRmT2_T3_mT4_P12ihipStream_tbEUlT_E_NS1_11comp_targetILNS1_3genE9ELNS1_11target_archE1100ELNS1_3gpuE3ELNS1_3repE0EEENS1_30default_config_static_selectorELNS0_4arch9wavefront6targetE1EEEvT1_,"axG",@progbits,_ZN7rocprim17ROCPRIM_400000_NS6detail17trampoline_kernelINS0_14default_configENS1_35adjacent_difference_config_selectorILb1EtEEZNS1_24adjacent_difference_implIS3_Lb1ELb0EPtS7_N6thrust23THRUST_200600_302600_NS5minusItEEEE10hipError_tPvRmT2_T3_mT4_P12ihipStream_tbEUlT_E_NS1_11comp_targetILNS1_3genE9ELNS1_11target_archE1100ELNS1_3gpuE3ELNS1_3repE0EEENS1_30default_config_static_selectorELNS0_4arch9wavefront6targetE1EEEvT1_,comdat
.Lfunc_end337:
	.size	_ZN7rocprim17ROCPRIM_400000_NS6detail17trampoline_kernelINS0_14default_configENS1_35adjacent_difference_config_selectorILb1EtEEZNS1_24adjacent_difference_implIS3_Lb1ELb0EPtS7_N6thrust23THRUST_200600_302600_NS5minusItEEEE10hipError_tPvRmT2_T3_mT4_P12ihipStream_tbEUlT_E_NS1_11comp_targetILNS1_3genE9ELNS1_11target_archE1100ELNS1_3gpuE3ELNS1_3repE0EEENS1_30default_config_static_selectorELNS0_4arch9wavefront6targetE1EEEvT1_, .Lfunc_end337-_ZN7rocprim17ROCPRIM_400000_NS6detail17trampoline_kernelINS0_14default_configENS1_35adjacent_difference_config_selectorILb1EtEEZNS1_24adjacent_difference_implIS3_Lb1ELb0EPtS7_N6thrust23THRUST_200600_302600_NS5minusItEEEE10hipError_tPvRmT2_T3_mT4_P12ihipStream_tbEUlT_E_NS1_11comp_targetILNS1_3genE9ELNS1_11target_archE1100ELNS1_3gpuE3ELNS1_3repE0EEENS1_30default_config_static_selectorELNS0_4arch9wavefront6targetE1EEEvT1_
                                        ; -- End function
	.section	.AMDGPU.csdata,"",@progbits
; Kernel info:
; codeLenInByte = 0
; NumSgprs: 4
; NumVgprs: 0
; NumAgprs: 0
; TotalNumVgprs: 0
; ScratchSize: 0
; MemoryBound: 0
; FloatMode: 240
; IeeeMode: 1
; LDSByteSize: 0 bytes/workgroup (compile time only)
; SGPRBlocks: 0
; VGPRBlocks: 0
; NumSGPRsForWavesPerEU: 4
; NumVGPRsForWavesPerEU: 1
; AccumOffset: 4
; Occupancy: 8
; WaveLimiterHint : 0
; COMPUTE_PGM_RSRC2:SCRATCH_EN: 0
; COMPUTE_PGM_RSRC2:USER_SGPR: 6
; COMPUTE_PGM_RSRC2:TRAP_HANDLER: 0
; COMPUTE_PGM_RSRC2:TGID_X_EN: 1
; COMPUTE_PGM_RSRC2:TGID_Y_EN: 0
; COMPUTE_PGM_RSRC2:TGID_Z_EN: 0
; COMPUTE_PGM_RSRC2:TIDIG_COMP_CNT: 0
; COMPUTE_PGM_RSRC3_GFX90A:ACCUM_OFFSET: 0
; COMPUTE_PGM_RSRC3_GFX90A:TG_SPLIT: 0
	.section	.text._ZN7rocprim17ROCPRIM_400000_NS6detail17trampoline_kernelINS0_14default_configENS1_35adjacent_difference_config_selectorILb1EtEEZNS1_24adjacent_difference_implIS3_Lb1ELb0EPtS7_N6thrust23THRUST_200600_302600_NS5minusItEEEE10hipError_tPvRmT2_T3_mT4_P12ihipStream_tbEUlT_E_NS1_11comp_targetILNS1_3genE8ELNS1_11target_archE1030ELNS1_3gpuE2ELNS1_3repE0EEENS1_30default_config_static_selectorELNS0_4arch9wavefront6targetE1EEEvT1_,"axG",@progbits,_ZN7rocprim17ROCPRIM_400000_NS6detail17trampoline_kernelINS0_14default_configENS1_35adjacent_difference_config_selectorILb1EtEEZNS1_24adjacent_difference_implIS3_Lb1ELb0EPtS7_N6thrust23THRUST_200600_302600_NS5minusItEEEE10hipError_tPvRmT2_T3_mT4_P12ihipStream_tbEUlT_E_NS1_11comp_targetILNS1_3genE8ELNS1_11target_archE1030ELNS1_3gpuE2ELNS1_3repE0EEENS1_30default_config_static_selectorELNS0_4arch9wavefront6targetE1EEEvT1_,comdat
	.protected	_ZN7rocprim17ROCPRIM_400000_NS6detail17trampoline_kernelINS0_14default_configENS1_35adjacent_difference_config_selectorILb1EtEEZNS1_24adjacent_difference_implIS3_Lb1ELb0EPtS7_N6thrust23THRUST_200600_302600_NS5minusItEEEE10hipError_tPvRmT2_T3_mT4_P12ihipStream_tbEUlT_E_NS1_11comp_targetILNS1_3genE8ELNS1_11target_archE1030ELNS1_3gpuE2ELNS1_3repE0EEENS1_30default_config_static_selectorELNS0_4arch9wavefront6targetE1EEEvT1_ ; -- Begin function _ZN7rocprim17ROCPRIM_400000_NS6detail17trampoline_kernelINS0_14default_configENS1_35adjacent_difference_config_selectorILb1EtEEZNS1_24adjacent_difference_implIS3_Lb1ELb0EPtS7_N6thrust23THRUST_200600_302600_NS5minusItEEEE10hipError_tPvRmT2_T3_mT4_P12ihipStream_tbEUlT_E_NS1_11comp_targetILNS1_3genE8ELNS1_11target_archE1030ELNS1_3gpuE2ELNS1_3repE0EEENS1_30default_config_static_selectorELNS0_4arch9wavefront6targetE1EEEvT1_
	.globl	_ZN7rocprim17ROCPRIM_400000_NS6detail17trampoline_kernelINS0_14default_configENS1_35adjacent_difference_config_selectorILb1EtEEZNS1_24adjacent_difference_implIS3_Lb1ELb0EPtS7_N6thrust23THRUST_200600_302600_NS5minusItEEEE10hipError_tPvRmT2_T3_mT4_P12ihipStream_tbEUlT_E_NS1_11comp_targetILNS1_3genE8ELNS1_11target_archE1030ELNS1_3gpuE2ELNS1_3repE0EEENS1_30default_config_static_selectorELNS0_4arch9wavefront6targetE1EEEvT1_
	.p2align	8
	.type	_ZN7rocprim17ROCPRIM_400000_NS6detail17trampoline_kernelINS0_14default_configENS1_35adjacent_difference_config_selectorILb1EtEEZNS1_24adjacent_difference_implIS3_Lb1ELb0EPtS7_N6thrust23THRUST_200600_302600_NS5minusItEEEE10hipError_tPvRmT2_T3_mT4_P12ihipStream_tbEUlT_E_NS1_11comp_targetILNS1_3genE8ELNS1_11target_archE1030ELNS1_3gpuE2ELNS1_3repE0EEENS1_30default_config_static_selectorELNS0_4arch9wavefront6targetE1EEEvT1_,@function
_ZN7rocprim17ROCPRIM_400000_NS6detail17trampoline_kernelINS0_14default_configENS1_35adjacent_difference_config_selectorILb1EtEEZNS1_24adjacent_difference_implIS3_Lb1ELb0EPtS7_N6thrust23THRUST_200600_302600_NS5minusItEEEE10hipError_tPvRmT2_T3_mT4_P12ihipStream_tbEUlT_E_NS1_11comp_targetILNS1_3genE8ELNS1_11target_archE1030ELNS1_3gpuE2ELNS1_3repE0EEENS1_30default_config_static_selectorELNS0_4arch9wavefront6targetE1EEEvT1_: ; @_ZN7rocprim17ROCPRIM_400000_NS6detail17trampoline_kernelINS0_14default_configENS1_35adjacent_difference_config_selectorILb1EtEEZNS1_24adjacent_difference_implIS3_Lb1ELb0EPtS7_N6thrust23THRUST_200600_302600_NS5minusItEEEE10hipError_tPvRmT2_T3_mT4_P12ihipStream_tbEUlT_E_NS1_11comp_targetILNS1_3genE8ELNS1_11target_archE1030ELNS1_3gpuE2ELNS1_3repE0EEENS1_30default_config_static_selectorELNS0_4arch9wavefront6targetE1EEEvT1_
; %bb.0:
	.section	.rodata,"a",@progbits
	.p2align	6, 0x0
	.amdhsa_kernel _ZN7rocprim17ROCPRIM_400000_NS6detail17trampoline_kernelINS0_14default_configENS1_35adjacent_difference_config_selectorILb1EtEEZNS1_24adjacent_difference_implIS3_Lb1ELb0EPtS7_N6thrust23THRUST_200600_302600_NS5minusItEEEE10hipError_tPvRmT2_T3_mT4_P12ihipStream_tbEUlT_E_NS1_11comp_targetILNS1_3genE8ELNS1_11target_archE1030ELNS1_3gpuE2ELNS1_3repE0EEENS1_30default_config_static_selectorELNS0_4arch9wavefront6targetE1EEEvT1_
		.amdhsa_group_segment_fixed_size 0
		.amdhsa_private_segment_fixed_size 0
		.amdhsa_kernarg_size 56
		.amdhsa_user_sgpr_count 6
		.amdhsa_user_sgpr_private_segment_buffer 1
		.amdhsa_user_sgpr_dispatch_ptr 0
		.amdhsa_user_sgpr_queue_ptr 0
		.amdhsa_user_sgpr_kernarg_segment_ptr 1
		.amdhsa_user_sgpr_dispatch_id 0
		.amdhsa_user_sgpr_flat_scratch_init 0
		.amdhsa_user_sgpr_kernarg_preload_length 0
		.amdhsa_user_sgpr_kernarg_preload_offset 0
		.amdhsa_user_sgpr_private_segment_size 0
		.amdhsa_uses_dynamic_stack 0
		.amdhsa_system_sgpr_private_segment_wavefront_offset 0
		.amdhsa_system_sgpr_workgroup_id_x 1
		.amdhsa_system_sgpr_workgroup_id_y 0
		.amdhsa_system_sgpr_workgroup_id_z 0
		.amdhsa_system_sgpr_workgroup_info 0
		.amdhsa_system_vgpr_workitem_id 0
		.amdhsa_next_free_vgpr 1
		.amdhsa_next_free_sgpr 0
		.amdhsa_accum_offset 4
		.amdhsa_reserve_vcc 0
		.amdhsa_reserve_flat_scratch 0
		.amdhsa_float_round_mode_32 0
		.amdhsa_float_round_mode_16_64 0
		.amdhsa_float_denorm_mode_32 3
		.amdhsa_float_denorm_mode_16_64 3
		.amdhsa_dx10_clamp 1
		.amdhsa_ieee_mode 1
		.amdhsa_fp16_overflow 0
		.amdhsa_tg_split 0
		.amdhsa_exception_fp_ieee_invalid_op 0
		.amdhsa_exception_fp_denorm_src 0
		.amdhsa_exception_fp_ieee_div_zero 0
		.amdhsa_exception_fp_ieee_overflow 0
		.amdhsa_exception_fp_ieee_underflow 0
		.amdhsa_exception_fp_ieee_inexact 0
		.amdhsa_exception_int_div_zero 0
	.end_amdhsa_kernel
	.section	.text._ZN7rocprim17ROCPRIM_400000_NS6detail17trampoline_kernelINS0_14default_configENS1_35adjacent_difference_config_selectorILb1EtEEZNS1_24adjacent_difference_implIS3_Lb1ELb0EPtS7_N6thrust23THRUST_200600_302600_NS5minusItEEEE10hipError_tPvRmT2_T3_mT4_P12ihipStream_tbEUlT_E_NS1_11comp_targetILNS1_3genE8ELNS1_11target_archE1030ELNS1_3gpuE2ELNS1_3repE0EEENS1_30default_config_static_selectorELNS0_4arch9wavefront6targetE1EEEvT1_,"axG",@progbits,_ZN7rocprim17ROCPRIM_400000_NS6detail17trampoline_kernelINS0_14default_configENS1_35adjacent_difference_config_selectorILb1EtEEZNS1_24adjacent_difference_implIS3_Lb1ELb0EPtS7_N6thrust23THRUST_200600_302600_NS5minusItEEEE10hipError_tPvRmT2_T3_mT4_P12ihipStream_tbEUlT_E_NS1_11comp_targetILNS1_3genE8ELNS1_11target_archE1030ELNS1_3gpuE2ELNS1_3repE0EEENS1_30default_config_static_selectorELNS0_4arch9wavefront6targetE1EEEvT1_,comdat
.Lfunc_end338:
	.size	_ZN7rocprim17ROCPRIM_400000_NS6detail17trampoline_kernelINS0_14default_configENS1_35adjacent_difference_config_selectorILb1EtEEZNS1_24adjacent_difference_implIS3_Lb1ELb0EPtS7_N6thrust23THRUST_200600_302600_NS5minusItEEEE10hipError_tPvRmT2_T3_mT4_P12ihipStream_tbEUlT_E_NS1_11comp_targetILNS1_3genE8ELNS1_11target_archE1030ELNS1_3gpuE2ELNS1_3repE0EEENS1_30default_config_static_selectorELNS0_4arch9wavefront6targetE1EEEvT1_, .Lfunc_end338-_ZN7rocprim17ROCPRIM_400000_NS6detail17trampoline_kernelINS0_14default_configENS1_35adjacent_difference_config_selectorILb1EtEEZNS1_24adjacent_difference_implIS3_Lb1ELb0EPtS7_N6thrust23THRUST_200600_302600_NS5minusItEEEE10hipError_tPvRmT2_T3_mT4_P12ihipStream_tbEUlT_E_NS1_11comp_targetILNS1_3genE8ELNS1_11target_archE1030ELNS1_3gpuE2ELNS1_3repE0EEENS1_30default_config_static_selectorELNS0_4arch9wavefront6targetE1EEEvT1_
                                        ; -- End function
	.section	.AMDGPU.csdata,"",@progbits
; Kernel info:
; codeLenInByte = 0
; NumSgprs: 4
; NumVgprs: 0
; NumAgprs: 0
; TotalNumVgprs: 0
; ScratchSize: 0
; MemoryBound: 0
; FloatMode: 240
; IeeeMode: 1
; LDSByteSize: 0 bytes/workgroup (compile time only)
; SGPRBlocks: 0
; VGPRBlocks: 0
; NumSGPRsForWavesPerEU: 4
; NumVGPRsForWavesPerEU: 1
; AccumOffset: 4
; Occupancy: 8
; WaveLimiterHint : 0
; COMPUTE_PGM_RSRC2:SCRATCH_EN: 0
; COMPUTE_PGM_RSRC2:USER_SGPR: 6
; COMPUTE_PGM_RSRC2:TRAP_HANDLER: 0
; COMPUTE_PGM_RSRC2:TGID_X_EN: 1
; COMPUTE_PGM_RSRC2:TGID_Y_EN: 0
; COMPUTE_PGM_RSRC2:TGID_Z_EN: 0
; COMPUTE_PGM_RSRC2:TIDIG_COMP_CNT: 0
; COMPUTE_PGM_RSRC3_GFX90A:ACCUM_OFFSET: 0
; COMPUTE_PGM_RSRC3_GFX90A:TG_SPLIT: 0
	.section	.text._ZN7rocprim17ROCPRIM_400000_NS6detail17trampoline_kernelINS0_14default_configENS1_35adjacent_difference_config_selectorILb0EtEEZNS1_24adjacent_difference_implIS3_Lb0ELb0EPtS7_N6thrust23THRUST_200600_302600_NS4plusItEEEE10hipError_tPvRmT2_T3_mT4_P12ihipStream_tbEUlT_E_NS1_11comp_targetILNS1_3genE0ELNS1_11target_archE4294967295ELNS1_3gpuE0ELNS1_3repE0EEENS1_30default_config_static_selectorELNS0_4arch9wavefront6targetE1EEEvT1_,"axG",@progbits,_ZN7rocprim17ROCPRIM_400000_NS6detail17trampoline_kernelINS0_14default_configENS1_35adjacent_difference_config_selectorILb0EtEEZNS1_24adjacent_difference_implIS3_Lb0ELb0EPtS7_N6thrust23THRUST_200600_302600_NS4plusItEEEE10hipError_tPvRmT2_T3_mT4_P12ihipStream_tbEUlT_E_NS1_11comp_targetILNS1_3genE0ELNS1_11target_archE4294967295ELNS1_3gpuE0ELNS1_3repE0EEENS1_30default_config_static_selectorELNS0_4arch9wavefront6targetE1EEEvT1_,comdat
	.protected	_ZN7rocprim17ROCPRIM_400000_NS6detail17trampoline_kernelINS0_14default_configENS1_35adjacent_difference_config_selectorILb0EtEEZNS1_24adjacent_difference_implIS3_Lb0ELb0EPtS7_N6thrust23THRUST_200600_302600_NS4plusItEEEE10hipError_tPvRmT2_T3_mT4_P12ihipStream_tbEUlT_E_NS1_11comp_targetILNS1_3genE0ELNS1_11target_archE4294967295ELNS1_3gpuE0ELNS1_3repE0EEENS1_30default_config_static_selectorELNS0_4arch9wavefront6targetE1EEEvT1_ ; -- Begin function _ZN7rocprim17ROCPRIM_400000_NS6detail17trampoline_kernelINS0_14default_configENS1_35adjacent_difference_config_selectorILb0EtEEZNS1_24adjacent_difference_implIS3_Lb0ELb0EPtS7_N6thrust23THRUST_200600_302600_NS4plusItEEEE10hipError_tPvRmT2_T3_mT4_P12ihipStream_tbEUlT_E_NS1_11comp_targetILNS1_3genE0ELNS1_11target_archE4294967295ELNS1_3gpuE0ELNS1_3repE0EEENS1_30default_config_static_selectorELNS0_4arch9wavefront6targetE1EEEvT1_
	.globl	_ZN7rocprim17ROCPRIM_400000_NS6detail17trampoline_kernelINS0_14default_configENS1_35adjacent_difference_config_selectorILb0EtEEZNS1_24adjacent_difference_implIS3_Lb0ELb0EPtS7_N6thrust23THRUST_200600_302600_NS4plusItEEEE10hipError_tPvRmT2_T3_mT4_P12ihipStream_tbEUlT_E_NS1_11comp_targetILNS1_3genE0ELNS1_11target_archE4294967295ELNS1_3gpuE0ELNS1_3repE0EEENS1_30default_config_static_selectorELNS0_4arch9wavefront6targetE1EEEvT1_
	.p2align	8
	.type	_ZN7rocprim17ROCPRIM_400000_NS6detail17trampoline_kernelINS0_14default_configENS1_35adjacent_difference_config_selectorILb0EtEEZNS1_24adjacent_difference_implIS3_Lb0ELb0EPtS7_N6thrust23THRUST_200600_302600_NS4plusItEEEE10hipError_tPvRmT2_T3_mT4_P12ihipStream_tbEUlT_E_NS1_11comp_targetILNS1_3genE0ELNS1_11target_archE4294967295ELNS1_3gpuE0ELNS1_3repE0EEENS1_30default_config_static_selectorELNS0_4arch9wavefront6targetE1EEEvT1_,@function
_ZN7rocprim17ROCPRIM_400000_NS6detail17trampoline_kernelINS0_14default_configENS1_35adjacent_difference_config_selectorILb0EtEEZNS1_24adjacent_difference_implIS3_Lb0ELb0EPtS7_N6thrust23THRUST_200600_302600_NS4plusItEEEE10hipError_tPvRmT2_T3_mT4_P12ihipStream_tbEUlT_E_NS1_11comp_targetILNS1_3genE0ELNS1_11target_archE4294967295ELNS1_3gpuE0ELNS1_3repE0EEENS1_30default_config_static_selectorELNS0_4arch9wavefront6targetE1EEEvT1_: ; @_ZN7rocprim17ROCPRIM_400000_NS6detail17trampoline_kernelINS0_14default_configENS1_35adjacent_difference_config_selectorILb0EtEEZNS1_24adjacent_difference_implIS3_Lb0ELb0EPtS7_N6thrust23THRUST_200600_302600_NS4plusItEEEE10hipError_tPvRmT2_T3_mT4_P12ihipStream_tbEUlT_E_NS1_11comp_targetILNS1_3genE0ELNS1_11target_archE4294967295ELNS1_3gpuE0ELNS1_3repE0EEENS1_30default_config_static_selectorELNS0_4arch9wavefront6targetE1EEEvT1_
; %bb.0:
	.section	.rodata,"a",@progbits
	.p2align	6, 0x0
	.amdhsa_kernel _ZN7rocprim17ROCPRIM_400000_NS6detail17trampoline_kernelINS0_14default_configENS1_35adjacent_difference_config_selectorILb0EtEEZNS1_24adjacent_difference_implIS3_Lb0ELb0EPtS7_N6thrust23THRUST_200600_302600_NS4plusItEEEE10hipError_tPvRmT2_T3_mT4_P12ihipStream_tbEUlT_E_NS1_11comp_targetILNS1_3genE0ELNS1_11target_archE4294967295ELNS1_3gpuE0ELNS1_3repE0EEENS1_30default_config_static_selectorELNS0_4arch9wavefront6targetE1EEEvT1_
		.amdhsa_group_segment_fixed_size 0
		.amdhsa_private_segment_fixed_size 0
		.amdhsa_kernarg_size 56
		.amdhsa_user_sgpr_count 6
		.amdhsa_user_sgpr_private_segment_buffer 1
		.amdhsa_user_sgpr_dispatch_ptr 0
		.amdhsa_user_sgpr_queue_ptr 0
		.amdhsa_user_sgpr_kernarg_segment_ptr 1
		.amdhsa_user_sgpr_dispatch_id 0
		.amdhsa_user_sgpr_flat_scratch_init 0
		.amdhsa_user_sgpr_kernarg_preload_length 0
		.amdhsa_user_sgpr_kernarg_preload_offset 0
		.amdhsa_user_sgpr_private_segment_size 0
		.amdhsa_uses_dynamic_stack 0
		.amdhsa_system_sgpr_private_segment_wavefront_offset 0
		.amdhsa_system_sgpr_workgroup_id_x 1
		.amdhsa_system_sgpr_workgroup_id_y 0
		.amdhsa_system_sgpr_workgroup_id_z 0
		.amdhsa_system_sgpr_workgroup_info 0
		.amdhsa_system_vgpr_workitem_id 0
		.amdhsa_next_free_vgpr 1
		.amdhsa_next_free_sgpr 0
		.amdhsa_accum_offset 4
		.amdhsa_reserve_vcc 0
		.amdhsa_reserve_flat_scratch 0
		.amdhsa_float_round_mode_32 0
		.amdhsa_float_round_mode_16_64 0
		.amdhsa_float_denorm_mode_32 3
		.amdhsa_float_denorm_mode_16_64 3
		.amdhsa_dx10_clamp 1
		.amdhsa_ieee_mode 1
		.amdhsa_fp16_overflow 0
		.amdhsa_tg_split 0
		.amdhsa_exception_fp_ieee_invalid_op 0
		.amdhsa_exception_fp_denorm_src 0
		.amdhsa_exception_fp_ieee_div_zero 0
		.amdhsa_exception_fp_ieee_overflow 0
		.amdhsa_exception_fp_ieee_underflow 0
		.amdhsa_exception_fp_ieee_inexact 0
		.amdhsa_exception_int_div_zero 0
	.end_amdhsa_kernel
	.section	.text._ZN7rocprim17ROCPRIM_400000_NS6detail17trampoline_kernelINS0_14default_configENS1_35adjacent_difference_config_selectorILb0EtEEZNS1_24adjacent_difference_implIS3_Lb0ELb0EPtS7_N6thrust23THRUST_200600_302600_NS4plusItEEEE10hipError_tPvRmT2_T3_mT4_P12ihipStream_tbEUlT_E_NS1_11comp_targetILNS1_3genE0ELNS1_11target_archE4294967295ELNS1_3gpuE0ELNS1_3repE0EEENS1_30default_config_static_selectorELNS0_4arch9wavefront6targetE1EEEvT1_,"axG",@progbits,_ZN7rocprim17ROCPRIM_400000_NS6detail17trampoline_kernelINS0_14default_configENS1_35adjacent_difference_config_selectorILb0EtEEZNS1_24adjacent_difference_implIS3_Lb0ELb0EPtS7_N6thrust23THRUST_200600_302600_NS4plusItEEEE10hipError_tPvRmT2_T3_mT4_P12ihipStream_tbEUlT_E_NS1_11comp_targetILNS1_3genE0ELNS1_11target_archE4294967295ELNS1_3gpuE0ELNS1_3repE0EEENS1_30default_config_static_selectorELNS0_4arch9wavefront6targetE1EEEvT1_,comdat
.Lfunc_end339:
	.size	_ZN7rocprim17ROCPRIM_400000_NS6detail17trampoline_kernelINS0_14default_configENS1_35adjacent_difference_config_selectorILb0EtEEZNS1_24adjacent_difference_implIS3_Lb0ELb0EPtS7_N6thrust23THRUST_200600_302600_NS4plusItEEEE10hipError_tPvRmT2_T3_mT4_P12ihipStream_tbEUlT_E_NS1_11comp_targetILNS1_3genE0ELNS1_11target_archE4294967295ELNS1_3gpuE0ELNS1_3repE0EEENS1_30default_config_static_selectorELNS0_4arch9wavefront6targetE1EEEvT1_, .Lfunc_end339-_ZN7rocprim17ROCPRIM_400000_NS6detail17trampoline_kernelINS0_14default_configENS1_35adjacent_difference_config_selectorILb0EtEEZNS1_24adjacent_difference_implIS3_Lb0ELb0EPtS7_N6thrust23THRUST_200600_302600_NS4plusItEEEE10hipError_tPvRmT2_T3_mT4_P12ihipStream_tbEUlT_E_NS1_11comp_targetILNS1_3genE0ELNS1_11target_archE4294967295ELNS1_3gpuE0ELNS1_3repE0EEENS1_30default_config_static_selectorELNS0_4arch9wavefront6targetE1EEEvT1_
                                        ; -- End function
	.section	.AMDGPU.csdata,"",@progbits
; Kernel info:
; codeLenInByte = 0
; NumSgprs: 4
; NumVgprs: 0
; NumAgprs: 0
; TotalNumVgprs: 0
; ScratchSize: 0
; MemoryBound: 0
; FloatMode: 240
; IeeeMode: 1
; LDSByteSize: 0 bytes/workgroup (compile time only)
; SGPRBlocks: 0
; VGPRBlocks: 0
; NumSGPRsForWavesPerEU: 4
; NumVGPRsForWavesPerEU: 1
; AccumOffset: 4
; Occupancy: 8
; WaveLimiterHint : 0
; COMPUTE_PGM_RSRC2:SCRATCH_EN: 0
; COMPUTE_PGM_RSRC2:USER_SGPR: 6
; COMPUTE_PGM_RSRC2:TRAP_HANDLER: 0
; COMPUTE_PGM_RSRC2:TGID_X_EN: 1
; COMPUTE_PGM_RSRC2:TGID_Y_EN: 0
; COMPUTE_PGM_RSRC2:TGID_Z_EN: 0
; COMPUTE_PGM_RSRC2:TIDIG_COMP_CNT: 0
; COMPUTE_PGM_RSRC3_GFX90A:ACCUM_OFFSET: 0
; COMPUTE_PGM_RSRC3_GFX90A:TG_SPLIT: 0
	.section	.text._ZN7rocprim17ROCPRIM_400000_NS6detail17trampoline_kernelINS0_14default_configENS1_35adjacent_difference_config_selectorILb0EtEEZNS1_24adjacent_difference_implIS3_Lb0ELb0EPtS7_N6thrust23THRUST_200600_302600_NS4plusItEEEE10hipError_tPvRmT2_T3_mT4_P12ihipStream_tbEUlT_E_NS1_11comp_targetILNS1_3genE10ELNS1_11target_archE1201ELNS1_3gpuE5ELNS1_3repE0EEENS1_30default_config_static_selectorELNS0_4arch9wavefront6targetE1EEEvT1_,"axG",@progbits,_ZN7rocprim17ROCPRIM_400000_NS6detail17trampoline_kernelINS0_14default_configENS1_35adjacent_difference_config_selectorILb0EtEEZNS1_24adjacent_difference_implIS3_Lb0ELb0EPtS7_N6thrust23THRUST_200600_302600_NS4plusItEEEE10hipError_tPvRmT2_T3_mT4_P12ihipStream_tbEUlT_E_NS1_11comp_targetILNS1_3genE10ELNS1_11target_archE1201ELNS1_3gpuE5ELNS1_3repE0EEENS1_30default_config_static_selectorELNS0_4arch9wavefront6targetE1EEEvT1_,comdat
	.protected	_ZN7rocprim17ROCPRIM_400000_NS6detail17trampoline_kernelINS0_14default_configENS1_35adjacent_difference_config_selectorILb0EtEEZNS1_24adjacent_difference_implIS3_Lb0ELb0EPtS7_N6thrust23THRUST_200600_302600_NS4plusItEEEE10hipError_tPvRmT2_T3_mT4_P12ihipStream_tbEUlT_E_NS1_11comp_targetILNS1_3genE10ELNS1_11target_archE1201ELNS1_3gpuE5ELNS1_3repE0EEENS1_30default_config_static_selectorELNS0_4arch9wavefront6targetE1EEEvT1_ ; -- Begin function _ZN7rocprim17ROCPRIM_400000_NS6detail17trampoline_kernelINS0_14default_configENS1_35adjacent_difference_config_selectorILb0EtEEZNS1_24adjacent_difference_implIS3_Lb0ELb0EPtS7_N6thrust23THRUST_200600_302600_NS4plusItEEEE10hipError_tPvRmT2_T3_mT4_P12ihipStream_tbEUlT_E_NS1_11comp_targetILNS1_3genE10ELNS1_11target_archE1201ELNS1_3gpuE5ELNS1_3repE0EEENS1_30default_config_static_selectorELNS0_4arch9wavefront6targetE1EEEvT1_
	.globl	_ZN7rocprim17ROCPRIM_400000_NS6detail17trampoline_kernelINS0_14default_configENS1_35adjacent_difference_config_selectorILb0EtEEZNS1_24adjacent_difference_implIS3_Lb0ELb0EPtS7_N6thrust23THRUST_200600_302600_NS4plusItEEEE10hipError_tPvRmT2_T3_mT4_P12ihipStream_tbEUlT_E_NS1_11comp_targetILNS1_3genE10ELNS1_11target_archE1201ELNS1_3gpuE5ELNS1_3repE0EEENS1_30default_config_static_selectorELNS0_4arch9wavefront6targetE1EEEvT1_
	.p2align	8
	.type	_ZN7rocprim17ROCPRIM_400000_NS6detail17trampoline_kernelINS0_14default_configENS1_35adjacent_difference_config_selectorILb0EtEEZNS1_24adjacent_difference_implIS3_Lb0ELb0EPtS7_N6thrust23THRUST_200600_302600_NS4plusItEEEE10hipError_tPvRmT2_T3_mT4_P12ihipStream_tbEUlT_E_NS1_11comp_targetILNS1_3genE10ELNS1_11target_archE1201ELNS1_3gpuE5ELNS1_3repE0EEENS1_30default_config_static_selectorELNS0_4arch9wavefront6targetE1EEEvT1_,@function
_ZN7rocprim17ROCPRIM_400000_NS6detail17trampoline_kernelINS0_14default_configENS1_35adjacent_difference_config_selectorILb0EtEEZNS1_24adjacent_difference_implIS3_Lb0ELb0EPtS7_N6thrust23THRUST_200600_302600_NS4plusItEEEE10hipError_tPvRmT2_T3_mT4_P12ihipStream_tbEUlT_E_NS1_11comp_targetILNS1_3genE10ELNS1_11target_archE1201ELNS1_3gpuE5ELNS1_3repE0EEENS1_30default_config_static_selectorELNS0_4arch9wavefront6targetE1EEEvT1_: ; @_ZN7rocprim17ROCPRIM_400000_NS6detail17trampoline_kernelINS0_14default_configENS1_35adjacent_difference_config_selectorILb0EtEEZNS1_24adjacent_difference_implIS3_Lb0ELb0EPtS7_N6thrust23THRUST_200600_302600_NS4plusItEEEE10hipError_tPvRmT2_T3_mT4_P12ihipStream_tbEUlT_E_NS1_11comp_targetILNS1_3genE10ELNS1_11target_archE1201ELNS1_3gpuE5ELNS1_3repE0EEENS1_30default_config_static_selectorELNS0_4arch9wavefront6targetE1EEEvT1_
; %bb.0:
	.section	.rodata,"a",@progbits
	.p2align	6, 0x0
	.amdhsa_kernel _ZN7rocprim17ROCPRIM_400000_NS6detail17trampoline_kernelINS0_14default_configENS1_35adjacent_difference_config_selectorILb0EtEEZNS1_24adjacent_difference_implIS3_Lb0ELb0EPtS7_N6thrust23THRUST_200600_302600_NS4plusItEEEE10hipError_tPvRmT2_T3_mT4_P12ihipStream_tbEUlT_E_NS1_11comp_targetILNS1_3genE10ELNS1_11target_archE1201ELNS1_3gpuE5ELNS1_3repE0EEENS1_30default_config_static_selectorELNS0_4arch9wavefront6targetE1EEEvT1_
		.amdhsa_group_segment_fixed_size 0
		.amdhsa_private_segment_fixed_size 0
		.amdhsa_kernarg_size 56
		.amdhsa_user_sgpr_count 6
		.amdhsa_user_sgpr_private_segment_buffer 1
		.amdhsa_user_sgpr_dispatch_ptr 0
		.amdhsa_user_sgpr_queue_ptr 0
		.amdhsa_user_sgpr_kernarg_segment_ptr 1
		.amdhsa_user_sgpr_dispatch_id 0
		.amdhsa_user_sgpr_flat_scratch_init 0
		.amdhsa_user_sgpr_kernarg_preload_length 0
		.amdhsa_user_sgpr_kernarg_preload_offset 0
		.amdhsa_user_sgpr_private_segment_size 0
		.amdhsa_uses_dynamic_stack 0
		.amdhsa_system_sgpr_private_segment_wavefront_offset 0
		.amdhsa_system_sgpr_workgroup_id_x 1
		.amdhsa_system_sgpr_workgroup_id_y 0
		.amdhsa_system_sgpr_workgroup_id_z 0
		.amdhsa_system_sgpr_workgroup_info 0
		.amdhsa_system_vgpr_workitem_id 0
		.amdhsa_next_free_vgpr 1
		.amdhsa_next_free_sgpr 0
		.amdhsa_accum_offset 4
		.amdhsa_reserve_vcc 0
		.amdhsa_reserve_flat_scratch 0
		.amdhsa_float_round_mode_32 0
		.amdhsa_float_round_mode_16_64 0
		.amdhsa_float_denorm_mode_32 3
		.amdhsa_float_denorm_mode_16_64 3
		.amdhsa_dx10_clamp 1
		.amdhsa_ieee_mode 1
		.amdhsa_fp16_overflow 0
		.amdhsa_tg_split 0
		.amdhsa_exception_fp_ieee_invalid_op 0
		.amdhsa_exception_fp_denorm_src 0
		.amdhsa_exception_fp_ieee_div_zero 0
		.amdhsa_exception_fp_ieee_overflow 0
		.amdhsa_exception_fp_ieee_underflow 0
		.amdhsa_exception_fp_ieee_inexact 0
		.amdhsa_exception_int_div_zero 0
	.end_amdhsa_kernel
	.section	.text._ZN7rocprim17ROCPRIM_400000_NS6detail17trampoline_kernelINS0_14default_configENS1_35adjacent_difference_config_selectorILb0EtEEZNS1_24adjacent_difference_implIS3_Lb0ELb0EPtS7_N6thrust23THRUST_200600_302600_NS4plusItEEEE10hipError_tPvRmT2_T3_mT4_P12ihipStream_tbEUlT_E_NS1_11comp_targetILNS1_3genE10ELNS1_11target_archE1201ELNS1_3gpuE5ELNS1_3repE0EEENS1_30default_config_static_selectorELNS0_4arch9wavefront6targetE1EEEvT1_,"axG",@progbits,_ZN7rocprim17ROCPRIM_400000_NS6detail17trampoline_kernelINS0_14default_configENS1_35adjacent_difference_config_selectorILb0EtEEZNS1_24adjacent_difference_implIS3_Lb0ELb0EPtS7_N6thrust23THRUST_200600_302600_NS4plusItEEEE10hipError_tPvRmT2_T3_mT4_P12ihipStream_tbEUlT_E_NS1_11comp_targetILNS1_3genE10ELNS1_11target_archE1201ELNS1_3gpuE5ELNS1_3repE0EEENS1_30default_config_static_selectorELNS0_4arch9wavefront6targetE1EEEvT1_,comdat
.Lfunc_end340:
	.size	_ZN7rocprim17ROCPRIM_400000_NS6detail17trampoline_kernelINS0_14default_configENS1_35adjacent_difference_config_selectorILb0EtEEZNS1_24adjacent_difference_implIS3_Lb0ELb0EPtS7_N6thrust23THRUST_200600_302600_NS4plusItEEEE10hipError_tPvRmT2_T3_mT4_P12ihipStream_tbEUlT_E_NS1_11comp_targetILNS1_3genE10ELNS1_11target_archE1201ELNS1_3gpuE5ELNS1_3repE0EEENS1_30default_config_static_selectorELNS0_4arch9wavefront6targetE1EEEvT1_, .Lfunc_end340-_ZN7rocprim17ROCPRIM_400000_NS6detail17trampoline_kernelINS0_14default_configENS1_35adjacent_difference_config_selectorILb0EtEEZNS1_24adjacent_difference_implIS3_Lb0ELb0EPtS7_N6thrust23THRUST_200600_302600_NS4plusItEEEE10hipError_tPvRmT2_T3_mT4_P12ihipStream_tbEUlT_E_NS1_11comp_targetILNS1_3genE10ELNS1_11target_archE1201ELNS1_3gpuE5ELNS1_3repE0EEENS1_30default_config_static_selectorELNS0_4arch9wavefront6targetE1EEEvT1_
                                        ; -- End function
	.section	.AMDGPU.csdata,"",@progbits
; Kernel info:
; codeLenInByte = 0
; NumSgprs: 4
; NumVgprs: 0
; NumAgprs: 0
; TotalNumVgprs: 0
; ScratchSize: 0
; MemoryBound: 0
; FloatMode: 240
; IeeeMode: 1
; LDSByteSize: 0 bytes/workgroup (compile time only)
; SGPRBlocks: 0
; VGPRBlocks: 0
; NumSGPRsForWavesPerEU: 4
; NumVGPRsForWavesPerEU: 1
; AccumOffset: 4
; Occupancy: 8
; WaveLimiterHint : 0
; COMPUTE_PGM_RSRC2:SCRATCH_EN: 0
; COMPUTE_PGM_RSRC2:USER_SGPR: 6
; COMPUTE_PGM_RSRC2:TRAP_HANDLER: 0
; COMPUTE_PGM_RSRC2:TGID_X_EN: 1
; COMPUTE_PGM_RSRC2:TGID_Y_EN: 0
; COMPUTE_PGM_RSRC2:TGID_Z_EN: 0
; COMPUTE_PGM_RSRC2:TIDIG_COMP_CNT: 0
; COMPUTE_PGM_RSRC3_GFX90A:ACCUM_OFFSET: 0
; COMPUTE_PGM_RSRC3_GFX90A:TG_SPLIT: 0
	.section	.text._ZN7rocprim17ROCPRIM_400000_NS6detail17trampoline_kernelINS0_14default_configENS1_35adjacent_difference_config_selectorILb0EtEEZNS1_24adjacent_difference_implIS3_Lb0ELb0EPtS7_N6thrust23THRUST_200600_302600_NS4plusItEEEE10hipError_tPvRmT2_T3_mT4_P12ihipStream_tbEUlT_E_NS1_11comp_targetILNS1_3genE5ELNS1_11target_archE942ELNS1_3gpuE9ELNS1_3repE0EEENS1_30default_config_static_selectorELNS0_4arch9wavefront6targetE1EEEvT1_,"axG",@progbits,_ZN7rocprim17ROCPRIM_400000_NS6detail17trampoline_kernelINS0_14default_configENS1_35adjacent_difference_config_selectorILb0EtEEZNS1_24adjacent_difference_implIS3_Lb0ELb0EPtS7_N6thrust23THRUST_200600_302600_NS4plusItEEEE10hipError_tPvRmT2_T3_mT4_P12ihipStream_tbEUlT_E_NS1_11comp_targetILNS1_3genE5ELNS1_11target_archE942ELNS1_3gpuE9ELNS1_3repE0EEENS1_30default_config_static_selectorELNS0_4arch9wavefront6targetE1EEEvT1_,comdat
	.protected	_ZN7rocprim17ROCPRIM_400000_NS6detail17trampoline_kernelINS0_14default_configENS1_35adjacent_difference_config_selectorILb0EtEEZNS1_24adjacent_difference_implIS3_Lb0ELb0EPtS7_N6thrust23THRUST_200600_302600_NS4plusItEEEE10hipError_tPvRmT2_T3_mT4_P12ihipStream_tbEUlT_E_NS1_11comp_targetILNS1_3genE5ELNS1_11target_archE942ELNS1_3gpuE9ELNS1_3repE0EEENS1_30default_config_static_selectorELNS0_4arch9wavefront6targetE1EEEvT1_ ; -- Begin function _ZN7rocprim17ROCPRIM_400000_NS6detail17trampoline_kernelINS0_14default_configENS1_35adjacent_difference_config_selectorILb0EtEEZNS1_24adjacent_difference_implIS3_Lb0ELb0EPtS7_N6thrust23THRUST_200600_302600_NS4plusItEEEE10hipError_tPvRmT2_T3_mT4_P12ihipStream_tbEUlT_E_NS1_11comp_targetILNS1_3genE5ELNS1_11target_archE942ELNS1_3gpuE9ELNS1_3repE0EEENS1_30default_config_static_selectorELNS0_4arch9wavefront6targetE1EEEvT1_
	.globl	_ZN7rocprim17ROCPRIM_400000_NS6detail17trampoline_kernelINS0_14default_configENS1_35adjacent_difference_config_selectorILb0EtEEZNS1_24adjacent_difference_implIS3_Lb0ELb0EPtS7_N6thrust23THRUST_200600_302600_NS4plusItEEEE10hipError_tPvRmT2_T3_mT4_P12ihipStream_tbEUlT_E_NS1_11comp_targetILNS1_3genE5ELNS1_11target_archE942ELNS1_3gpuE9ELNS1_3repE0EEENS1_30default_config_static_selectorELNS0_4arch9wavefront6targetE1EEEvT1_
	.p2align	8
	.type	_ZN7rocprim17ROCPRIM_400000_NS6detail17trampoline_kernelINS0_14default_configENS1_35adjacent_difference_config_selectorILb0EtEEZNS1_24adjacent_difference_implIS3_Lb0ELb0EPtS7_N6thrust23THRUST_200600_302600_NS4plusItEEEE10hipError_tPvRmT2_T3_mT4_P12ihipStream_tbEUlT_E_NS1_11comp_targetILNS1_3genE5ELNS1_11target_archE942ELNS1_3gpuE9ELNS1_3repE0EEENS1_30default_config_static_selectorELNS0_4arch9wavefront6targetE1EEEvT1_,@function
_ZN7rocprim17ROCPRIM_400000_NS6detail17trampoline_kernelINS0_14default_configENS1_35adjacent_difference_config_selectorILb0EtEEZNS1_24adjacent_difference_implIS3_Lb0ELb0EPtS7_N6thrust23THRUST_200600_302600_NS4plusItEEEE10hipError_tPvRmT2_T3_mT4_P12ihipStream_tbEUlT_E_NS1_11comp_targetILNS1_3genE5ELNS1_11target_archE942ELNS1_3gpuE9ELNS1_3repE0EEENS1_30default_config_static_selectorELNS0_4arch9wavefront6targetE1EEEvT1_: ; @_ZN7rocprim17ROCPRIM_400000_NS6detail17trampoline_kernelINS0_14default_configENS1_35adjacent_difference_config_selectorILb0EtEEZNS1_24adjacent_difference_implIS3_Lb0ELb0EPtS7_N6thrust23THRUST_200600_302600_NS4plusItEEEE10hipError_tPvRmT2_T3_mT4_P12ihipStream_tbEUlT_E_NS1_11comp_targetILNS1_3genE5ELNS1_11target_archE942ELNS1_3gpuE9ELNS1_3repE0EEENS1_30default_config_static_selectorELNS0_4arch9wavefront6targetE1EEEvT1_
; %bb.0:
	.section	.rodata,"a",@progbits
	.p2align	6, 0x0
	.amdhsa_kernel _ZN7rocprim17ROCPRIM_400000_NS6detail17trampoline_kernelINS0_14default_configENS1_35adjacent_difference_config_selectorILb0EtEEZNS1_24adjacent_difference_implIS3_Lb0ELb0EPtS7_N6thrust23THRUST_200600_302600_NS4plusItEEEE10hipError_tPvRmT2_T3_mT4_P12ihipStream_tbEUlT_E_NS1_11comp_targetILNS1_3genE5ELNS1_11target_archE942ELNS1_3gpuE9ELNS1_3repE0EEENS1_30default_config_static_selectorELNS0_4arch9wavefront6targetE1EEEvT1_
		.amdhsa_group_segment_fixed_size 0
		.amdhsa_private_segment_fixed_size 0
		.amdhsa_kernarg_size 56
		.amdhsa_user_sgpr_count 6
		.amdhsa_user_sgpr_private_segment_buffer 1
		.amdhsa_user_sgpr_dispatch_ptr 0
		.amdhsa_user_sgpr_queue_ptr 0
		.amdhsa_user_sgpr_kernarg_segment_ptr 1
		.amdhsa_user_sgpr_dispatch_id 0
		.amdhsa_user_sgpr_flat_scratch_init 0
		.amdhsa_user_sgpr_kernarg_preload_length 0
		.amdhsa_user_sgpr_kernarg_preload_offset 0
		.amdhsa_user_sgpr_private_segment_size 0
		.amdhsa_uses_dynamic_stack 0
		.amdhsa_system_sgpr_private_segment_wavefront_offset 0
		.amdhsa_system_sgpr_workgroup_id_x 1
		.amdhsa_system_sgpr_workgroup_id_y 0
		.amdhsa_system_sgpr_workgroup_id_z 0
		.amdhsa_system_sgpr_workgroup_info 0
		.amdhsa_system_vgpr_workitem_id 0
		.amdhsa_next_free_vgpr 1
		.amdhsa_next_free_sgpr 0
		.amdhsa_accum_offset 4
		.amdhsa_reserve_vcc 0
		.amdhsa_reserve_flat_scratch 0
		.amdhsa_float_round_mode_32 0
		.amdhsa_float_round_mode_16_64 0
		.amdhsa_float_denorm_mode_32 3
		.amdhsa_float_denorm_mode_16_64 3
		.amdhsa_dx10_clamp 1
		.amdhsa_ieee_mode 1
		.amdhsa_fp16_overflow 0
		.amdhsa_tg_split 0
		.amdhsa_exception_fp_ieee_invalid_op 0
		.amdhsa_exception_fp_denorm_src 0
		.amdhsa_exception_fp_ieee_div_zero 0
		.amdhsa_exception_fp_ieee_overflow 0
		.amdhsa_exception_fp_ieee_underflow 0
		.amdhsa_exception_fp_ieee_inexact 0
		.amdhsa_exception_int_div_zero 0
	.end_amdhsa_kernel
	.section	.text._ZN7rocprim17ROCPRIM_400000_NS6detail17trampoline_kernelINS0_14default_configENS1_35adjacent_difference_config_selectorILb0EtEEZNS1_24adjacent_difference_implIS3_Lb0ELb0EPtS7_N6thrust23THRUST_200600_302600_NS4plusItEEEE10hipError_tPvRmT2_T3_mT4_P12ihipStream_tbEUlT_E_NS1_11comp_targetILNS1_3genE5ELNS1_11target_archE942ELNS1_3gpuE9ELNS1_3repE0EEENS1_30default_config_static_selectorELNS0_4arch9wavefront6targetE1EEEvT1_,"axG",@progbits,_ZN7rocprim17ROCPRIM_400000_NS6detail17trampoline_kernelINS0_14default_configENS1_35adjacent_difference_config_selectorILb0EtEEZNS1_24adjacent_difference_implIS3_Lb0ELb0EPtS7_N6thrust23THRUST_200600_302600_NS4plusItEEEE10hipError_tPvRmT2_T3_mT4_P12ihipStream_tbEUlT_E_NS1_11comp_targetILNS1_3genE5ELNS1_11target_archE942ELNS1_3gpuE9ELNS1_3repE0EEENS1_30default_config_static_selectorELNS0_4arch9wavefront6targetE1EEEvT1_,comdat
.Lfunc_end341:
	.size	_ZN7rocprim17ROCPRIM_400000_NS6detail17trampoline_kernelINS0_14default_configENS1_35adjacent_difference_config_selectorILb0EtEEZNS1_24adjacent_difference_implIS3_Lb0ELb0EPtS7_N6thrust23THRUST_200600_302600_NS4plusItEEEE10hipError_tPvRmT2_T3_mT4_P12ihipStream_tbEUlT_E_NS1_11comp_targetILNS1_3genE5ELNS1_11target_archE942ELNS1_3gpuE9ELNS1_3repE0EEENS1_30default_config_static_selectorELNS0_4arch9wavefront6targetE1EEEvT1_, .Lfunc_end341-_ZN7rocprim17ROCPRIM_400000_NS6detail17trampoline_kernelINS0_14default_configENS1_35adjacent_difference_config_selectorILb0EtEEZNS1_24adjacent_difference_implIS3_Lb0ELb0EPtS7_N6thrust23THRUST_200600_302600_NS4plusItEEEE10hipError_tPvRmT2_T3_mT4_P12ihipStream_tbEUlT_E_NS1_11comp_targetILNS1_3genE5ELNS1_11target_archE942ELNS1_3gpuE9ELNS1_3repE0EEENS1_30default_config_static_selectorELNS0_4arch9wavefront6targetE1EEEvT1_
                                        ; -- End function
	.section	.AMDGPU.csdata,"",@progbits
; Kernel info:
; codeLenInByte = 0
; NumSgprs: 4
; NumVgprs: 0
; NumAgprs: 0
; TotalNumVgprs: 0
; ScratchSize: 0
; MemoryBound: 0
; FloatMode: 240
; IeeeMode: 1
; LDSByteSize: 0 bytes/workgroup (compile time only)
; SGPRBlocks: 0
; VGPRBlocks: 0
; NumSGPRsForWavesPerEU: 4
; NumVGPRsForWavesPerEU: 1
; AccumOffset: 4
; Occupancy: 8
; WaveLimiterHint : 0
; COMPUTE_PGM_RSRC2:SCRATCH_EN: 0
; COMPUTE_PGM_RSRC2:USER_SGPR: 6
; COMPUTE_PGM_RSRC2:TRAP_HANDLER: 0
; COMPUTE_PGM_RSRC2:TGID_X_EN: 1
; COMPUTE_PGM_RSRC2:TGID_Y_EN: 0
; COMPUTE_PGM_RSRC2:TGID_Z_EN: 0
; COMPUTE_PGM_RSRC2:TIDIG_COMP_CNT: 0
; COMPUTE_PGM_RSRC3_GFX90A:ACCUM_OFFSET: 0
; COMPUTE_PGM_RSRC3_GFX90A:TG_SPLIT: 0
	.section	.text._ZN7rocprim17ROCPRIM_400000_NS6detail17trampoline_kernelINS0_14default_configENS1_35adjacent_difference_config_selectorILb0EtEEZNS1_24adjacent_difference_implIS3_Lb0ELb0EPtS7_N6thrust23THRUST_200600_302600_NS4plusItEEEE10hipError_tPvRmT2_T3_mT4_P12ihipStream_tbEUlT_E_NS1_11comp_targetILNS1_3genE4ELNS1_11target_archE910ELNS1_3gpuE8ELNS1_3repE0EEENS1_30default_config_static_selectorELNS0_4arch9wavefront6targetE1EEEvT1_,"axG",@progbits,_ZN7rocprim17ROCPRIM_400000_NS6detail17trampoline_kernelINS0_14default_configENS1_35adjacent_difference_config_selectorILb0EtEEZNS1_24adjacent_difference_implIS3_Lb0ELb0EPtS7_N6thrust23THRUST_200600_302600_NS4plusItEEEE10hipError_tPvRmT2_T3_mT4_P12ihipStream_tbEUlT_E_NS1_11comp_targetILNS1_3genE4ELNS1_11target_archE910ELNS1_3gpuE8ELNS1_3repE0EEENS1_30default_config_static_selectorELNS0_4arch9wavefront6targetE1EEEvT1_,comdat
	.protected	_ZN7rocprim17ROCPRIM_400000_NS6detail17trampoline_kernelINS0_14default_configENS1_35adjacent_difference_config_selectorILb0EtEEZNS1_24adjacent_difference_implIS3_Lb0ELb0EPtS7_N6thrust23THRUST_200600_302600_NS4plusItEEEE10hipError_tPvRmT2_T3_mT4_P12ihipStream_tbEUlT_E_NS1_11comp_targetILNS1_3genE4ELNS1_11target_archE910ELNS1_3gpuE8ELNS1_3repE0EEENS1_30default_config_static_selectorELNS0_4arch9wavefront6targetE1EEEvT1_ ; -- Begin function _ZN7rocprim17ROCPRIM_400000_NS6detail17trampoline_kernelINS0_14default_configENS1_35adjacent_difference_config_selectorILb0EtEEZNS1_24adjacent_difference_implIS3_Lb0ELb0EPtS7_N6thrust23THRUST_200600_302600_NS4plusItEEEE10hipError_tPvRmT2_T3_mT4_P12ihipStream_tbEUlT_E_NS1_11comp_targetILNS1_3genE4ELNS1_11target_archE910ELNS1_3gpuE8ELNS1_3repE0EEENS1_30default_config_static_selectorELNS0_4arch9wavefront6targetE1EEEvT1_
	.globl	_ZN7rocprim17ROCPRIM_400000_NS6detail17trampoline_kernelINS0_14default_configENS1_35adjacent_difference_config_selectorILb0EtEEZNS1_24adjacent_difference_implIS3_Lb0ELb0EPtS7_N6thrust23THRUST_200600_302600_NS4plusItEEEE10hipError_tPvRmT2_T3_mT4_P12ihipStream_tbEUlT_E_NS1_11comp_targetILNS1_3genE4ELNS1_11target_archE910ELNS1_3gpuE8ELNS1_3repE0EEENS1_30default_config_static_selectorELNS0_4arch9wavefront6targetE1EEEvT1_
	.p2align	8
	.type	_ZN7rocprim17ROCPRIM_400000_NS6detail17trampoline_kernelINS0_14default_configENS1_35adjacent_difference_config_selectorILb0EtEEZNS1_24adjacent_difference_implIS3_Lb0ELb0EPtS7_N6thrust23THRUST_200600_302600_NS4plusItEEEE10hipError_tPvRmT2_T3_mT4_P12ihipStream_tbEUlT_E_NS1_11comp_targetILNS1_3genE4ELNS1_11target_archE910ELNS1_3gpuE8ELNS1_3repE0EEENS1_30default_config_static_selectorELNS0_4arch9wavefront6targetE1EEEvT1_,@function
_ZN7rocprim17ROCPRIM_400000_NS6detail17trampoline_kernelINS0_14default_configENS1_35adjacent_difference_config_selectorILb0EtEEZNS1_24adjacent_difference_implIS3_Lb0ELb0EPtS7_N6thrust23THRUST_200600_302600_NS4plusItEEEE10hipError_tPvRmT2_T3_mT4_P12ihipStream_tbEUlT_E_NS1_11comp_targetILNS1_3genE4ELNS1_11target_archE910ELNS1_3gpuE8ELNS1_3repE0EEENS1_30default_config_static_selectorELNS0_4arch9wavefront6targetE1EEEvT1_: ; @_ZN7rocprim17ROCPRIM_400000_NS6detail17trampoline_kernelINS0_14default_configENS1_35adjacent_difference_config_selectorILb0EtEEZNS1_24adjacent_difference_implIS3_Lb0ELb0EPtS7_N6thrust23THRUST_200600_302600_NS4plusItEEEE10hipError_tPvRmT2_T3_mT4_P12ihipStream_tbEUlT_E_NS1_11comp_targetILNS1_3genE4ELNS1_11target_archE910ELNS1_3gpuE8ELNS1_3repE0EEENS1_30default_config_static_selectorELNS0_4arch9wavefront6targetE1EEEvT1_
; %bb.0:
	s_load_dwordx8 s[8:15], s[4:5], 0x0
	s_mov_b32 s2, 0xfc3c3710
	s_movk_i32 s7, 0x440
	s_load_dwordx2 s[0:1], s[4:5], 0x30
	s_mul_i32 s4, s6, 0x440
	s_waitcnt lgkmcnt(0)
	s_lshl_b64 s[10:11], s[10:11], 1
	s_add_u32 s20, s8, s10
	s_addc_u32 s21, s9, s11
	s_add_u32 s2, 0x10c, s2
	s_addc_u32 s8, 0, 0
	v_add_co_u32_e64 v1, s[2:3], s2, 2.0
	s_cmp_lg_u64 s[2:3], 0
	s_addc_u32 s2, s8, 0x3c3c3b
	v_readfirstlane_b32 s8, v1
	s_mul_hi_u32 s9, s8, 0xfffffbc0
	s_mul_i32 s3, s2, 0xfffffbc0
	s_sub_i32 s9, s9, s8
	s_add_i32 s9, s9, s3
	s_mul_i32 s17, s8, 0xfffffbc0
	s_mul_hi_u32 s3, s8, s9
	s_mul_i32 s16, s8, s9
	s_mul_hi_u32 s8, s8, s17
	s_add_u32 s8, s8, s16
	s_addc_u32 s3, 0, s3
	s_mul_hi_u32 s18, s2, s17
	s_mul_i32 s17, s2, s17
	s_add_u32 s8, s8, s17
	s_mul_hi_u32 s16, s2, s9
	s_addc_u32 s3, s3, s18
	s_addc_u32 s8, s16, 0
	s_mul_i32 s9, s2, s9
	s_add_u32 s3, s3, s9
	s_addc_u32 s8, 0, s8
	v_add_co_u32_e32 v1, vcc, s3, v1
	s_cmp_lg_u64 vcc, 0
	s_addc_u32 s2, s2, s8
	v_readfirstlane_b32 s9, v1
	s_mul_i32 s8, s14, s2
	s_mul_hi_u32 s16, s14, s9
	s_mul_hi_u32 s3, s14, s2
	s_add_u32 s8, s16, s8
	s_addc_u32 s3, 0, s3
	s_mul_hi_u32 s17, s15, s9
	s_mul_i32 s9, s15, s9
	s_add_u32 s8, s8, s9
	s_mul_hi_u32 s16, s15, s2
	s_addc_u32 s3, s3, s17
	s_addc_u32 s8, s16, 0
	s_mul_i32 s2, s15, s2
	s_add_u32 s2, s3, s2
	s_addc_u32 s3, 0, s8
	s_add_u32 s8, s2, 1
	s_addc_u32 s9, s3, 0
	s_add_u32 s16, s2, 2
	s_mul_i32 s18, s3, 0x440
	s_mul_hi_u32 s19, s2, 0x440
	s_addc_u32 s17, s3, 0
	s_add_i32 s19, s19, s18
	s_mul_i32 s18, s2, 0x440
	v_mov_b32_e32 v1, s18
	v_sub_co_u32_e32 v1, vcc, s14, v1
	s_cmp_lg_u64 vcc, 0
	s_subb_u32 s18, s15, s19
	v_subrev_co_u32_e32 v2, vcc, s7, v1
	s_cmp_lg_u64 vcc, 0
	s_subb_u32 s7, s18, 0
	v_readfirstlane_b32 s19, v2
	s_cmpk_gt_u32 s19, 0x43f
	s_cselect_b32 s19, -1, 0
	s_cmp_eq_u32 s7, 0
	s_cselect_b32 s7, s19, -1
	s_cmp_lg_u32 s7, 0
	s_cselect_b32 s7, s16, s8
	s_cselect_b32 s8, s17, s9
	v_readfirstlane_b32 s9, v1
	s_cmpk_gt_u32 s9, 0x43f
	s_cselect_b32 s9, -1, 0
	s_cmp_eq_u32 s18, 0
	s_cselect_b32 s9, s9, -1
	s_cmp_lg_u32 s9, 0
	s_cselect_b32 s8, s8, s3
	s_cselect_b32 s7, s7, s2
	s_mul_i32 s2, s8, 0x440
	s_mul_hi_u32 s3, s7, 0x440
	s_add_i32 s3, s3, s2
	s_mul_i32 s2, s7, 0x440
	s_sub_u32 s2, s14, s2
	s_subb_u32 s3, s15, s3
	s_cmp_lg_u64 s[2:3], 0
	s_cselect_b64 s[2:3], -1, 0
	v_cndmask_b32_e64 v1, 0, 1, s[2:3]
	v_readfirstlane_b32 s2, v1
	s_add_u32 s2, s7, s2
	s_addc_u32 s3, s8, 0
	s_add_u32 s6, s0, s6
	s_addc_u32 s7, s1, 0
	s_add_u32 s8, s2, -1
	s_addc_u32 s9, s3, -1
	v_pk_mov_b32 v[2:3], s[8:9], s[8:9] op_sel:[0,1]
	v_cmp_ge_u64_e64 s[0:1], s[6:7], v[2:3]
	s_mov_b32 s5, 0
	s_mov_b64 s[16:17], -1
	s_and_b64 vcc, exec, s[0:1]
	s_mul_i32 s15, s8, 0xfffffbc0
	s_cbranch_vccz .LBB342_36
; %bb.1:
	s_add_i32 s22, s15, s14
	s_lshl_b64 s[16:17], s[4:5], 1
	s_add_u32 s16, s20, s16
	s_addc_u32 s17, s21, s17
	v_cmp_gt_u32_e32 vcc, s22, v0
                                        ; implicit-def: $vgpr1
	s_and_saveexec_b64 s[18:19], vcc
	s_cbranch_execz .LBB342_3
; %bb.2:
	v_lshlrev_b32_e32 v1, 1, v0
	global_load_ushort v1, v1, s[16:17]
.LBB342_3:
	s_or_b64 exec, exec, s[18:19]
	v_or_b32_e32 v2, 64, v0
	v_cmp_gt_u32_e32 vcc, s22, v2
                                        ; implicit-def: $vgpr2
	s_and_saveexec_b64 s[18:19], vcc
	s_cbranch_execz .LBB342_5
; %bb.4:
	v_lshlrev_b32_e32 v2, 1, v0
	global_load_ushort v2, v2, s[16:17] offset:128
.LBB342_5:
	s_or_b64 exec, exec, s[18:19]
	v_or_b32_e32 v3, 0x80, v0
	v_cmp_gt_u32_e32 vcc, s22, v3
                                        ; implicit-def: $vgpr3
	s_and_saveexec_b64 s[18:19], vcc
	s_cbranch_execz .LBB342_7
; %bb.6:
	v_lshlrev_b32_e32 v3, 1, v0
	global_load_ushort v3, v3, s[16:17] offset:256
.LBB342_7:
	s_or_b64 exec, exec, s[18:19]
	v_or_b32_e32 v4, 0xc0, v0
	v_cmp_gt_u32_e32 vcc, s22, v4
                                        ; implicit-def: $vgpr4
	s_and_saveexec_b64 s[18:19], vcc
	s_cbranch_execz .LBB342_9
; %bb.8:
	v_lshlrev_b32_e32 v4, 1, v0
	global_load_ushort v4, v4, s[16:17] offset:384
.LBB342_9:
	s_or_b64 exec, exec, s[18:19]
	v_or_b32_e32 v5, 0x100, v0
	v_cmp_gt_u32_e32 vcc, s22, v5
                                        ; implicit-def: $vgpr5
	s_and_saveexec_b64 s[18:19], vcc
	s_cbranch_execz .LBB342_11
; %bb.10:
	v_lshlrev_b32_e32 v5, 1, v0
	global_load_ushort v5, v5, s[16:17] offset:512
.LBB342_11:
	s_or_b64 exec, exec, s[18:19]
	v_or_b32_e32 v6, 0x140, v0
	v_cmp_gt_u32_e32 vcc, s22, v6
                                        ; implicit-def: $vgpr6
	s_and_saveexec_b64 s[18:19], vcc
	s_cbranch_execz .LBB342_13
; %bb.12:
	v_lshlrev_b32_e32 v6, 1, v0
	global_load_ushort v6, v6, s[16:17] offset:640
.LBB342_13:
	s_or_b64 exec, exec, s[18:19]
	v_or_b32_e32 v7, 0x180, v0
	v_cmp_gt_u32_e32 vcc, s22, v7
                                        ; implicit-def: $vgpr7
	s_and_saveexec_b64 s[18:19], vcc
	s_cbranch_execz .LBB342_15
; %bb.14:
	v_lshlrev_b32_e32 v7, 1, v0
	global_load_ushort v7, v7, s[16:17] offset:768
.LBB342_15:
	s_or_b64 exec, exec, s[18:19]
	v_or_b32_e32 v8, 0x1c0, v0
	v_cmp_gt_u32_e32 vcc, s22, v8
                                        ; implicit-def: $vgpr8
	s_and_saveexec_b64 s[18:19], vcc
	s_cbranch_execz .LBB342_17
; %bb.16:
	v_lshlrev_b32_e32 v8, 1, v0
	global_load_ushort v8, v8, s[16:17] offset:896
.LBB342_17:
	s_or_b64 exec, exec, s[18:19]
	v_or_b32_e32 v9, 0x200, v0
	v_cmp_gt_u32_e32 vcc, s22, v9
                                        ; implicit-def: $vgpr9
	s_and_saveexec_b64 s[18:19], vcc
	s_cbranch_execz .LBB342_19
; %bb.18:
	v_lshlrev_b32_e32 v9, 1, v0
	global_load_ushort v9, v9, s[16:17] offset:1024
.LBB342_19:
	s_or_b64 exec, exec, s[18:19]
	v_or_b32_e32 v10, 0x240, v0
	v_cmp_gt_u32_e32 vcc, s22, v10
                                        ; implicit-def: $vgpr10
	s_and_saveexec_b64 s[18:19], vcc
	s_cbranch_execz .LBB342_21
; %bb.20:
	v_lshlrev_b32_e32 v10, 1, v0
	global_load_ushort v10, v10, s[16:17] offset:1152
.LBB342_21:
	s_or_b64 exec, exec, s[18:19]
	v_or_b32_e32 v11, 0x280, v0
	v_cmp_gt_u32_e32 vcc, s22, v11
                                        ; implicit-def: $vgpr11
	s_and_saveexec_b64 s[18:19], vcc
	s_cbranch_execz .LBB342_23
; %bb.22:
	v_lshlrev_b32_e32 v11, 1, v0
	global_load_ushort v11, v11, s[16:17] offset:1280
.LBB342_23:
	s_or_b64 exec, exec, s[18:19]
	v_or_b32_e32 v12, 0x2c0, v0
	v_cmp_gt_u32_e32 vcc, s22, v12
                                        ; implicit-def: $vgpr12
	s_and_saveexec_b64 s[18:19], vcc
	s_cbranch_execz .LBB342_25
; %bb.24:
	v_lshlrev_b32_e32 v12, 1, v0
	global_load_ushort v12, v12, s[16:17] offset:1408
.LBB342_25:
	s_or_b64 exec, exec, s[18:19]
	v_or_b32_e32 v13, 0x300, v0
	v_cmp_gt_u32_e32 vcc, s22, v13
                                        ; implicit-def: $vgpr13
	s_and_saveexec_b64 s[18:19], vcc
	s_cbranch_execz .LBB342_27
; %bb.26:
	v_lshlrev_b32_e32 v13, 1, v0
	global_load_ushort v13, v13, s[16:17] offset:1536
.LBB342_27:
	s_or_b64 exec, exec, s[18:19]
	v_or_b32_e32 v14, 0x340, v0
	v_cmp_gt_u32_e32 vcc, s22, v14
                                        ; implicit-def: $vgpr14
	s_and_saveexec_b64 s[18:19], vcc
	s_cbranch_execz .LBB342_29
; %bb.28:
	v_lshlrev_b32_e32 v14, 1, v0
	global_load_ushort v14, v14, s[16:17] offset:1664
.LBB342_29:
	s_or_b64 exec, exec, s[18:19]
	v_or_b32_e32 v15, 0x380, v0
	v_cmp_gt_u32_e32 vcc, s22, v15
                                        ; implicit-def: $vgpr15
	s_and_saveexec_b64 s[18:19], vcc
	s_cbranch_execz .LBB342_31
; %bb.30:
	v_lshlrev_b32_e32 v15, 1, v0
	global_load_ushort v15, v15, s[16:17] offset:1792
.LBB342_31:
	s_or_b64 exec, exec, s[18:19]
	v_or_b32_e32 v16, 0x3c0, v0
	v_cmp_gt_u32_e32 vcc, s22, v16
                                        ; implicit-def: $vgpr16
	s_and_saveexec_b64 s[18:19], vcc
	s_cbranch_execz .LBB342_33
; %bb.32:
	v_lshlrev_b32_e32 v16, 1, v0
	global_load_ushort v16, v16, s[16:17] offset:1920
.LBB342_33:
	s_or_b64 exec, exec, s[18:19]
	v_or_b32_e32 v17, 0x400, v0
	v_cmp_gt_u32_e32 vcc, s22, v17
                                        ; implicit-def: $vgpr17
	s_and_saveexec_b64 s[18:19], vcc
	s_cbranch_execz .LBB342_35
; %bb.34:
	v_lshlrev_b32_e32 v17, 1, v0
	global_load_ushort v17, v17, s[16:17] offset:2048
.LBB342_35:
	s_or_b64 exec, exec, s[18:19]
	v_lshlrev_b32_e32 v18, 1, v0
	s_mov_b64 s[16:17], 0
	s_waitcnt vmcnt(0)
	ds_write_b16 v18, v1
	ds_write_b16 v18, v2 offset:128
	ds_write_b16 v18, v3 offset:256
	;; [unrolled: 1-line block ×16, first 2 shown]
	s_waitcnt lgkmcnt(0)
	; wave barrier
.LBB342_36:
	s_and_b64 vcc, exec, s[16:17]
	v_lshlrev_b32_e32 v1, 1, v0
	s_cbranch_vccz .LBB342_38
; %bb.37:
	s_lshl_b64 s[16:17], s[4:5], 1
	s_add_u32 s16, s20, s16
	s_addc_u32 s17, s21, s17
	global_load_ushort v2, v1, s[16:17]
	global_load_ushort v3, v1, s[16:17] offset:128
	global_load_ushort v4, v1, s[16:17] offset:256
	;; [unrolled: 1-line block ×16, first 2 shown]
	s_waitcnt vmcnt(16)
	ds_write_b16 v1, v2
	s_waitcnt vmcnt(15)
	ds_write_b16 v1, v3 offset:128
	s_waitcnt vmcnt(14)
	ds_write_b16 v1, v4 offset:256
	;; [unrolled: 2-line block ×16, first 2 shown]
	s_waitcnt lgkmcnt(0)
	; wave barrier
.LBB342_38:
	v_mul_u32_u24_e32 v2, 17, v0
	v_lshlrev_b32_e32 v10, 1, v2
	s_waitcnt lgkmcnt(0)
	ds_read_b128 v[6:9], v10
	ds_read_b128 v[2:5], v10 offset:16
	ds_read_u16 v18, v10 offset:32
	s_cmp_eq_u64 s[6:7], 0
	s_waitcnt lgkmcnt(0)
	; wave barrier
	s_waitcnt lgkmcnt(0)
	s_cbranch_scc1 .LBB342_43
; %bb.39:
	s_lshl_b64 s[16:17], s[4:5], 1
	s_add_u32 s16, s20, s16
	s_addc_u32 s17, s21, s17
	v_mov_b32_e32 v10, 0
	global_load_ushort v20, v10, s[16:17] offset:-2
	s_cmp_eq_u64 s[6:7], s[8:9]
	s_cbranch_scc1 .LBB342_44
; %bb.40:
	v_cmp_ne_u32_e32 vcc, 0, v0
	s_waitcnt vmcnt(0)
	v_mov_b32_e32 v10, v20
	ds_write_b16 v1, v18
	s_waitcnt lgkmcnt(0)
	; wave barrier
	s_waitcnt lgkmcnt(0)
	s_and_saveexec_b64 s[8:9], vcc
	s_cbranch_execz .LBB342_42
; %bb.41:
	v_add_u32_e32 v10, -2, v1
	ds_read_u16 v10, v10
.LBB342_42:
	s_or_b64 exec, exec, s[8:9]
	s_waitcnt lgkmcnt(0)
	v_add_u16_e32 v19, v10, v6
	s_mov_b64 s[8:9], 0
	s_branch .LBB342_45
.LBB342_43:
                                        ; implicit-def: $vgpr10_vgpr11
                                        ; implicit-def: $vgpr12_vgpr13
                                        ; implicit-def: $vgpr14_vgpr15
                                        ; implicit-def: $vgpr16_vgpr17
                                        ; implicit-def: $vgpr19
	s_branch .LBB342_50
.LBB342_44:
	s_mov_b64 s[8:9], -1
                                        ; implicit-def: $vgpr19
.LBB342_45:
	s_and_b64 vcc, exec, s[8:9]
	v_pk_mov_b32 v[10:11], v[4:5], v[4:5] op_sel:[0,1]
	v_pk_mov_b32 v[12:13], v[2:3], v[2:3] op_sel:[0,1]
	;; [unrolled: 1-line block ×4, first 2 shown]
	s_cbranch_vccz .LBB342_49
; %bb.46:
	v_mul_u32_u24_e32 v19, 17, v0
	v_cmp_ne_u32_e32 vcc, 0, v0
	ds_write_b16 v1, v18
	s_waitcnt lgkmcnt(0)
	; wave barrier
	s_waitcnt lgkmcnt(0)
	s_and_saveexec_b64 s[8:9], vcc
	s_cbranch_execz .LBB342_48
; %bb.47:
	v_add_u32_e32 v10, -2, v1
	s_waitcnt vmcnt(0)
	ds_read_u16 v20, v10
.LBB342_48:
	s_or_b64 exec, exec, s[8:9]
	s_mul_i32 s5, s6, 0xfffffbc0
	s_add_i32 s5, s5, s14
	v_add_u32_e32 v10, 15, v19
	v_add_u32_e32 v11, 16, v19
	v_cmp_gt_u32_e32 vcc, s5, v10
	v_add_u32_e32 v12, 13, v19
	v_cndmask_b32_e32 v10, 0, v5, vcc
	v_lshrrev_b32_e32 v14, 16, v5
	v_cmp_gt_u32_e32 vcc, s5, v11
	v_add_u32_e32 v13, 14, v19
	v_cndmask_b32_e32 v11, 0, v14, vcc
	s_mov_b32 s6, 0x5040100
	v_cmp_gt_u32_e32 vcc, s5, v12
	v_perm_b32 v11, v11, v10, s6
	v_cndmask_b32_e32 v10, 0, v4, vcc
	v_lshrrev_b32_e32 v12, 16, v4
	v_cmp_gt_u32_e32 vcc, s5, v13
	v_cndmask_b32_e32 v12, 0, v12, vcc
	v_perm_b32 v10, v12, v10, s6
	v_add_u32_e32 v12, 11, v19
	v_add_u32_e32 v13, 12, v19
	v_cmp_gt_u32_e32 vcc, s5, v12
	v_add_u32_e32 v14, 9, v19
	v_cndmask_b32_e32 v12, 0, v3, vcc
	v_lshrrev_b32_e32 v16, 16, v3
	v_cmp_gt_u32_e32 vcc, s5, v13
	v_add_u32_e32 v15, 10, v19
	v_cndmask_b32_e32 v13, 0, v16, vcc
	v_cmp_gt_u32_e32 vcc, s5, v14
	v_perm_b32 v13, v13, v12, s6
	v_cndmask_b32_e32 v12, 0, v2, vcc
	v_lshrrev_b32_e32 v14, 16, v2
	v_cmp_gt_u32_e32 vcc, s5, v15
	v_cndmask_b32_e32 v14, 0, v14, vcc
	v_perm_b32 v12, v14, v12, s6
	v_add_u32_e32 v14, 7, v19
	v_add_u32_e32 v15, 8, v19
	v_cmp_gt_u32_e32 vcc, s5, v14
	v_add_u32_e32 v16, 5, v19
	v_cndmask_b32_e32 v14, 0, v9, vcc
	v_lshrrev_b32_e32 v21, 16, v9
	v_cmp_gt_u32_e32 vcc, s5, v15
	v_add_u32_e32 v17, 6, v19
	v_cndmask_b32_e32 v15, 0, v21, vcc
	;; [unrolled: 16-line block ×3, first 2 shown]
	v_cmp_gt_u32_e32 vcc, s5, v21
	v_perm_b32 v17, v17, v16, s6
	v_cndmask_b32_e32 v16, 0, v6, vcc
	v_lshrrev_b32_e32 v21, 16, v6
	v_cmp_gt_u32_e32 vcc, s5, v22
	v_cndmask_b32_e32 v21, 0, v21, vcc
	v_cmp_gt_u32_e32 vcc, s5, v19
	s_waitcnt vmcnt(0) lgkmcnt(0)
	v_cndmask_b32_e32 v19, 0, v20, vcc
	v_perm_b32 v16, v21, v16, s6
	v_add_u16_e32 v19, v19, v6
.LBB342_49:
	s_cbranch_execnz .LBB342_59
.LBB342_50:
	s_cmp_eq_u64 s[2:3], 1
	v_cmp_ne_u32_e32 vcc, 0, v0
	s_cbranch_scc1 .LBB342_54
; %bb.51:
	v_mov_b32_e32 v19, v6
	ds_write_b16 v1, v18
	s_waitcnt lgkmcnt(0)
	; wave barrier
	s_waitcnt lgkmcnt(0)
	s_and_saveexec_b64 s[2:3], vcc
	s_cbranch_execz .LBB342_53
; %bb.52:
	v_add_u32_e32 v10, -2, v1
	ds_read_u16 v10, v10
	s_waitcnt lgkmcnt(0)
	v_add_u16_e32 v19, v10, v6
.LBB342_53:
	s_or_b64 exec, exec, s[2:3]
	s_mov_b64 s[2:3], 0
	s_branch .LBB342_55
.LBB342_54:
	s_mov_b64 s[2:3], -1
                                        ; implicit-def: $vgpr19
.LBB342_55:
	s_andn2_b64 vcc, exec, s[2:3]
	v_pk_mov_b32 v[10:11], v[4:5], v[4:5] op_sel:[0,1]
	v_pk_mov_b32 v[12:13], v[2:3], v[2:3] op_sel:[0,1]
	v_pk_mov_b32 v[14:15], v[8:9], v[8:9] op_sel:[0,1]
	v_pk_mov_b32 v[16:17], v[6:7], v[6:7] op_sel:[0,1]
	s_cbranch_vccnz .LBB342_59
; %bb.56:
	v_mad_u32_u24 v10, v0, 17, 15
	v_mad_u32_u24 v11, v0, 17, 16
	v_cmp_gt_u32_e32 vcc, s14, v10
	v_mad_u32_u24 v12, v0, 17, 13
	v_cndmask_b32_e32 v10, 0, v5, vcc
	v_lshrrev_b32_e32 v14, 16, v5
	v_cmp_gt_u32_e32 vcc, s14, v11
	v_mad_u32_u24 v13, v0, 17, 14
	v_cndmask_b32_e32 v11, 0, v14, vcc
	s_mov_b32 s2, 0x5040100
	v_cmp_gt_u32_e32 vcc, s14, v12
	v_perm_b32 v11, v11, v10, s2
	v_cndmask_b32_e32 v10, 0, v4, vcc
	v_lshrrev_b32_e32 v12, 16, v4
	v_cmp_gt_u32_e32 vcc, s14, v13
	v_cndmask_b32_e32 v12, 0, v12, vcc
	v_perm_b32 v10, v12, v10, s2
	v_mad_u32_u24 v12, v0, 17, 11
	v_mad_u32_u24 v13, v0, 17, 12
	v_cmp_gt_u32_e32 vcc, s14, v12
	v_mad_u32_u24 v14, v0, 17, 9
	v_cndmask_b32_e32 v12, 0, v3, vcc
	v_lshrrev_b32_e32 v16, 16, v3
	v_cmp_gt_u32_e32 vcc, s14, v13
	v_mad_u32_u24 v15, v0, 17, 10
	v_cndmask_b32_e32 v13, 0, v16, vcc
	v_cmp_gt_u32_e32 vcc, s14, v14
	v_perm_b32 v13, v13, v12, s2
	v_cndmask_b32_e32 v12, 0, v2, vcc
	v_lshrrev_b32_e32 v14, 16, v2
	v_cmp_gt_u32_e32 vcc, s14, v15
	v_cndmask_b32_e32 v14, 0, v14, vcc
	v_perm_b32 v12, v14, v12, s2
	v_mad_u32_u24 v14, v0, 17, 7
	v_mad_u32_u24 v15, v0, 17, 8
	v_cmp_gt_u32_e32 vcc, s14, v14
	v_mad_u32_u24 v16, v0, 17, 5
	v_cndmask_b32_e32 v14, 0, v9, vcc
	s_waitcnt vmcnt(0)
	v_lshrrev_b32_e32 v20, 16, v9
	v_cmp_gt_u32_e32 vcc, s14, v15
	v_mad_u32_u24 v17, v0, 17, 6
	v_cndmask_b32_e32 v15, 0, v20, vcc
	v_cmp_gt_u32_e32 vcc, s14, v16
	v_perm_b32 v15, v15, v14, s2
	v_cndmask_b32_e32 v14, 0, v8, vcc
	v_lshrrev_b32_e32 v16, 16, v8
	v_cmp_gt_u32_e32 vcc, s14, v17
	v_cndmask_b32_e32 v16, 0, v16, vcc
	v_perm_b32 v14, v16, v14, s2
	v_mad_u32_u24 v16, v0, 17, 3
	v_mad_u32_u24 v17, v0, 17, 4
	v_cmp_gt_u32_e32 vcc, s14, v16
	v_mad_u32_u24 v20, v0, 17, 1
	v_cndmask_b32_e32 v16, 0, v7, vcc
	v_lshrrev_b32_e32 v22, 16, v7
	v_cmp_gt_u32_e32 vcc, s14, v17
	v_mad_u32_u24 v21, v0, 17, 2
	v_cndmask_b32_e32 v17, 0, v22, vcc
	v_cmp_gt_u32_e32 vcc, s14, v20
	v_perm_b32 v17, v17, v16, s2
	v_cndmask_b32_e32 v16, 0, v6, vcc
	v_lshrrev_b32_e32 v20, 16, v6
	v_cmp_gt_u32_e32 vcc, s14, v21
	v_mul_u32_u24_e32 v19, 17, v0
	v_cndmask_b32_e32 v20, 0, v20, vcc
	v_perm_b32 v16, v20, v16, s2
	v_cmp_ne_u32_e32 vcc, 0, v0
	v_cmp_gt_u32_e64 s[2:3], s14, v19
	s_and_b64 s[6:7], vcc, s[2:3]
	v_mov_b32_e32 v19, v6
	ds_write_b16 v1, v18
	s_waitcnt lgkmcnt(0)
	; wave barrier
	s_waitcnt lgkmcnt(0)
	s_and_saveexec_b64 s[2:3], s[6:7]
	s_cbranch_execz .LBB342_58
; %bb.57:
	v_add_u32_e32 v19, -2, v1
	ds_read_u16 v19, v19
	s_waitcnt lgkmcnt(0)
	v_add_u16_e32 v19, v19, v6
.LBB342_58:
	s_or_b64 exec, exec, s[2:3]
.LBB342_59:
	s_add_u32 s6, s12, s10
	v_alignbit_b32 v6, v7, v6, 16
	v_alignbit_b32 v7, v8, v7, 16
	;; [unrolled: 1-line block ×8, first 2 shown]
	s_addc_u32 s7, s13, s11
	v_pk_add_u16 v7, v17, v7
	v_pk_add_u16 v6, v16, v6
	;; [unrolled: 1-line block ×8, first 2 shown]
	s_and_b64 vcc, exec, s[0:1]
	v_mul_u32_u24_e32 v12, 34, v0
	v_lshlrev_b32_e32 v13, 5, v0
	s_waitcnt lgkmcnt(0)
	; wave barrier
	s_cbranch_vccz .LBB342_93
; %bb.60:
	v_sub_u32_e32 v10, v12, v13
	ds_write_b16 v12, v19
	ds_write_b128 v12, v[6:9] offset:2
	ds_write_b128 v12, v[2:5] offset:18
	s_waitcnt lgkmcnt(0)
	; wave barrier
	s_waitcnt lgkmcnt(0)
	ds_read_u16 v30, v10 offset:128
	ds_read_u16 v29, v10 offset:256
	;; [unrolled: 1-line block ×10, first 2 shown]
	s_waitcnt vmcnt(0)
	ds_read_u16 v20, v10 offset:1408
	ds_read_u16 v18, v10 offset:1536
	;; [unrolled: 1-line block ×6, first 2 shown]
	s_mov_b32 s5, 0
	s_add_i32 s15, s15, s14
	s_lshl_b64 s[0:1], s[4:5], 1
	s_add_u32 s0, s6, s0
	s_addc_u32 s1, s7, s1
	v_mov_b32_e32 v11, s1
	v_add_co_u32_e32 v10, vcc, s0, v1
	v_addc_co_u32_e32 v11, vcc, 0, v11, vcc
	v_cmp_gt_u32_e32 vcc, s15, v0
	s_and_saveexec_b64 s[0:1], vcc
	s_cbranch_execz .LBB342_62
; %bb.61:
	v_sub_u32_e32 v31, 0, v13
	v_add_u32_e32 v31, v12, v31
	ds_read_u16 v31, v31
	s_waitcnt lgkmcnt(0)
	global_store_short v[10:11], v31, off
.LBB342_62:
	s_or_b64 exec, exec, s[0:1]
	v_or_b32_e32 v31, 64, v0
	v_cmp_gt_u32_e32 vcc, s15, v31
	s_and_saveexec_b64 s[0:1], vcc
	s_cbranch_execz .LBB342_64
; %bb.63:
	s_waitcnt lgkmcnt(14)
	global_store_short v[10:11], v30, off offset:128
.LBB342_64:
	s_or_b64 exec, exec, s[0:1]
	s_waitcnt lgkmcnt(14)
	v_or_b32_e32 v30, 0x80, v0
	v_cmp_gt_u32_e32 vcc, s15, v30
	s_and_saveexec_b64 s[0:1], vcc
	s_cbranch_execz .LBB342_66
; %bb.65:
	global_store_short v[10:11], v29, off offset:256
.LBB342_66:
	s_or_b64 exec, exec, s[0:1]
	v_or_b32_e32 v29, 0xc0, v0
	v_cmp_gt_u32_e32 vcc, s15, v29
	s_and_saveexec_b64 s[0:1], vcc
	s_cbranch_execz .LBB342_68
; %bb.67:
	s_waitcnt lgkmcnt(13)
	global_store_short v[10:11], v28, off offset:384
.LBB342_68:
	s_or_b64 exec, exec, s[0:1]
	s_waitcnt lgkmcnt(13)
	v_or_b32_e32 v28, 0x100, v0
	v_cmp_gt_u32_e32 vcc, s15, v28
	s_and_saveexec_b64 s[0:1], vcc
	s_cbranch_execz .LBB342_70
; %bb.69:
	s_waitcnt lgkmcnt(12)
	global_store_short v[10:11], v27, off offset:512
.LBB342_70:
	s_or_b64 exec, exec, s[0:1]
	s_waitcnt lgkmcnt(12)
	;; [unrolled: 10-line block ×12, first 2 shown]
	v_or_b32_e32 v16, 0x3c0, v0
	v_cmp_gt_u32_e32 vcc, s15, v16
	s_and_saveexec_b64 s[0:1], vcc
	s_cbranch_execz .LBB342_92
; %bb.91:
	s_waitcnt lgkmcnt(1)
	global_store_short v[10:11], v15, off offset:1920
.LBB342_92:
	s_or_b64 exec, exec, s[0:1]
	v_or_b32_e32 v0, 0x400, v0
	v_cmp_gt_u32_e64 s[0:1], s15, v0
	s_branch .LBB342_95
.LBB342_93:
	s_mov_b64 s[0:1], 0
                                        ; implicit-def: $vgpr14
                                        ; implicit-def: $vgpr10_vgpr11
	s_cbranch_execz .LBB342_95
; %bb.94:
	s_mov_b32 s5, 0
	s_lshl_b64 s[2:3], s[4:5], 1
	v_sub_u32_e32 v0, v12, v13
	s_add_u32 s2, s6, s2
	ds_write_b16 v12, v19
	ds_write_b128 v12, v[6:9] offset:2
	ds_write_b128 v12, v[2:5] offset:18
	s_waitcnt lgkmcnt(0)
	; wave barrier
	s_waitcnt lgkmcnt(0)
	ds_read_u16 v2, v0
	ds_read_u16 v3, v0 offset:128
	ds_read_u16 v4, v0 offset:256
	;; [unrolled: 1-line block ×14, first 2 shown]
	s_waitcnt vmcnt(0)
	ds_read_u16 v20, v0 offset:1920
	ds_read_u16 v14, v0 offset:2048
	s_addc_u32 s3, s7, s3
	v_mov_b32_e32 v0, s3
	v_add_co_u32_e32 v10, vcc, s2, v1
	v_addc_co_u32_e32 v11, vcc, 0, v0, vcc
	s_or_b64 s[0:1], s[0:1], exec
	s_waitcnt lgkmcnt(14)
	global_store_short v1, v2, s[2:3]
	global_store_short v1, v3, s[2:3] offset:128
	global_store_short v1, v4, s[2:3] offset:256
	s_waitcnt lgkmcnt(13)
	global_store_short v1, v5, s[2:3] offset:384
	s_waitcnt lgkmcnt(12)
	;; [unrolled: 2-line block ×13, first 2 shown]
	global_store_short v1, v20, s[2:3] offset:1920
.LBB342_95:
	s_and_saveexec_b64 s[2:3], s[0:1]
	s_cbranch_execnz .LBB342_97
; %bb.96:
	s_endpgm
.LBB342_97:
	s_waitcnt lgkmcnt(0)
	global_store_short v[10:11], v14, off offset:2048
	s_endpgm
	.section	.rodata,"a",@progbits
	.p2align	6, 0x0
	.amdhsa_kernel _ZN7rocprim17ROCPRIM_400000_NS6detail17trampoline_kernelINS0_14default_configENS1_35adjacent_difference_config_selectorILb0EtEEZNS1_24adjacent_difference_implIS3_Lb0ELb0EPtS7_N6thrust23THRUST_200600_302600_NS4plusItEEEE10hipError_tPvRmT2_T3_mT4_P12ihipStream_tbEUlT_E_NS1_11comp_targetILNS1_3genE4ELNS1_11target_archE910ELNS1_3gpuE8ELNS1_3repE0EEENS1_30default_config_static_selectorELNS0_4arch9wavefront6targetE1EEEvT1_
		.amdhsa_group_segment_fixed_size 2176
		.amdhsa_private_segment_fixed_size 0
		.amdhsa_kernarg_size 56
		.amdhsa_user_sgpr_count 6
		.amdhsa_user_sgpr_private_segment_buffer 1
		.amdhsa_user_sgpr_dispatch_ptr 0
		.amdhsa_user_sgpr_queue_ptr 0
		.amdhsa_user_sgpr_kernarg_segment_ptr 1
		.amdhsa_user_sgpr_dispatch_id 0
		.amdhsa_user_sgpr_flat_scratch_init 0
		.amdhsa_user_sgpr_kernarg_preload_length 0
		.amdhsa_user_sgpr_kernarg_preload_offset 0
		.amdhsa_user_sgpr_private_segment_size 0
		.amdhsa_uses_dynamic_stack 0
		.amdhsa_system_sgpr_private_segment_wavefront_offset 0
		.amdhsa_system_sgpr_workgroup_id_x 1
		.amdhsa_system_sgpr_workgroup_id_y 0
		.amdhsa_system_sgpr_workgroup_id_z 0
		.amdhsa_system_sgpr_workgroup_info 0
		.amdhsa_system_vgpr_workitem_id 0
		.amdhsa_next_free_vgpr 32
		.amdhsa_next_free_sgpr 23
		.amdhsa_accum_offset 32
		.amdhsa_reserve_vcc 1
		.amdhsa_reserve_flat_scratch 0
		.amdhsa_float_round_mode_32 0
		.amdhsa_float_round_mode_16_64 0
		.amdhsa_float_denorm_mode_32 3
		.amdhsa_float_denorm_mode_16_64 3
		.amdhsa_dx10_clamp 1
		.amdhsa_ieee_mode 1
		.amdhsa_fp16_overflow 0
		.amdhsa_tg_split 0
		.amdhsa_exception_fp_ieee_invalid_op 0
		.amdhsa_exception_fp_denorm_src 0
		.amdhsa_exception_fp_ieee_div_zero 0
		.amdhsa_exception_fp_ieee_overflow 0
		.amdhsa_exception_fp_ieee_underflow 0
		.amdhsa_exception_fp_ieee_inexact 0
		.amdhsa_exception_int_div_zero 0
	.end_amdhsa_kernel
	.section	.text._ZN7rocprim17ROCPRIM_400000_NS6detail17trampoline_kernelINS0_14default_configENS1_35adjacent_difference_config_selectorILb0EtEEZNS1_24adjacent_difference_implIS3_Lb0ELb0EPtS7_N6thrust23THRUST_200600_302600_NS4plusItEEEE10hipError_tPvRmT2_T3_mT4_P12ihipStream_tbEUlT_E_NS1_11comp_targetILNS1_3genE4ELNS1_11target_archE910ELNS1_3gpuE8ELNS1_3repE0EEENS1_30default_config_static_selectorELNS0_4arch9wavefront6targetE1EEEvT1_,"axG",@progbits,_ZN7rocprim17ROCPRIM_400000_NS6detail17trampoline_kernelINS0_14default_configENS1_35adjacent_difference_config_selectorILb0EtEEZNS1_24adjacent_difference_implIS3_Lb0ELb0EPtS7_N6thrust23THRUST_200600_302600_NS4plusItEEEE10hipError_tPvRmT2_T3_mT4_P12ihipStream_tbEUlT_E_NS1_11comp_targetILNS1_3genE4ELNS1_11target_archE910ELNS1_3gpuE8ELNS1_3repE0EEENS1_30default_config_static_selectorELNS0_4arch9wavefront6targetE1EEEvT1_,comdat
.Lfunc_end342:
	.size	_ZN7rocprim17ROCPRIM_400000_NS6detail17trampoline_kernelINS0_14default_configENS1_35adjacent_difference_config_selectorILb0EtEEZNS1_24adjacent_difference_implIS3_Lb0ELb0EPtS7_N6thrust23THRUST_200600_302600_NS4plusItEEEE10hipError_tPvRmT2_T3_mT4_P12ihipStream_tbEUlT_E_NS1_11comp_targetILNS1_3genE4ELNS1_11target_archE910ELNS1_3gpuE8ELNS1_3repE0EEENS1_30default_config_static_selectorELNS0_4arch9wavefront6targetE1EEEvT1_, .Lfunc_end342-_ZN7rocprim17ROCPRIM_400000_NS6detail17trampoline_kernelINS0_14default_configENS1_35adjacent_difference_config_selectorILb0EtEEZNS1_24adjacent_difference_implIS3_Lb0ELb0EPtS7_N6thrust23THRUST_200600_302600_NS4plusItEEEE10hipError_tPvRmT2_T3_mT4_P12ihipStream_tbEUlT_E_NS1_11comp_targetILNS1_3genE4ELNS1_11target_archE910ELNS1_3gpuE8ELNS1_3repE0EEENS1_30default_config_static_selectorELNS0_4arch9wavefront6targetE1EEEvT1_
                                        ; -- End function
	.section	.AMDGPU.csdata,"",@progbits
; Kernel info:
; codeLenInByte = 4204
; NumSgprs: 27
; NumVgprs: 32
; NumAgprs: 0
; TotalNumVgprs: 32
; ScratchSize: 0
; MemoryBound: 0
; FloatMode: 240
; IeeeMode: 1
; LDSByteSize: 2176 bytes/workgroup (compile time only)
; SGPRBlocks: 3
; VGPRBlocks: 3
; NumSGPRsForWavesPerEU: 27
; NumVGPRsForWavesPerEU: 32
; AccumOffset: 32
; Occupancy: 8
; WaveLimiterHint : 1
; COMPUTE_PGM_RSRC2:SCRATCH_EN: 0
; COMPUTE_PGM_RSRC2:USER_SGPR: 6
; COMPUTE_PGM_RSRC2:TRAP_HANDLER: 0
; COMPUTE_PGM_RSRC2:TGID_X_EN: 1
; COMPUTE_PGM_RSRC2:TGID_Y_EN: 0
; COMPUTE_PGM_RSRC2:TGID_Z_EN: 0
; COMPUTE_PGM_RSRC2:TIDIG_COMP_CNT: 0
; COMPUTE_PGM_RSRC3_GFX90A:ACCUM_OFFSET: 7
; COMPUTE_PGM_RSRC3_GFX90A:TG_SPLIT: 0
	.section	.text._ZN7rocprim17ROCPRIM_400000_NS6detail17trampoline_kernelINS0_14default_configENS1_35adjacent_difference_config_selectorILb0EtEEZNS1_24adjacent_difference_implIS3_Lb0ELb0EPtS7_N6thrust23THRUST_200600_302600_NS4plusItEEEE10hipError_tPvRmT2_T3_mT4_P12ihipStream_tbEUlT_E_NS1_11comp_targetILNS1_3genE3ELNS1_11target_archE908ELNS1_3gpuE7ELNS1_3repE0EEENS1_30default_config_static_selectorELNS0_4arch9wavefront6targetE1EEEvT1_,"axG",@progbits,_ZN7rocprim17ROCPRIM_400000_NS6detail17trampoline_kernelINS0_14default_configENS1_35adjacent_difference_config_selectorILb0EtEEZNS1_24adjacent_difference_implIS3_Lb0ELb0EPtS7_N6thrust23THRUST_200600_302600_NS4plusItEEEE10hipError_tPvRmT2_T3_mT4_P12ihipStream_tbEUlT_E_NS1_11comp_targetILNS1_3genE3ELNS1_11target_archE908ELNS1_3gpuE7ELNS1_3repE0EEENS1_30default_config_static_selectorELNS0_4arch9wavefront6targetE1EEEvT1_,comdat
	.protected	_ZN7rocprim17ROCPRIM_400000_NS6detail17trampoline_kernelINS0_14default_configENS1_35adjacent_difference_config_selectorILb0EtEEZNS1_24adjacent_difference_implIS3_Lb0ELb0EPtS7_N6thrust23THRUST_200600_302600_NS4plusItEEEE10hipError_tPvRmT2_T3_mT4_P12ihipStream_tbEUlT_E_NS1_11comp_targetILNS1_3genE3ELNS1_11target_archE908ELNS1_3gpuE7ELNS1_3repE0EEENS1_30default_config_static_selectorELNS0_4arch9wavefront6targetE1EEEvT1_ ; -- Begin function _ZN7rocprim17ROCPRIM_400000_NS6detail17trampoline_kernelINS0_14default_configENS1_35adjacent_difference_config_selectorILb0EtEEZNS1_24adjacent_difference_implIS3_Lb0ELb0EPtS7_N6thrust23THRUST_200600_302600_NS4plusItEEEE10hipError_tPvRmT2_T3_mT4_P12ihipStream_tbEUlT_E_NS1_11comp_targetILNS1_3genE3ELNS1_11target_archE908ELNS1_3gpuE7ELNS1_3repE0EEENS1_30default_config_static_selectorELNS0_4arch9wavefront6targetE1EEEvT1_
	.globl	_ZN7rocprim17ROCPRIM_400000_NS6detail17trampoline_kernelINS0_14default_configENS1_35adjacent_difference_config_selectorILb0EtEEZNS1_24adjacent_difference_implIS3_Lb0ELb0EPtS7_N6thrust23THRUST_200600_302600_NS4plusItEEEE10hipError_tPvRmT2_T3_mT4_P12ihipStream_tbEUlT_E_NS1_11comp_targetILNS1_3genE3ELNS1_11target_archE908ELNS1_3gpuE7ELNS1_3repE0EEENS1_30default_config_static_selectorELNS0_4arch9wavefront6targetE1EEEvT1_
	.p2align	8
	.type	_ZN7rocprim17ROCPRIM_400000_NS6detail17trampoline_kernelINS0_14default_configENS1_35adjacent_difference_config_selectorILb0EtEEZNS1_24adjacent_difference_implIS3_Lb0ELb0EPtS7_N6thrust23THRUST_200600_302600_NS4plusItEEEE10hipError_tPvRmT2_T3_mT4_P12ihipStream_tbEUlT_E_NS1_11comp_targetILNS1_3genE3ELNS1_11target_archE908ELNS1_3gpuE7ELNS1_3repE0EEENS1_30default_config_static_selectorELNS0_4arch9wavefront6targetE1EEEvT1_,@function
_ZN7rocprim17ROCPRIM_400000_NS6detail17trampoline_kernelINS0_14default_configENS1_35adjacent_difference_config_selectorILb0EtEEZNS1_24adjacent_difference_implIS3_Lb0ELb0EPtS7_N6thrust23THRUST_200600_302600_NS4plusItEEEE10hipError_tPvRmT2_T3_mT4_P12ihipStream_tbEUlT_E_NS1_11comp_targetILNS1_3genE3ELNS1_11target_archE908ELNS1_3gpuE7ELNS1_3repE0EEENS1_30default_config_static_selectorELNS0_4arch9wavefront6targetE1EEEvT1_: ; @_ZN7rocprim17ROCPRIM_400000_NS6detail17trampoline_kernelINS0_14default_configENS1_35adjacent_difference_config_selectorILb0EtEEZNS1_24adjacent_difference_implIS3_Lb0ELb0EPtS7_N6thrust23THRUST_200600_302600_NS4plusItEEEE10hipError_tPvRmT2_T3_mT4_P12ihipStream_tbEUlT_E_NS1_11comp_targetILNS1_3genE3ELNS1_11target_archE908ELNS1_3gpuE7ELNS1_3repE0EEENS1_30default_config_static_selectorELNS0_4arch9wavefront6targetE1EEEvT1_
; %bb.0:
	.section	.rodata,"a",@progbits
	.p2align	6, 0x0
	.amdhsa_kernel _ZN7rocprim17ROCPRIM_400000_NS6detail17trampoline_kernelINS0_14default_configENS1_35adjacent_difference_config_selectorILb0EtEEZNS1_24adjacent_difference_implIS3_Lb0ELb0EPtS7_N6thrust23THRUST_200600_302600_NS4plusItEEEE10hipError_tPvRmT2_T3_mT4_P12ihipStream_tbEUlT_E_NS1_11comp_targetILNS1_3genE3ELNS1_11target_archE908ELNS1_3gpuE7ELNS1_3repE0EEENS1_30default_config_static_selectorELNS0_4arch9wavefront6targetE1EEEvT1_
		.amdhsa_group_segment_fixed_size 0
		.amdhsa_private_segment_fixed_size 0
		.amdhsa_kernarg_size 56
		.amdhsa_user_sgpr_count 6
		.amdhsa_user_sgpr_private_segment_buffer 1
		.amdhsa_user_sgpr_dispatch_ptr 0
		.amdhsa_user_sgpr_queue_ptr 0
		.amdhsa_user_sgpr_kernarg_segment_ptr 1
		.amdhsa_user_sgpr_dispatch_id 0
		.amdhsa_user_sgpr_flat_scratch_init 0
		.amdhsa_user_sgpr_kernarg_preload_length 0
		.amdhsa_user_sgpr_kernarg_preload_offset 0
		.amdhsa_user_sgpr_private_segment_size 0
		.amdhsa_uses_dynamic_stack 0
		.amdhsa_system_sgpr_private_segment_wavefront_offset 0
		.amdhsa_system_sgpr_workgroup_id_x 1
		.amdhsa_system_sgpr_workgroup_id_y 0
		.amdhsa_system_sgpr_workgroup_id_z 0
		.amdhsa_system_sgpr_workgroup_info 0
		.amdhsa_system_vgpr_workitem_id 0
		.amdhsa_next_free_vgpr 1
		.amdhsa_next_free_sgpr 0
		.amdhsa_accum_offset 4
		.amdhsa_reserve_vcc 0
		.amdhsa_reserve_flat_scratch 0
		.amdhsa_float_round_mode_32 0
		.amdhsa_float_round_mode_16_64 0
		.amdhsa_float_denorm_mode_32 3
		.amdhsa_float_denorm_mode_16_64 3
		.amdhsa_dx10_clamp 1
		.amdhsa_ieee_mode 1
		.amdhsa_fp16_overflow 0
		.amdhsa_tg_split 0
		.amdhsa_exception_fp_ieee_invalid_op 0
		.amdhsa_exception_fp_denorm_src 0
		.amdhsa_exception_fp_ieee_div_zero 0
		.amdhsa_exception_fp_ieee_overflow 0
		.amdhsa_exception_fp_ieee_underflow 0
		.amdhsa_exception_fp_ieee_inexact 0
		.amdhsa_exception_int_div_zero 0
	.end_amdhsa_kernel
	.section	.text._ZN7rocprim17ROCPRIM_400000_NS6detail17trampoline_kernelINS0_14default_configENS1_35adjacent_difference_config_selectorILb0EtEEZNS1_24adjacent_difference_implIS3_Lb0ELb0EPtS7_N6thrust23THRUST_200600_302600_NS4plusItEEEE10hipError_tPvRmT2_T3_mT4_P12ihipStream_tbEUlT_E_NS1_11comp_targetILNS1_3genE3ELNS1_11target_archE908ELNS1_3gpuE7ELNS1_3repE0EEENS1_30default_config_static_selectorELNS0_4arch9wavefront6targetE1EEEvT1_,"axG",@progbits,_ZN7rocprim17ROCPRIM_400000_NS6detail17trampoline_kernelINS0_14default_configENS1_35adjacent_difference_config_selectorILb0EtEEZNS1_24adjacent_difference_implIS3_Lb0ELb0EPtS7_N6thrust23THRUST_200600_302600_NS4plusItEEEE10hipError_tPvRmT2_T3_mT4_P12ihipStream_tbEUlT_E_NS1_11comp_targetILNS1_3genE3ELNS1_11target_archE908ELNS1_3gpuE7ELNS1_3repE0EEENS1_30default_config_static_selectorELNS0_4arch9wavefront6targetE1EEEvT1_,comdat
.Lfunc_end343:
	.size	_ZN7rocprim17ROCPRIM_400000_NS6detail17trampoline_kernelINS0_14default_configENS1_35adjacent_difference_config_selectorILb0EtEEZNS1_24adjacent_difference_implIS3_Lb0ELb0EPtS7_N6thrust23THRUST_200600_302600_NS4plusItEEEE10hipError_tPvRmT2_T3_mT4_P12ihipStream_tbEUlT_E_NS1_11comp_targetILNS1_3genE3ELNS1_11target_archE908ELNS1_3gpuE7ELNS1_3repE0EEENS1_30default_config_static_selectorELNS0_4arch9wavefront6targetE1EEEvT1_, .Lfunc_end343-_ZN7rocprim17ROCPRIM_400000_NS6detail17trampoline_kernelINS0_14default_configENS1_35adjacent_difference_config_selectorILb0EtEEZNS1_24adjacent_difference_implIS3_Lb0ELb0EPtS7_N6thrust23THRUST_200600_302600_NS4plusItEEEE10hipError_tPvRmT2_T3_mT4_P12ihipStream_tbEUlT_E_NS1_11comp_targetILNS1_3genE3ELNS1_11target_archE908ELNS1_3gpuE7ELNS1_3repE0EEENS1_30default_config_static_selectorELNS0_4arch9wavefront6targetE1EEEvT1_
                                        ; -- End function
	.section	.AMDGPU.csdata,"",@progbits
; Kernel info:
; codeLenInByte = 0
; NumSgprs: 4
; NumVgprs: 0
; NumAgprs: 0
; TotalNumVgprs: 0
; ScratchSize: 0
; MemoryBound: 0
; FloatMode: 240
; IeeeMode: 1
; LDSByteSize: 0 bytes/workgroup (compile time only)
; SGPRBlocks: 0
; VGPRBlocks: 0
; NumSGPRsForWavesPerEU: 4
; NumVGPRsForWavesPerEU: 1
; AccumOffset: 4
; Occupancy: 8
; WaveLimiterHint : 0
; COMPUTE_PGM_RSRC2:SCRATCH_EN: 0
; COMPUTE_PGM_RSRC2:USER_SGPR: 6
; COMPUTE_PGM_RSRC2:TRAP_HANDLER: 0
; COMPUTE_PGM_RSRC2:TGID_X_EN: 1
; COMPUTE_PGM_RSRC2:TGID_Y_EN: 0
; COMPUTE_PGM_RSRC2:TGID_Z_EN: 0
; COMPUTE_PGM_RSRC2:TIDIG_COMP_CNT: 0
; COMPUTE_PGM_RSRC3_GFX90A:ACCUM_OFFSET: 0
; COMPUTE_PGM_RSRC3_GFX90A:TG_SPLIT: 0
	.section	.text._ZN7rocprim17ROCPRIM_400000_NS6detail17trampoline_kernelINS0_14default_configENS1_35adjacent_difference_config_selectorILb0EtEEZNS1_24adjacent_difference_implIS3_Lb0ELb0EPtS7_N6thrust23THRUST_200600_302600_NS4plusItEEEE10hipError_tPvRmT2_T3_mT4_P12ihipStream_tbEUlT_E_NS1_11comp_targetILNS1_3genE2ELNS1_11target_archE906ELNS1_3gpuE6ELNS1_3repE0EEENS1_30default_config_static_selectorELNS0_4arch9wavefront6targetE1EEEvT1_,"axG",@progbits,_ZN7rocprim17ROCPRIM_400000_NS6detail17trampoline_kernelINS0_14default_configENS1_35adjacent_difference_config_selectorILb0EtEEZNS1_24adjacent_difference_implIS3_Lb0ELb0EPtS7_N6thrust23THRUST_200600_302600_NS4plusItEEEE10hipError_tPvRmT2_T3_mT4_P12ihipStream_tbEUlT_E_NS1_11comp_targetILNS1_3genE2ELNS1_11target_archE906ELNS1_3gpuE6ELNS1_3repE0EEENS1_30default_config_static_selectorELNS0_4arch9wavefront6targetE1EEEvT1_,comdat
	.protected	_ZN7rocprim17ROCPRIM_400000_NS6detail17trampoline_kernelINS0_14default_configENS1_35adjacent_difference_config_selectorILb0EtEEZNS1_24adjacent_difference_implIS3_Lb0ELb0EPtS7_N6thrust23THRUST_200600_302600_NS4plusItEEEE10hipError_tPvRmT2_T3_mT4_P12ihipStream_tbEUlT_E_NS1_11comp_targetILNS1_3genE2ELNS1_11target_archE906ELNS1_3gpuE6ELNS1_3repE0EEENS1_30default_config_static_selectorELNS0_4arch9wavefront6targetE1EEEvT1_ ; -- Begin function _ZN7rocprim17ROCPRIM_400000_NS6detail17trampoline_kernelINS0_14default_configENS1_35adjacent_difference_config_selectorILb0EtEEZNS1_24adjacent_difference_implIS3_Lb0ELb0EPtS7_N6thrust23THRUST_200600_302600_NS4plusItEEEE10hipError_tPvRmT2_T3_mT4_P12ihipStream_tbEUlT_E_NS1_11comp_targetILNS1_3genE2ELNS1_11target_archE906ELNS1_3gpuE6ELNS1_3repE0EEENS1_30default_config_static_selectorELNS0_4arch9wavefront6targetE1EEEvT1_
	.globl	_ZN7rocprim17ROCPRIM_400000_NS6detail17trampoline_kernelINS0_14default_configENS1_35adjacent_difference_config_selectorILb0EtEEZNS1_24adjacent_difference_implIS3_Lb0ELb0EPtS7_N6thrust23THRUST_200600_302600_NS4plusItEEEE10hipError_tPvRmT2_T3_mT4_P12ihipStream_tbEUlT_E_NS1_11comp_targetILNS1_3genE2ELNS1_11target_archE906ELNS1_3gpuE6ELNS1_3repE0EEENS1_30default_config_static_selectorELNS0_4arch9wavefront6targetE1EEEvT1_
	.p2align	8
	.type	_ZN7rocprim17ROCPRIM_400000_NS6detail17trampoline_kernelINS0_14default_configENS1_35adjacent_difference_config_selectorILb0EtEEZNS1_24adjacent_difference_implIS3_Lb0ELb0EPtS7_N6thrust23THRUST_200600_302600_NS4plusItEEEE10hipError_tPvRmT2_T3_mT4_P12ihipStream_tbEUlT_E_NS1_11comp_targetILNS1_3genE2ELNS1_11target_archE906ELNS1_3gpuE6ELNS1_3repE0EEENS1_30default_config_static_selectorELNS0_4arch9wavefront6targetE1EEEvT1_,@function
_ZN7rocprim17ROCPRIM_400000_NS6detail17trampoline_kernelINS0_14default_configENS1_35adjacent_difference_config_selectorILb0EtEEZNS1_24adjacent_difference_implIS3_Lb0ELb0EPtS7_N6thrust23THRUST_200600_302600_NS4plusItEEEE10hipError_tPvRmT2_T3_mT4_P12ihipStream_tbEUlT_E_NS1_11comp_targetILNS1_3genE2ELNS1_11target_archE906ELNS1_3gpuE6ELNS1_3repE0EEENS1_30default_config_static_selectorELNS0_4arch9wavefront6targetE1EEEvT1_: ; @_ZN7rocprim17ROCPRIM_400000_NS6detail17trampoline_kernelINS0_14default_configENS1_35adjacent_difference_config_selectorILb0EtEEZNS1_24adjacent_difference_implIS3_Lb0ELb0EPtS7_N6thrust23THRUST_200600_302600_NS4plusItEEEE10hipError_tPvRmT2_T3_mT4_P12ihipStream_tbEUlT_E_NS1_11comp_targetILNS1_3genE2ELNS1_11target_archE906ELNS1_3gpuE6ELNS1_3repE0EEENS1_30default_config_static_selectorELNS0_4arch9wavefront6targetE1EEEvT1_
; %bb.0:
	.section	.rodata,"a",@progbits
	.p2align	6, 0x0
	.amdhsa_kernel _ZN7rocprim17ROCPRIM_400000_NS6detail17trampoline_kernelINS0_14default_configENS1_35adjacent_difference_config_selectorILb0EtEEZNS1_24adjacent_difference_implIS3_Lb0ELb0EPtS7_N6thrust23THRUST_200600_302600_NS4plusItEEEE10hipError_tPvRmT2_T3_mT4_P12ihipStream_tbEUlT_E_NS1_11comp_targetILNS1_3genE2ELNS1_11target_archE906ELNS1_3gpuE6ELNS1_3repE0EEENS1_30default_config_static_selectorELNS0_4arch9wavefront6targetE1EEEvT1_
		.amdhsa_group_segment_fixed_size 0
		.amdhsa_private_segment_fixed_size 0
		.amdhsa_kernarg_size 56
		.amdhsa_user_sgpr_count 6
		.amdhsa_user_sgpr_private_segment_buffer 1
		.amdhsa_user_sgpr_dispatch_ptr 0
		.amdhsa_user_sgpr_queue_ptr 0
		.amdhsa_user_sgpr_kernarg_segment_ptr 1
		.amdhsa_user_sgpr_dispatch_id 0
		.amdhsa_user_sgpr_flat_scratch_init 0
		.amdhsa_user_sgpr_kernarg_preload_length 0
		.amdhsa_user_sgpr_kernarg_preload_offset 0
		.amdhsa_user_sgpr_private_segment_size 0
		.amdhsa_uses_dynamic_stack 0
		.amdhsa_system_sgpr_private_segment_wavefront_offset 0
		.amdhsa_system_sgpr_workgroup_id_x 1
		.amdhsa_system_sgpr_workgroup_id_y 0
		.amdhsa_system_sgpr_workgroup_id_z 0
		.amdhsa_system_sgpr_workgroup_info 0
		.amdhsa_system_vgpr_workitem_id 0
		.amdhsa_next_free_vgpr 1
		.amdhsa_next_free_sgpr 0
		.amdhsa_accum_offset 4
		.amdhsa_reserve_vcc 0
		.amdhsa_reserve_flat_scratch 0
		.amdhsa_float_round_mode_32 0
		.amdhsa_float_round_mode_16_64 0
		.amdhsa_float_denorm_mode_32 3
		.amdhsa_float_denorm_mode_16_64 3
		.amdhsa_dx10_clamp 1
		.amdhsa_ieee_mode 1
		.amdhsa_fp16_overflow 0
		.amdhsa_tg_split 0
		.amdhsa_exception_fp_ieee_invalid_op 0
		.amdhsa_exception_fp_denorm_src 0
		.amdhsa_exception_fp_ieee_div_zero 0
		.amdhsa_exception_fp_ieee_overflow 0
		.amdhsa_exception_fp_ieee_underflow 0
		.amdhsa_exception_fp_ieee_inexact 0
		.amdhsa_exception_int_div_zero 0
	.end_amdhsa_kernel
	.section	.text._ZN7rocprim17ROCPRIM_400000_NS6detail17trampoline_kernelINS0_14default_configENS1_35adjacent_difference_config_selectorILb0EtEEZNS1_24adjacent_difference_implIS3_Lb0ELb0EPtS7_N6thrust23THRUST_200600_302600_NS4plusItEEEE10hipError_tPvRmT2_T3_mT4_P12ihipStream_tbEUlT_E_NS1_11comp_targetILNS1_3genE2ELNS1_11target_archE906ELNS1_3gpuE6ELNS1_3repE0EEENS1_30default_config_static_selectorELNS0_4arch9wavefront6targetE1EEEvT1_,"axG",@progbits,_ZN7rocprim17ROCPRIM_400000_NS6detail17trampoline_kernelINS0_14default_configENS1_35adjacent_difference_config_selectorILb0EtEEZNS1_24adjacent_difference_implIS3_Lb0ELb0EPtS7_N6thrust23THRUST_200600_302600_NS4plusItEEEE10hipError_tPvRmT2_T3_mT4_P12ihipStream_tbEUlT_E_NS1_11comp_targetILNS1_3genE2ELNS1_11target_archE906ELNS1_3gpuE6ELNS1_3repE0EEENS1_30default_config_static_selectorELNS0_4arch9wavefront6targetE1EEEvT1_,comdat
.Lfunc_end344:
	.size	_ZN7rocprim17ROCPRIM_400000_NS6detail17trampoline_kernelINS0_14default_configENS1_35adjacent_difference_config_selectorILb0EtEEZNS1_24adjacent_difference_implIS3_Lb0ELb0EPtS7_N6thrust23THRUST_200600_302600_NS4plusItEEEE10hipError_tPvRmT2_T3_mT4_P12ihipStream_tbEUlT_E_NS1_11comp_targetILNS1_3genE2ELNS1_11target_archE906ELNS1_3gpuE6ELNS1_3repE0EEENS1_30default_config_static_selectorELNS0_4arch9wavefront6targetE1EEEvT1_, .Lfunc_end344-_ZN7rocprim17ROCPRIM_400000_NS6detail17trampoline_kernelINS0_14default_configENS1_35adjacent_difference_config_selectorILb0EtEEZNS1_24adjacent_difference_implIS3_Lb0ELb0EPtS7_N6thrust23THRUST_200600_302600_NS4plusItEEEE10hipError_tPvRmT2_T3_mT4_P12ihipStream_tbEUlT_E_NS1_11comp_targetILNS1_3genE2ELNS1_11target_archE906ELNS1_3gpuE6ELNS1_3repE0EEENS1_30default_config_static_selectorELNS0_4arch9wavefront6targetE1EEEvT1_
                                        ; -- End function
	.section	.AMDGPU.csdata,"",@progbits
; Kernel info:
; codeLenInByte = 0
; NumSgprs: 4
; NumVgprs: 0
; NumAgprs: 0
; TotalNumVgprs: 0
; ScratchSize: 0
; MemoryBound: 0
; FloatMode: 240
; IeeeMode: 1
; LDSByteSize: 0 bytes/workgroup (compile time only)
; SGPRBlocks: 0
; VGPRBlocks: 0
; NumSGPRsForWavesPerEU: 4
; NumVGPRsForWavesPerEU: 1
; AccumOffset: 4
; Occupancy: 8
; WaveLimiterHint : 0
; COMPUTE_PGM_RSRC2:SCRATCH_EN: 0
; COMPUTE_PGM_RSRC2:USER_SGPR: 6
; COMPUTE_PGM_RSRC2:TRAP_HANDLER: 0
; COMPUTE_PGM_RSRC2:TGID_X_EN: 1
; COMPUTE_PGM_RSRC2:TGID_Y_EN: 0
; COMPUTE_PGM_RSRC2:TGID_Z_EN: 0
; COMPUTE_PGM_RSRC2:TIDIG_COMP_CNT: 0
; COMPUTE_PGM_RSRC3_GFX90A:ACCUM_OFFSET: 0
; COMPUTE_PGM_RSRC3_GFX90A:TG_SPLIT: 0
	.section	.text._ZN7rocprim17ROCPRIM_400000_NS6detail17trampoline_kernelINS0_14default_configENS1_35adjacent_difference_config_selectorILb0EtEEZNS1_24adjacent_difference_implIS3_Lb0ELb0EPtS7_N6thrust23THRUST_200600_302600_NS4plusItEEEE10hipError_tPvRmT2_T3_mT4_P12ihipStream_tbEUlT_E_NS1_11comp_targetILNS1_3genE9ELNS1_11target_archE1100ELNS1_3gpuE3ELNS1_3repE0EEENS1_30default_config_static_selectorELNS0_4arch9wavefront6targetE1EEEvT1_,"axG",@progbits,_ZN7rocprim17ROCPRIM_400000_NS6detail17trampoline_kernelINS0_14default_configENS1_35adjacent_difference_config_selectorILb0EtEEZNS1_24adjacent_difference_implIS3_Lb0ELb0EPtS7_N6thrust23THRUST_200600_302600_NS4plusItEEEE10hipError_tPvRmT2_T3_mT4_P12ihipStream_tbEUlT_E_NS1_11comp_targetILNS1_3genE9ELNS1_11target_archE1100ELNS1_3gpuE3ELNS1_3repE0EEENS1_30default_config_static_selectorELNS0_4arch9wavefront6targetE1EEEvT1_,comdat
	.protected	_ZN7rocprim17ROCPRIM_400000_NS6detail17trampoline_kernelINS0_14default_configENS1_35adjacent_difference_config_selectorILb0EtEEZNS1_24adjacent_difference_implIS3_Lb0ELb0EPtS7_N6thrust23THRUST_200600_302600_NS4plusItEEEE10hipError_tPvRmT2_T3_mT4_P12ihipStream_tbEUlT_E_NS1_11comp_targetILNS1_3genE9ELNS1_11target_archE1100ELNS1_3gpuE3ELNS1_3repE0EEENS1_30default_config_static_selectorELNS0_4arch9wavefront6targetE1EEEvT1_ ; -- Begin function _ZN7rocprim17ROCPRIM_400000_NS6detail17trampoline_kernelINS0_14default_configENS1_35adjacent_difference_config_selectorILb0EtEEZNS1_24adjacent_difference_implIS3_Lb0ELb0EPtS7_N6thrust23THRUST_200600_302600_NS4plusItEEEE10hipError_tPvRmT2_T3_mT4_P12ihipStream_tbEUlT_E_NS1_11comp_targetILNS1_3genE9ELNS1_11target_archE1100ELNS1_3gpuE3ELNS1_3repE0EEENS1_30default_config_static_selectorELNS0_4arch9wavefront6targetE1EEEvT1_
	.globl	_ZN7rocprim17ROCPRIM_400000_NS6detail17trampoline_kernelINS0_14default_configENS1_35adjacent_difference_config_selectorILb0EtEEZNS1_24adjacent_difference_implIS3_Lb0ELb0EPtS7_N6thrust23THRUST_200600_302600_NS4plusItEEEE10hipError_tPvRmT2_T3_mT4_P12ihipStream_tbEUlT_E_NS1_11comp_targetILNS1_3genE9ELNS1_11target_archE1100ELNS1_3gpuE3ELNS1_3repE0EEENS1_30default_config_static_selectorELNS0_4arch9wavefront6targetE1EEEvT1_
	.p2align	8
	.type	_ZN7rocprim17ROCPRIM_400000_NS6detail17trampoline_kernelINS0_14default_configENS1_35adjacent_difference_config_selectorILb0EtEEZNS1_24adjacent_difference_implIS3_Lb0ELb0EPtS7_N6thrust23THRUST_200600_302600_NS4plusItEEEE10hipError_tPvRmT2_T3_mT4_P12ihipStream_tbEUlT_E_NS1_11comp_targetILNS1_3genE9ELNS1_11target_archE1100ELNS1_3gpuE3ELNS1_3repE0EEENS1_30default_config_static_selectorELNS0_4arch9wavefront6targetE1EEEvT1_,@function
_ZN7rocprim17ROCPRIM_400000_NS6detail17trampoline_kernelINS0_14default_configENS1_35adjacent_difference_config_selectorILb0EtEEZNS1_24adjacent_difference_implIS3_Lb0ELb0EPtS7_N6thrust23THRUST_200600_302600_NS4plusItEEEE10hipError_tPvRmT2_T3_mT4_P12ihipStream_tbEUlT_E_NS1_11comp_targetILNS1_3genE9ELNS1_11target_archE1100ELNS1_3gpuE3ELNS1_3repE0EEENS1_30default_config_static_selectorELNS0_4arch9wavefront6targetE1EEEvT1_: ; @_ZN7rocprim17ROCPRIM_400000_NS6detail17trampoline_kernelINS0_14default_configENS1_35adjacent_difference_config_selectorILb0EtEEZNS1_24adjacent_difference_implIS3_Lb0ELb0EPtS7_N6thrust23THRUST_200600_302600_NS4plusItEEEE10hipError_tPvRmT2_T3_mT4_P12ihipStream_tbEUlT_E_NS1_11comp_targetILNS1_3genE9ELNS1_11target_archE1100ELNS1_3gpuE3ELNS1_3repE0EEENS1_30default_config_static_selectorELNS0_4arch9wavefront6targetE1EEEvT1_
; %bb.0:
	.section	.rodata,"a",@progbits
	.p2align	6, 0x0
	.amdhsa_kernel _ZN7rocprim17ROCPRIM_400000_NS6detail17trampoline_kernelINS0_14default_configENS1_35adjacent_difference_config_selectorILb0EtEEZNS1_24adjacent_difference_implIS3_Lb0ELb0EPtS7_N6thrust23THRUST_200600_302600_NS4plusItEEEE10hipError_tPvRmT2_T3_mT4_P12ihipStream_tbEUlT_E_NS1_11comp_targetILNS1_3genE9ELNS1_11target_archE1100ELNS1_3gpuE3ELNS1_3repE0EEENS1_30default_config_static_selectorELNS0_4arch9wavefront6targetE1EEEvT1_
		.amdhsa_group_segment_fixed_size 0
		.amdhsa_private_segment_fixed_size 0
		.amdhsa_kernarg_size 56
		.amdhsa_user_sgpr_count 6
		.amdhsa_user_sgpr_private_segment_buffer 1
		.amdhsa_user_sgpr_dispatch_ptr 0
		.amdhsa_user_sgpr_queue_ptr 0
		.amdhsa_user_sgpr_kernarg_segment_ptr 1
		.amdhsa_user_sgpr_dispatch_id 0
		.amdhsa_user_sgpr_flat_scratch_init 0
		.amdhsa_user_sgpr_kernarg_preload_length 0
		.amdhsa_user_sgpr_kernarg_preload_offset 0
		.amdhsa_user_sgpr_private_segment_size 0
		.amdhsa_uses_dynamic_stack 0
		.amdhsa_system_sgpr_private_segment_wavefront_offset 0
		.amdhsa_system_sgpr_workgroup_id_x 1
		.amdhsa_system_sgpr_workgroup_id_y 0
		.amdhsa_system_sgpr_workgroup_id_z 0
		.amdhsa_system_sgpr_workgroup_info 0
		.amdhsa_system_vgpr_workitem_id 0
		.amdhsa_next_free_vgpr 1
		.amdhsa_next_free_sgpr 0
		.amdhsa_accum_offset 4
		.amdhsa_reserve_vcc 0
		.amdhsa_reserve_flat_scratch 0
		.amdhsa_float_round_mode_32 0
		.amdhsa_float_round_mode_16_64 0
		.amdhsa_float_denorm_mode_32 3
		.amdhsa_float_denorm_mode_16_64 3
		.amdhsa_dx10_clamp 1
		.amdhsa_ieee_mode 1
		.amdhsa_fp16_overflow 0
		.amdhsa_tg_split 0
		.amdhsa_exception_fp_ieee_invalid_op 0
		.amdhsa_exception_fp_denorm_src 0
		.amdhsa_exception_fp_ieee_div_zero 0
		.amdhsa_exception_fp_ieee_overflow 0
		.amdhsa_exception_fp_ieee_underflow 0
		.amdhsa_exception_fp_ieee_inexact 0
		.amdhsa_exception_int_div_zero 0
	.end_amdhsa_kernel
	.section	.text._ZN7rocprim17ROCPRIM_400000_NS6detail17trampoline_kernelINS0_14default_configENS1_35adjacent_difference_config_selectorILb0EtEEZNS1_24adjacent_difference_implIS3_Lb0ELb0EPtS7_N6thrust23THRUST_200600_302600_NS4plusItEEEE10hipError_tPvRmT2_T3_mT4_P12ihipStream_tbEUlT_E_NS1_11comp_targetILNS1_3genE9ELNS1_11target_archE1100ELNS1_3gpuE3ELNS1_3repE0EEENS1_30default_config_static_selectorELNS0_4arch9wavefront6targetE1EEEvT1_,"axG",@progbits,_ZN7rocprim17ROCPRIM_400000_NS6detail17trampoline_kernelINS0_14default_configENS1_35adjacent_difference_config_selectorILb0EtEEZNS1_24adjacent_difference_implIS3_Lb0ELb0EPtS7_N6thrust23THRUST_200600_302600_NS4plusItEEEE10hipError_tPvRmT2_T3_mT4_P12ihipStream_tbEUlT_E_NS1_11comp_targetILNS1_3genE9ELNS1_11target_archE1100ELNS1_3gpuE3ELNS1_3repE0EEENS1_30default_config_static_selectorELNS0_4arch9wavefront6targetE1EEEvT1_,comdat
.Lfunc_end345:
	.size	_ZN7rocprim17ROCPRIM_400000_NS6detail17trampoline_kernelINS0_14default_configENS1_35adjacent_difference_config_selectorILb0EtEEZNS1_24adjacent_difference_implIS3_Lb0ELb0EPtS7_N6thrust23THRUST_200600_302600_NS4plusItEEEE10hipError_tPvRmT2_T3_mT4_P12ihipStream_tbEUlT_E_NS1_11comp_targetILNS1_3genE9ELNS1_11target_archE1100ELNS1_3gpuE3ELNS1_3repE0EEENS1_30default_config_static_selectorELNS0_4arch9wavefront6targetE1EEEvT1_, .Lfunc_end345-_ZN7rocprim17ROCPRIM_400000_NS6detail17trampoline_kernelINS0_14default_configENS1_35adjacent_difference_config_selectorILb0EtEEZNS1_24adjacent_difference_implIS3_Lb0ELb0EPtS7_N6thrust23THRUST_200600_302600_NS4plusItEEEE10hipError_tPvRmT2_T3_mT4_P12ihipStream_tbEUlT_E_NS1_11comp_targetILNS1_3genE9ELNS1_11target_archE1100ELNS1_3gpuE3ELNS1_3repE0EEENS1_30default_config_static_selectorELNS0_4arch9wavefront6targetE1EEEvT1_
                                        ; -- End function
	.section	.AMDGPU.csdata,"",@progbits
; Kernel info:
; codeLenInByte = 0
; NumSgprs: 4
; NumVgprs: 0
; NumAgprs: 0
; TotalNumVgprs: 0
; ScratchSize: 0
; MemoryBound: 0
; FloatMode: 240
; IeeeMode: 1
; LDSByteSize: 0 bytes/workgroup (compile time only)
; SGPRBlocks: 0
; VGPRBlocks: 0
; NumSGPRsForWavesPerEU: 4
; NumVGPRsForWavesPerEU: 1
; AccumOffset: 4
; Occupancy: 8
; WaveLimiterHint : 0
; COMPUTE_PGM_RSRC2:SCRATCH_EN: 0
; COMPUTE_PGM_RSRC2:USER_SGPR: 6
; COMPUTE_PGM_RSRC2:TRAP_HANDLER: 0
; COMPUTE_PGM_RSRC2:TGID_X_EN: 1
; COMPUTE_PGM_RSRC2:TGID_Y_EN: 0
; COMPUTE_PGM_RSRC2:TGID_Z_EN: 0
; COMPUTE_PGM_RSRC2:TIDIG_COMP_CNT: 0
; COMPUTE_PGM_RSRC3_GFX90A:ACCUM_OFFSET: 0
; COMPUTE_PGM_RSRC3_GFX90A:TG_SPLIT: 0
	.section	.text._ZN7rocprim17ROCPRIM_400000_NS6detail17trampoline_kernelINS0_14default_configENS1_35adjacent_difference_config_selectorILb0EtEEZNS1_24adjacent_difference_implIS3_Lb0ELb0EPtS7_N6thrust23THRUST_200600_302600_NS4plusItEEEE10hipError_tPvRmT2_T3_mT4_P12ihipStream_tbEUlT_E_NS1_11comp_targetILNS1_3genE8ELNS1_11target_archE1030ELNS1_3gpuE2ELNS1_3repE0EEENS1_30default_config_static_selectorELNS0_4arch9wavefront6targetE1EEEvT1_,"axG",@progbits,_ZN7rocprim17ROCPRIM_400000_NS6detail17trampoline_kernelINS0_14default_configENS1_35adjacent_difference_config_selectorILb0EtEEZNS1_24adjacent_difference_implIS3_Lb0ELb0EPtS7_N6thrust23THRUST_200600_302600_NS4plusItEEEE10hipError_tPvRmT2_T3_mT4_P12ihipStream_tbEUlT_E_NS1_11comp_targetILNS1_3genE8ELNS1_11target_archE1030ELNS1_3gpuE2ELNS1_3repE0EEENS1_30default_config_static_selectorELNS0_4arch9wavefront6targetE1EEEvT1_,comdat
	.protected	_ZN7rocprim17ROCPRIM_400000_NS6detail17trampoline_kernelINS0_14default_configENS1_35adjacent_difference_config_selectorILb0EtEEZNS1_24adjacent_difference_implIS3_Lb0ELb0EPtS7_N6thrust23THRUST_200600_302600_NS4plusItEEEE10hipError_tPvRmT2_T3_mT4_P12ihipStream_tbEUlT_E_NS1_11comp_targetILNS1_3genE8ELNS1_11target_archE1030ELNS1_3gpuE2ELNS1_3repE0EEENS1_30default_config_static_selectorELNS0_4arch9wavefront6targetE1EEEvT1_ ; -- Begin function _ZN7rocprim17ROCPRIM_400000_NS6detail17trampoline_kernelINS0_14default_configENS1_35adjacent_difference_config_selectorILb0EtEEZNS1_24adjacent_difference_implIS3_Lb0ELb0EPtS7_N6thrust23THRUST_200600_302600_NS4plusItEEEE10hipError_tPvRmT2_T3_mT4_P12ihipStream_tbEUlT_E_NS1_11comp_targetILNS1_3genE8ELNS1_11target_archE1030ELNS1_3gpuE2ELNS1_3repE0EEENS1_30default_config_static_selectorELNS0_4arch9wavefront6targetE1EEEvT1_
	.globl	_ZN7rocprim17ROCPRIM_400000_NS6detail17trampoline_kernelINS0_14default_configENS1_35adjacent_difference_config_selectorILb0EtEEZNS1_24adjacent_difference_implIS3_Lb0ELb0EPtS7_N6thrust23THRUST_200600_302600_NS4plusItEEEE10hipError_tPvRmT2_T3_mT4_P12ihipStream_tbEUlT_E_NS1_11comp_targetILNS1_3genE8ELNS1_11target_archE1030ELNS1_3gpuE2ELNS1_3repE0EEENS1_30default_config_static_selectorELNS0_4arch9wavefront6targetE1EEEvT1_
	.p2align	8
	.type	_ZN7rocprim17ROCPRIM_400000_NS6detail17trampoline_kernelINS0_14default_configENS1_35adjacent_difference_config_selectorILb0EtEEZNS1_24adjacent_difference_implIS3_Lb0ELb0EPtS7_N6thrust23THRUST_200600_302600_NS4plusItEEEE10hipError_tPvRmT2_T3_mT4_P12ihipStream_tbEUlT_E_NS1_11comp_targetILNS1_3genE8ELNS1_11target_archE1030ELNS1_3gpuE2ELNS1_3repE0EEENS1_30default_config_static_selectorELNS0_4arch9wavefront6targetE1EEEvT1_,@function
_ZN7rocprim17ROCPRIM_400000_NS6detail17trampoline_kernelINS0_14default_configENS1_35adjacent_difference_config_selectorILb0EtEEZNS1_24adjacent_difference_implIS3_Lb0ELb0EPtS7_N6thrust23THRUST_200600_302600_NS4plusItEEEE10hipError_tPvRmT2_T3_mT4_P12ihipStream_tbEUlT_E_NS1_11comp_targetILNS1_3genE8ELNS1_11target_archE1030ELNS1_3gpuE2ELNS1_3repE0EEENS1_30default_config_static_selectorELNS0_4arch9wavefront6targetE1EEEvT1_: ; @_ZN7rocprim17ROCPRIM_400000_NS6detail17trampoline_kernelINS0_14default_configENS1_35adjacent_difference_config_selectorILb0EtEEZNS1_24adjacent_difference_implIS3_Lb0ELb0EPtS7_N6thrust23THRUST_200600_302600_NS4plusItEEEE10hipError_tPvRmT2_T3_mT4_P12ihipStream_tbEUlT_E_NS1_11comp_targetILNS1_3genE8ELNS1_11target_archE1030ELNS1_3gpuE2ELNS1_3repE0EEENS1_30default_config_static_selectorELNS0_4arch9wavefront6targetE1EEEvT1_
; %bb.0:
	.section	.rodata,"a",@progbits
	.p2align	6, 0x0
	.amdhsa_kernel _ZN7rocprim17ROCPRIM_400000_NS6detail17trampoline_kernelINS0_14default_configENS1_35adjacent_difference_config_selectorILb0EtEEZNS1_24adjacent_difference_implIS3_Lb0ELb0EPtS7_N6thrust23THRUST_200600_302600_NS4plusItEEEE10hipError_tPvRmT2_T3_mT4_P12ihipStream_tbEUlT_E_NS1_11comp_targetILNS1_3genE8ELNS1_11target_archE1030ELNS1_3gpuE2ELNS1_3repE0EEENS1_30default_config_static_selectorELNS0_4arch9wavefront6targetE1EEEvT1_
		.amdhsa_group_segment_fixed_size 0
		.amdhsa_private_segment_fixed_size 0
		.amdhsa_kernarg_size 56
		.amdhsa_user_sgpr_count 6
		.amdhsa_user_sgpr_private_segment_buffer 1
		.amdhsa_user_sgpr_dispatch_ptr 0
		.amdhsa_user_sgpr_queue_ptr 0
		.amdhsa_user_sgpr_kernarg_segment_ptr 1
		.amdhsa_user_sgpr_dispatch_id 0
		.amdhsa_user_sgpr_flat_scratch_init 0
		.amdhsa_user_sgpr_kernarg_preload_length 0
		.amdhsa_user_sgpr_kernarg_preload_offset 0
		.amdhsa_user_sgpr_private_segment_size 0
		.amdhsa_uses_dynamic_stack 0
		.amdhsa_system_sgpr_private_segment_wavefront_offset 0
		.amdhsa_system_sgpr_workgroup_id_x 1
		.amdhsa_system_sgpr_workgroup_id_y 0
		.amdhsa_system_sgpr_workgroup_id_z 0
		.amdhsa_system_sgpr_workgroup_info 0
		.amdhsa_system_vgpr_workitem_id 0
		.amdhsa_next_free_vgpr 1
		.amdhsa_next_free_sgpr 0
		.amdhsa_accum_offset 4
		.amdhsa_reserve_vcc 0
		.amdhsa_reserve_flat_scratch 0
		.amdhsa_float_round_mode_32 0
		.amdhsa_float_round_mode_16_64 0
		.amdhsa_float_denorm_mode_32 3
		.amdhsa_float_denorm_mode_16_64 3
		.amdhsa_dx10_clamp 1
		.amdhsa_ieee_mode 1
		.amdhsa_fp16_overflow 0
		.amdhsa_tg_split 0
		.amdhsa_exception_fp_ieee_invalid_op 0
		.amdhsa_exception_fp_denorm_src 0
		.amdhsa_exception_fp_ieee_div_zero 0
		.amdhsa_exception_fp_ieee_overflow 0
		.amdhsa_exception_fp_ieee_underflow 0
		.amdhsa_exception_fp_ieee_inexact 0
		.amdhsa_exception_int_div_zero 0
	.end_amdhsa_kernel
	.section	.text._ZN7rocprim17ROCPRIM_400000_NS6detail17trampoline_kernelINS0_14default_configENS1_35adjacent_difference_config_selectorILb0EtEEZNS1_24adjacent_difference_implIS3_Lb0ELb0EPtS7_N6thrust23THRUST_200600_302600_NS4plusItEEEE10hipError_tPvRmT2_T3_mT4_P12ihipStream_tbEUlT_E_NS1_11comp_targetILNS1_3genE8ELNS1_11target_archE1030ELNS1_3gpuE2ELNS1_3repE0EEENS1_30default_config_static_selectorELNS0_4arch9wavefront6targetE1EEEvT1_,"axG",@progbits,_ZN7rocprim17ROCPRIM_400000_NS6detail17trampoline_kernelINS0_14default_configENS1_35adjacent_difference_config_selectorILb0EtEEZNS1_24adjacent_difference_implIS3_Lb0ELb0EPtS7_N6thrust23THRUST_200600_302600_NS4plusItEEEE10hipError_tPvRmT2_T3_mT4_P12ihipStream_tbEUlT_E_NS1_11comp_targetILNS1_3genE8ELNS1_11target_archE1030ELNS1_3gpuE2ELNS1_3repE0EEENS1_30default_config_static_selectorELNS0_4arch9wavefront6targetE1EEEvT1_,comdat
.Lfunc_end346:
	.size	_ZN7rocprim17ROCPRIM_400000_NS6detail17trampoline_kernelINS0_14default_configENS1_35adjacent_difference_config_selectorILb0EtEEZNS1_24adjacent_difference_implIS3_Lb0ELb0EPtS7_N6thrust23THRUST_200600_302600_NS4plusItEEEE10hipError_tPvRmT2_T3_mT4_P12ihipStream_tbEUlT_E_NS1_11comp_targetILNS1_3genE8ELNS1_11target_archE1030ELNS1_3gpuE2ELNS1_3repE0EEENS1_30default_config_static_selectorELNS0_4arch9wavefront6targetE1EEEvT1_, .Lfunc_end346-_ZN7rocprim17ROCPRIM_400000_NS6detail17trampoline_kernelINS0_14default_configENS1_35adjacent_difference_config_selectorILb0EtEEZNS1_24adjacent_difference_implIS3_Lb0ELb0EPtS7_N6thrust23THRUST_200600_302600_NS4plusItEEEE10hipError_tPvRmT2_T3_mT4_P12ihipStream_tbEUlT_E_NS1_11comp_targetILNS1_3genE8ELNS1_11target_archE1030ELNS1_3gpuE2ELNS1_3repE0EEENS1_30default_config_static_selectorELNS0_4arch9wavefront6targetE1EEEvT1_
                                        ; -- End function
	.section	.AMDGPU.csdata,"",@progbits
; Kernel info:
; codeLenInByte = 0
; NumSgprs: 4
; NumVgprs: 0
; NumAgprs: 0
; TotalNumVgprs: 0
; ScratchSize: 0
; MemoryBound: 0
; FloatMode: 240
; IeeeMode: 1
; LDSByteSize: 0 bytes/workgroup (compile time only)
; SGPRBlocks: 0
; VGPRBlocks: 0
; NumSGPRsForWavesPerEU: 4
; NumVGPRsForWavesPerEU: 1
; AccumOffset: 4
; Occupancy: 8
; WaveLimiterHint : 0
; COMPUTE_PGM_RSRC2:SCRATCH_EN: 0
; COMPUTE_PGM_RSRC2:USER_SGPR: 6
; COMPUTE_PGM_RSRC2:TRAP_HANDLER: 0
; COMPUTE_PGM_RSRC2:TGID_X_EN: 1
; COMPUTE_PGM_RSRC2:TGID_Y_EN: 0
; COMPUTE_PGM_RSRC2:TGID_Z_EN: 0
; COMPUTE_PGM_RSRC2:TIDIG_COMP_CNT: 0
; COMPUTE_PGM_RSRC3_GFX90A:ACCUM_OFFSET: 0
; COMPUTE_PGM_RSRC3_GFX90A:TG_SPLIT: 0
	.section	.text._ZN7rocprim17ROCPRIM_400000_NS6detail17trampoline_kernelINS0_14default_configENS1_25transform_config_selectorItLb0EEEZNS1_14transform_implILb0ES3_S5_NS0_18transform_iteratorINS0_17counting_iteratorImlEEZNS1_24adjacent_difference_implIS3_Lb1ELb0EPtSB_N6thrust23THRUST_200600_302600_NS4plusItEEEE10hipError_tPvRmT2_T3_mT4_P12ihipStream_tbEUlmE_tEESB_NS0_8identityIvEEEESG_SJ_SK_mSL_SN_bEUlT_E_NS1_11comp_targetILNS1_3genE0ELNS1_11target_archE4294967295ELNS1_3gpuE0ELNS1_3repE0EEENS1_30default_config_static_selectorELNS0_4arch9wavefront6targetE1EEEvT1_,"axG",@progbits,_ZN7rocprim17ROCPRIM_400000_NS6detail17trampoline_kernelINS0_14default_configENS1_25transform_config_selectorItLb0EEEZNS1_14transform_implILb0ES3_S5_NS0_18transform_iteratorINS0_17counting_iteratorImlEEZNS1_24adjacent_difference_implIS3_Lb1ELb0EPtSB_N6thrust23THRUST_200600_302600_NS4plusItEEEE10hipError_tPvRmT2_T3_mT4_P12ihipStream_tbEUlmE_tEESB_NS0_8identityIvEEEESG_SJ_SK_mSL_SN_bEUlT_E_NS1_11comp_targetILNS1_3genE0ELNS1_11target_archE4294967295ELNS1_3gpuE0ELNS1_3repE0EEENS1_30default_config_static_selectorELNS0_4arch9wavefront6targetE1EEEvT1_,comdat
	.protected	_ZN7rocprim17ROCPRIM_400000_NS6detail17trampoline_kernelINS0_14default_configENS1_25transform_config_selectorItLb0EEEZNS1_14transform_implILb0ES3_S5_NS0_18transform_iteratorINS0_17counting_iteratorImlEEZNS1_24adjacent_difference_implIS3_Lb1ELb0EPtSB_N6thrust23THRUST_200600_302600_NS4plusItEEEE10hipError_tPvRmT2_T3_mT4_P12ihipStream_tbEUlmE_tEESB_NS0_8identityIvEEEESG_SJ_SK_mSL_SN_bEUlT_E_NS1_11comp_targetILNS1_3genE0ELNS1_11target_archE4294967295ELNS1_3gpuE0ELNS1_3repE0EEENS1_30default_config_static_selectorELNS0_4arch9wavefront6targetE1EEEvT1_ ; -- Begin function _ZN7rocprim17ROCPRIM_400000_NS6detail17trampoline_kernelINS0_14default_configENS1_25transform_config_selectorItLb0EEEZNS1_14transform_implILb0ES3_S5_NS0_18transform_iteratorINS0_17counting_iteratorImlEEZNS1_24adjacent_difference_implIS3_Lb1ELb0EPtSB_N6thrust23THRUST_200600_302600_NS4plusItEEEE10hipError_tPvRmT2_T3_mT4_P12ihipStream_tbEUlmE_tEESB_NS0_8identityIvEEEESG_SJ_SK_mSL_SN_bEUlT_E_NS1_11comp_targetILNS1_3genE0ELNS1_11target_archE4294967295ELNS1_3gpuE0ELNS1_3repE0EEENS1_30default_config_static_selectorELNS0_4arch9wavefront6targetE1EEEvT1_
	.globl	_ZN7rocprim17ROCPRIM_400000_NS6detail17trampoline_kernelINS0_14default_configENS1_25transform_config_selectorItLb0EEEZNS1_14transform_implILb0ES3_S5_NS0_18transform_iteratorINS0_17counting_iteratorImlEEZNS1_24adjacent_difference_implIS3_Lb1ELb0EPtSB_N6thrust23THRUST_200600_302600_NS4plusItEEEE10hipError_tPvRmT2_T3_mT4_P12ihipStream_tbEUlmE_tEESB_NS0_8identityIvEEEESG_SJ_SK_mSL_SN_bEUlT_E_NS1_11comp_targetILNS1_3genE0ELNS1_11target_archE4294967295ELNS1_3gpuE0ELNS1_3repE0EEENS1_30default_config_static_selectorELNS0_4arch9wavefront6targetE1EEEvT1_
	.p2align	8
	.type	_ZN7rocprim17ROCPRIM_400000_NS6detail17trampoline_kernelINS0_14default_configENS1_25transform_config_selectorItLb0EEEZNS1_14transform_implILb0ES3_S5_NS0_18transform_iteratorINS0_17counting_iteratorImlEEZNS1_24adjacent_difference_implIS3_Lb1ELb0EPtSB_N6thrust23THRUST_200600_302600_NS4plusItEEEE10hipError_tPvRmT2_T3_mT4_P12ihipStream_tbEUlmE_tEESB_NS0_8identityIvEEEESG_SJ_SK_mSL_SN_bEUlT_E_NS1_11comp_targetILNS1_3genE0ELNS1_11target_archE4294967295ELNS1_3gpuE0ELNS1_3repE0EEENS1_30default_config_static_selectorELNS0_4arch9wavefront6targetE1EEEvT1_,@function
_ZN7rocprim17ROCPRIM_400000_NS6detail17trampoline_kernelINS0_14default_configENS1_25transform_config_selectorItLb0EEEZNS1_14transform_implILb0ES3_S5_NS0_18transform_iteratorINS0_17counting_iteratorImlEEZNS1_24adjacent_difference_implIS3_Lb1ELb0EPtSB_N6thrust23THRUST_200600_302600_NS4plusItEEEE10hipError_tPvRmT2_T3_mT4_P12ihipStream_tbEUlmE_tEESB_NS0_8identityIvEEEESG_SJ_SK_mSL_SN_bEUlT_E_NS1_11comp_targetILNS1_3genE0ELNS1_11target_archE4294967295ELNS1_3gpuE0ELNS1_3repE0EEENS1_30default_config_static_selectorELNS0_4arch9wavefront6targetE1EEEvT1_: ; @_ZN7rocprim17ROCPRIM_400000_NS6detail17trampoline_kernelINS0_14default_configENS1_25transform_config_selectorItLb0EEEZNS1_14transform_implILb0ES3_S5_NS0_18transform_iteratorINS0_17counting_iteratorImlEEZNS1_24adjacent_difference_implIS3_Lb1ELb0EPtSB_N6thrust23THRUST_200600_302600_NS4plusItEEEE10hipError_tPvRmT2_T3_mT4_P12ihipStream_tbEUlmE_tEESB_NS0_8identityIvEEEESG_SJ_SK_mSL_SN_bEUlT_E_NS1_11comp_targetILNS1_3genE0ELNS1_11target_archE4294967295ELNS1_3gpuE0ELNS1_3repE0EEENS1_30default_config_static_selectorELNS0_4arch9wavefront6targetE1EEEvT1_
; %bb.0:
	.section	.rodata,"a",@progbits
	.p2align	6, 0x0
	.amdhsa_kernel _ZN7rocprim17ROCPRIM_400000_NS6detail17trampoline_kernelINS0_14default_configENS1_25transform_config_selectorItLb0EEEZNS1_14transform_implILb0ES3_S5_NS0_18transform_iteratorINS0_17counting_iteratorImlEEZNS1_24adjacent_difference_implIS3_Lb1ELb0EPtSB_N6thrust23THRUST_200600_302600_NS4plusItEEEE10hipError_tPvRmT2_T3_mT4_P12ihipStream_tbEUlmE_tEESB_NS0_8identityIvEEEESG_SJ_SK_mSL_SN_bEUlT_E_NS1_11comp_targetILNS1_3genE0ELNS1_11target_archE4294967295ELNS1_3gpuE0ELNS1_3repE0EEENS1_30default_config_static_selectorELNS0_4arch9wavefront6targetE1EEEvT1_
		.amdhsa_group_segment_fixed_size 0
		.amdhsa_private_segment_fixed_size 0
		.amdhsa_kernarg_size 56
		.amdhsa_user_sgpr_count 6
		.amdhsa_user_sgpr_private_segment_buffer 1
		.amdhsa_user_sgpr_dispatch_ptr 0
		.amdhsa_user_sgpr_queue_ptr 0
		.amdhsa_user_sgpr_kernarg_segment_ptr 1
		.amdhsa_user_sgpr_dispatch_id 0
		.amdhsa_user_sgpr_flat_scratch_init 0
		.amdhsa_user_sgpr_kernarg_preload_length 0
		.amdhsa_user_sgpr_kernarg_preload_offset 0
		.amdhsa_user_sgpr_private_segment_size 0
		.amdhsa_uses_dynamic_stack 0
		.amdhsa_system_sgpr_private_segment_wavefront_offset 0
		.amdhsa_system_sgpr_workgroup_id_x 1
		.amdhsa_system_sgpr_workgroup_id_y 0
		.amdhsa_system_sgpr_workgroup_id_z 0
		.amdhsa_system_sgpr_workgroup_info 0
		.amdhsa_system_vgpr_workitem_id 0
		.amdhsa_next_free_vgpr 1
		.amdhsa_next_free_sgpr 0
		.amdhsa_accum_offset 4
		.amdhsa_reserve_vcc 0
		.amdhsa_reserve_flat_scratch 0
		.amdhsa_float_round_mode_32 0
		.amdhsa_float_round_mode_16_64 0
		.amdhsa_float_denorm_mode_32 3
		.amdhsa_float_denorm_mode_16_64 3
		.amdhsa_dx10_clamp 1
		.amdhsa_ieee_mode 1
		.amdhsa_fp16_overflow 0
		.amdhsa_tg_split 0
		.amdhsa_exception_fp_ieee_invalid_op 0
		.amdhsa_exception_fp_denorm_src 0
		.amdhsa_exception_fp_ieee_div_zero 0
		.amdhsa_exception_fp_ieee_overflow 0
		.amdhsa_exception_fp_ieee_underflow 0
		.amdhsa_exception_fp_ieee_inexact 0
		.amdhsa_exception_int_div_zero 0
	.end_amdhsa_kernel
	.section	.text._ZN7rocprim17ROCPRIM_400000_NS6detail17trampoline_kernelINS0_14default_configENS1_25transform_config_selectorItLb0EEEZNS1_14transform_implILb0ES3_S5_NS0_18transform_iteratorINS0_17counting_iteratorImlEEZNS1_24adjacent_difference_implIS3_Lb1ELb0EPtSB_N6thrust23THRUST_200600_302600_NS4plusItEEEE10hipError_tPvRmT2_T3_mT4_P12ihipStream_tbEUlmE_tEESB_NS0_8identityIvEEEESG_SJ_SK_mSL_SN_bEUlT_E_NS1_11comp_targetILNS1_3genE0ELNS1_11target_archE4294967295ELNS1_3gpuE0ELNS1_3repE0EEENS1_30default_config_static_selectorELNS0_4arch9wavefront6targetE1EEEvT1_,"axG",@progbits,_ZN7rocprim17ROCPRIM_400000_NS6detail17trampoline_kernelINS0_14default_configENS1_25transform_config_selectorItLb0EEEZNS1_14transform_implILb0ES3_S5_NS0_18transform_iteratorINS0_17counting_iteratorImlEEZNS1_24adjacent_difference_implIS3_Lb1ELb0EPtSB_N6thrust23THRUST_200600_302600_NS4plusItEEEE10hipError_tPvRmT2_T3_mT4_P12ihipStream_tbEUlmE_tEESB_NS0_8identityIvEEEESG_SJ_SK_mSL_SN_bEUlT_E_NS1_11comp_targetILNS1_3genE0ELNS1_11target_archE4294967295ELNS1_3gpuE0ELNS1_3repE0EEENS1_30default_config_static_selectorELNS0_4arch9wavefront6targetE1EEEvT1_,comdat
.Lfunc_end347:
	.size	_ZN7rocprim17ROCPRIM_400000_NS6detail17trampoline_kernelINS0_14default_configENS1_25transform_config_selectorItLb0EEEZNS1_14transform_implILb0ES3_S5_NS0_18transform_iteratorINS0_17counting_iteratorImlEEZNS1_24adjacent_difference_implIS3_Lb1ELb0EPtSB_N6thrust23THRUST_200600_302600_NS4plusItEEEE10hipError_tPvRmT2_T3_mT4_P12ihipStream_tbEUlmE_tEESB_NS0_8identityIvEEEESG_SJ_SK_mSL_SN_bEUlT_E_NS1_11comp_targetILNS1_3genE0ELNS1_11target_archE4294967295ELNS1_3gpuE0ELNS1_3repE0EEENS1_30default_config_static_selectorELNS0_4arch9wavefront6targetE1EEEvT1_, .Lfunc_end347-_ZN7rocprim17ROCPRIM_400000_NS6detail17trampoline_kernelINS0_14default_configENS1_25transform_config_selectorItLb0EEEZNS1_14transform_implILb0ES3_S5_NS0_18transform_iteratorINS0_17counting_iteratorImlEEZNS1_24adjacent_difference_implIS3_Lb1ELb0EPtSB_N6thrust23THRUST_200600_302600_NS4plusItEEEE10hipError_tPvRmT2_T3_mT4_P12ihipStream_tbEUlmE_tEESB_NS0_8identityIvEEEESG_SJ_SK_mSL_SN_bEUlT_E_NS1_11comp_targetILNS1_3genE0ELNS1_11target_archE4294967295ELNS1_3gpuE0ELNS1_3repE0EEENS1_30default_config_static_selectorELNS0_4arch9wavefront6targetE1EEEvT1_
                                        ; -- End function
	.section	.AMDGPU.csdata,"",@progbits
; Kernel info:
; codeLenInByte = 0
; NumSgprs: 4
; NumVgprs: 0
; NumAgprs: 0
; TotalNumVgprs: 0
; ScratchSize: 0
; MemoryBound: 0
; FloatMode: 240
; IeeeMode: 1
; LDSByteSize: 0 bytes/workgroup (compile time only)
; SGPRBlocks: 0
; VGPRBlocks: 0
; NumSGPRsForWavesPerEU: 4
; NumVGPRsForWavesPerEU: 1
; AccumOffset: 4
; Occupancy: 8
; WaveLimiterHint : 0
; COMPUTE_PGM_RSRC2:SCRATCH_EN: 0
; COMPUTE_PGM_RSRC2:USER_SGPR: 6
; COMPUTE_PGM_RSRC2:TRAP_HANDLER: 0
; COMPUTE_PGM_RSRC2:TGID_X_EN: 1
; COMPUTE_PGM_RSRC2:TGID_Y_EN: 0
; COMPUTE_PGM_RSRC2:TGID_Z_EN: 0
; COMPUTE_PGM_RSRC2:TIDIG_COMP_CNT: 0
; COMPUTE_PGM_RSRC3_GFX90A:ACCUM_OFFSET: 0
; COMPUTE_PGM_RSRC3_GFX90A:TG_SPLIT: 0
	.section	.text._ZN7rocprim17ROCPRIM_400000_NS6detail17trampoline_kernelINS0_14default_configENS1_25transform_config_selectorItLb0EEEZNS1_14transform_implILb0ES3_S5_NS0_18transform_iteratorINS0_17counting_iteratorImlEEZNS1_24adjacent_difference_implIS3_Lb1ELb0EPtSB_N6thrust23THRUST_200600_302600_NS4plusItEEEE10hipError_tPvRmT2_T3_mT4_P12ihipStream_tbEUlmE_tEESB_NS0_8identityIvEEEESG_SJ_SK_mSL_SN_bEUlT_E_NS1_11comp_targetILNS1_3genE5ELNS1_11target_archE942ELNS1_3gpuE9ELNS1_3repE0EEENS1_30default_config_static_selectorELNS0_4arch9wavefront6targetE1EEEvT1_,"axG",@progbits,_ZN7rocprim17ROCPRIM_400000_NS6detail17trampoline_kernelINS0_14default_configENS1_25transform_config_selectorItLb0EEEZNS1_14transform_implILb0ES3_S5_NS0_18transform_iteratorINS0_17counting_iteratorImlEEZNS1_24adjacent_difference_implIS3_Lb1ELb0EPtSB_N6thrust23THRUST_200600_302600_NS4plusItEEEE10hipError_tPvRmT2_T3_mT4_P12ihipStream_tbEUlmE_tEESB_NS0_8identityIvEEEESG_SJ_SK_mSL_SN_bEUlT_E_NS1_11comp_targetILNS1_3genE5ELNS1_11target_archE942ELNS1_3gpuE9ELNS1_3repE0EEENS1_30default_config_static_selectorELNS0_4arch9wavefront6targetE1EEEvT1_,comdat
	.protected	_ZN7rocprim17ROCPRIM_400000_NS6detail17trampoline_kernelINS0_14default_configENS1_25transform_config_selectorItLb0EEEZNS1_14transform_implILb0ES3_S5_NS0_18transform_iteratorINS0_17counting_iteratorImlEEZNS1_24adjacent_difference_implIS3_Lb1ELb0EPtSB_N6thrust23THRUST_200600_302600_NS4plusItEEEE10hipError_tPvRmT2_T3_mT4_P12ihipStream_tbEUlmE_tEESB_NS0_8identityIvEEEESG_SJ_SK_mSL_SN_bEUlT_E_NS1_11comp_targetILNS1_3genE5ELNS1_11target_archE942ELNS1_3gpuE9ELNS1_3repE0EEENS1_30default_config_static_selectorELNS0_4arch9wavefront6targetE1EEEvT1_ ; -- Begin function _ZN7rocprim17ROCPRIM_400000_NS6detail17trampoline_kernelINS0_14default_configENS1_25transform_config_selectorItLb0EEEZNS1_14transform_implILb0ES3_S5_NS0_18transform_iteratorINS0_17counting_iteratorImlEEZNS1_24adjacent_difference_implIS3_Lb1ELb0EPtSB_N6thrust23THRUST_200600_302600_NS4plusItEEEE10hipError_tPvRmT2_T3_mT4_P12ihipStream_tbEUlmE_tEESB_NS0_8identityIvEEEESG_SJ_SK_mSL_SN_bEUlT_E_NS1_11comp_targetILNS1_3genE5ELNS1_11target_archE942ELNS1_3gpuE9ELNS1_3repE0EEENS1_30default_config_static_selectorELNS0_4arch9wavefront6targetE1EEEvT1_
	.globl	_ZN7rocprim17ROCPRIM_400000_NS6detail17trampoline_kernelINS0_14default_configENS1_25transform_config_selectorItLb0EEEZNS1_14transform_implILb0ES3_S5_NS0_18transform_iteratorINS0_17counting_iteratorImlEEZNS1_24adjacent_difference_implIS3_Lb1ELb0EPtSB_N6thrust23THRUST_200600_302600_NS4plusItEEEE10hipError_tPvRmT2_T3_mT4_P12ihipStream_tbEUlmE_tEESB_NS0_8identityIvEEEESG_SJ_SK_mSL_SN_bEUlT_E_NS1_11comp_targetILNS1_3genE5ELNS1_11target_archE942ELNS1_3gpuE9ELNS1_3repE0EEENS1_30default_config_static_selectorELNS0_4arch9wavefront6targetE1EEEvT1_
	.p2align	8
	.type	_ZN7rocprim17ROCPRIM_400000_NS6detail17trampoline_kernelINS0_14default_configENS1_25transform_config_selectorItLb0EEEZNS1_14transform_implILb0ES3_S5_NS0_18transform_iteratorINS0_17counting_iteratorImlEEZNS1_24adjacent_difference_implIS3_Lb1ELb0EPtSB_N6thrust23THRUST_200600_302600_NS4plusItEEEE10hipError_tPvRmT2_T3_mT4_P12ihipStream_tbEUlmE_tEESB_NS0_8identityIvEEEESG_SJ_SK_mSL_SN_bEUlT_E_NS1_11comp_targetILNS1_3genE5ELNS1_11target_archE942ELNS1_3gpuE9ELNS1_3repE0EEENS1_30default_config_static_selectorELNS0_4arch9wavefront6targetE1EEEvT1_,@function
_ZN7rocprim17ROCPRIM_400000_NS6detail17trampoline_kernelINS0_14default_configENS1_25transform_config_selectorItLb0EEEZNS1_14transform_implILb0ES3_S5_NS0_18transform_iteratorINS0_17counting_iteratorImlEEZNS1_24adjacent_difference_implIS3_Lb1ELb0EPtSB_N6thrust23THRUST_200600_302600_NS4plusItEEEE10hipError_tPvRmT2_T3_mT4_P12ihipStream_tbEUlmE_tEESB_NS0_8identityIvEEEESG_SJ_SK_mSL_SN_bEUlT_E_NS1_11comp_targetILNS1_3genE5ELNS1_11target_archE942ELNS1_3gpuE9ELNS1_3repE0EEENS1_30default_config_static_selectorELNS0_4arch9wavefront6targetE1EEEvT1_: ; @_ZN7rocprim17ROCPRIM_400000_NS6detail17trampoline_kernelINS0_14default_configENS1_25transform_config_selectorItLb0EEEZNS1_14transform_implILb0ES3_S5_NS0_18transform_iteratorINS0_17counting_iteratorImlEEZNS1_24adjacent_difference_implIS3_Lb1ELb0EPtSB_N6thrust23THRUST_200600_302600_NS4plusItEEEE10hipError_tPvRmT2_T3_mT4_P12ihipStream_tbEUlmE_tEESB_NS0_8identityIvEEEESG_SJ_SK_mSL_SN_bEUlT_E_NS1_11comp_targetILNS1_3genE5ELNS1_11target_archE942ELNS1_3gpuE9ELNS1_3repE0EEENS1_30default_config_static_selectorELNS0_4arch9wavefront6targetE1EEEvT1_
; %bb.0:
	.section	.rodata,"a",@progbits
	.p2align	6, 0x0
	.amdhsa_kernel _ZN7rocprim17ROCPRIM_400000_NS6detail17trampoline_kernelINS0_14default_configENS1_25transform_config_selectorItLb0EEEZNS1_14transform_implILb0ES3_S5_NS0_18transform_iteratorINS0_17counting_iteratorImlEEZNS1_24adjacent_difference_implIS3_Lb1ELb0EPtSB_N6thrust23THRUST_200600_302600_NS4plusItEEEE10hipError_tPvRmT2_T3_mT4_P12ihipStream_tbEUlmE_tEESB_NS0_8identityIvEEEESG_SJ_SK_mSL_SN_bEUlT_E_NS1_11comp_targetILNS1_3genE5ELNS1_11target_archE942ELNS1_3gpuE9ELNS1_3repE0EEENS1_30default_config_static_selectorELNS0_4arch9wavefront6targetE1EEEvT1_
		.amdhsa_group_segment_fixed_size 0
		.amdhsa_private_segment_fixed_size 0
		.amdhsa_kernarg_size 56
		.amdhsa_user_sgpr_count 6
		.amdhsa_user_sgpr_private_segment_buffer 1
		.amdhsa_user_sgpr_dispatch_ptr 0
		.amdhsa_user_sgpr_queue_ptr 0
		.amdhsa_user_sgpr_kernarg_segment_ptr 1
		.amdhsa_user_sgpr_dispatch_id 0
		.amdhsa_user_sgpr_flat_scratch_init 0
		.amdhsa_user_sgpr_kernarg_preload_length 0
		.amdhsa_user_sgpr_kernarg_preload_offset 0
		.amdhsa_user_sgpr_private_segment_size 0
		.amdhsa_uses_dynamic_stack 0
		.amdhsa_system_sgpr_private_segment_wavefront_offset 0
		.amdhsa_system_sgpr_workgroup_id_x 1
		.amdhsa_system_sgpr_workgroup_id_y 0
		.amdhsa_system_sgpr_workgroup_id_z 0
		.amdhsa_system_sgpr_workgroup_info 0
		.amdhsa_system_vgpr_workitem_id 0
		.amdhsa_next_free_vgpr 1
		.amdhsa_next_free_sgpr 0
		.amdhsa_accum_offset 4
		.amdhsa_reserve_vcc 0
		.amdhsa_reserve_flat_scratch 0
		.amdhsa_float_round_mode_32 0
		.amdhsa_float_round_mode_16_64 0
		.amdhsa_float_denorm_mode_32 3
		.amdhsa_float_denorm_mode_16_64 3
		.amdhsa_dx10_clamp 1
		.amdhsa_ieee_mode 1
		.amdhsa_fp16_overflow 0
		.amdhsa_tg_split 0
		.amdhsa_exception_fp_ieee_invalid_op 0
		.amdhsa_exception_fp_denorm_src 0
		.amdhsa_exception_fp_ieee_div_zero 0
		.amdhsa_exception_fp_ieee_overflow 0
		.amdhsa_exception_fp_ieee_underflow 0
		.amdhsa_exception_fp_ieee_inexact 0
		.amdhsa_exception_int_div_zero 0
	.end_amdhsa_kernel
	.section	.text._ZN7rocprim17ROCPRIM_400000_NS6detail17trampoline_kernelINS0_14default_configENS1_25transform_config_selectorItLb0EEEZNS1_14transform_implILb0ES3_S5_NS0_18transform_iteratorINS0_17counting_iteratorImlEEZNS1_24adjacent_difference_implIS3_Lb1ELb0EPtSB_N6thrust23THRUST_200600_302600_NS4plusItEEEE10hipError_tPvRmT2_T3_mT4_P12ihipStream_tbEUlmE_tEESB_NS0_8identityIvEEEESG_SJ_SK_mSL_SN_bEUlT_E_NS1_11comp_targetILNS1_3genE5ELNS1_11target_archE942ELNS1_3gpuE9ELNS1_3repE0EEENS1_30default_config_static_selectorELNS0_4arch9wavefront6targetE1EEEvT1_,"axG",@progbits,_ZN7rocprim17ROCPRIM_400000_NS6detail17trampoline_kernelINS0_14default_configENS1_25transform_config_selectorItLb0EEEZNS1_14transform_implILb0ES3_S5_NS0_18transform_iteratorINS0_17counting_iteratorImlEEZNS1_24adjacent_difference_implIS3_Lb1ELb0EPtSB_N6thrust23THRUST_200600_302600_NS4plusItEEEE10hipError_tPvRmT2_T3_mT4_P12ihipStream_tbEUlmE_tEESB_NS0_8identityIvEEEESG_SJ_SK_mSL_SN_bEUlT_E_NS1_11comp_targetILNS1_3genE5ELNS1_11target_archE942ELNS1_3gpuE9ELNS1_3repE0EEENS1_30default_config_static_selectorELNS0_4arch9wavefront6targetE1EEEvT1_,comdat
.Lfunc_end348:
	.size	_ZN7rocprim17ROCPRIM_400000_NS6detail17trampoline_kernelINS0_14default_configENS1_25transform_config_selectorItLb0EEEZNS1_14transform_implILb0ES3_S5_NS0_18transform_iteratorINS0_17counting_iteratorImlEEZNS1_24adjacent_difference_implIS3_Lb1ELb0EPtSB_N6thrust23THRUST_200600_302600_NS4plusItEEEE10hipError_tPvRmT2_T3_mT4_P12ihipStream_tbEUlmE_tEESB_NS0_8identityIvEEEESG_SJ_SK_mSL_SN_bEUlT_E_NS1_11comp_targetILNS1_3genE5ELNS1_11target_archE942ELNS1_3gpuE9ELNS1_3repE0EEENS1_30default_config_static_selectorELNS0_4arch9wavefront6targetE1EEEvT1_, .Lfunc_end348-_ZN7rocprim17ROCPRIM_400000_NS6detail17trampoline_kernelINS0_14default_configENS1_25transform_config_selectorItLb0EEEZNS1_14transform_implILb0ES3_S5_NS0_18transform_iteratorINS0_17counting_iteratorImlEEZNS1_24adjacent_difference_implIS3_Lb1ELb0EPtSB_N6thrust23THRUST_200600_302600_NS4plusItEEEE10hipError_tPvRmT2_T3_mT4_P12ihipStream_tbEUlmE_tEESB_NS0_8identityIvEEEESG_SJ_SK_mSL_SN_bEUlT_E_NS1_11comp_targetILNS1_3genE5ELNS1_11target_archE942ELNS1_3gpuE9ELNS1_3repE0EEENS1_30default_config_static_selectorELNS0_4arch9wavefront6targetE1EEEvT1_
                                        ; -- End function
	.section	.AMDGPU.csdata,"",@progbits
; Kernel info:
; codeLenInByte = 0
; NumSgprs: 4
; NumVgprs: 0
; NumAgprs: 0
; TotalNumVgprs: 0
; ScratchSize: 0
; MemoryBound: 0
; FloatMode: 240
; IeeeMode: 1
; LDSByteSize: 0 bytes/workgroup (compile time only)
; SGPRBlocks: 0
; VGPRBlocks: 0
; NumSGPRsForWavesPerEU: 4
; NumVGPRsForWavesPerEU: 1
; AccumOffset: 4
; Occupancy: 8
; WaveLimiterHint : 0
; COMPUTE_PGM_RSRC2:SCRATCH_EN: 0
; COMPUTE_PGM_RSRC2:USER_SGPR: 6
; COMPUTE_PGM_RSRC2:TRAP_HANDLER: 0
; COMPUTE_PGM_RSRC2:TGID_X_EN: 1
; COMPUTE_PGM_RSRC2:TGID_Y_EN: 0
; COMPUTE_PGM_RSRC2:TGID_Z_EN: 0
; COMPUTE_PGM_RSRC2:TIDIG_COMP_CNT: 0
; COMPUTE_PGM_RSRC3_GFX90A:ACCUM_OFFSET: 0
; COMPUTE_PGM_RSRC3_GFX90A:TG_SPLIT: 0
	.section	.text._ZN7rocprim17ROCPRIM_400000_NS6detail17trampoline_kernelINS0_14default_configENS1_25transform_config_selectorItLb0EEEZNS1_14transform_implILb0ES3_S5_NS0_18transform_iteratorINS0_17counting_iteratorImlEEZNS1_24adjacent_difference_implIS3_Lb1ELb0EPtSB_N6thrust23THRUST_200600_302600_NS4plusItEEEE10hipError_tPvRmT2_T3_mT4_P12ihipStream_tbEUlmE_tEESB_NS0_8identityIvEEEESG_SJ_SK_mSL_SN_bEUlT_E_NS1_11comp_targetILNS1_3genE4ELNS1_11target_archE910ELNS1_3gpuE8ELNS1_3repE0EEENS1_30default_config_static_selectorELNS0_4arch9wavefront6targetE1EEEvT1_,"axG",@progbits,_ZN7rocprim17ROCPRIM_400000_NS6detail17trampoline_kernelINS0_14default_configENS1_25transform_config_selectorItLb0EEEZNS1_14transform_implILb0ES3_S5_NS0_18transform_iteratorINS0_17counting_iteratorImlEEZNS1_24adjacent_difference_implIS3_Lb1ELb0EPtSB_N6thrust23THRUST_200600_302600_NS4plusItEEEE10hipError_tPvRmT2_T3_mT4_P12ihipStream_tbEUlmE_tEESB_NS0_8identityIvEEEESG_SJ_SK_mSL_SN_bEUlT_E_NS1_11comp_targetILNS1_3genE4ELNS1_11target_archE910ELNS1_3gpuE8ELNS1_3repE0EEENS1_30default_config_static_selectorELNS0_4arch9wavefront6targetE1EEEvT1_,comdat
	.protected	_ZN7rocprim17ROCPRIM_400000_NS6detail17trampoline_kernelINS0_14default_configENS1_25transform_config_selectorItLb0EEEZNS1_14transform_implILb0ES3_S5_NS0_18transform_iteratorINS0_17counting_iteratorImlEEZNS1_24adjacent_difference_implIS3_Lb1ELb0EPtSB_N6thrust23THRUST_200600_302600_NS4plusItEEEE10hipError_tPvRmT2_T3_mT4_P12ihipStream_tbEUlmE_tEESB_NS0_8identityIvEEEESG_SJ_SK_mSL_SN_bEUlT_E_NS1_11comp_targetILNS1_3genE4ELNS1_11target_archE910ELNS1_3gpuE8ELNS1_3repE0EEENS1_30default_config_static_selectorELNS0_4arch9wavefront6targetE1EEEvT1_ ; -- Begin function _ZN7rocprim17ROCPRIM_400000_NS6detail17trampoline_kernelINS0_14default_configENS1_25transform_config_selectorItLb0EEEZNS1_14transform_implILb0ES3_S5_NS0_18transform_iteratorINS0_17counting_iteratorImlEEZNS1_24adjacent_difference_implIS3_Lb1ELb0EPtSB_N6thrust23THRUST_200600_302600_NS4plusItEEEE10hipError_tPvRmT2_T3_mT4_P12ihipStream_tbEUlmE_tEESB_NS0_8identityIvEEEESG_SJ_SK_mSL_SN_bEUlT_E_NS1_11comp_targetILNS1_3genE4ELNS1_11target_archE910ELNS1_3gpuE8ELNS1_3repE0EEENS1_30default_config_static_selectorELNS0_4arch9wavefront6targetE1EEEvT1_
	.globl	_ZN7rocprim17ROCPRIM_400000_NS6detail17trampoline_kernelINS0_14default_configENS1_25transform_config_selectorItLb0EEEZNS1_14transform_implILb0ES3_S5_NS0_18transform_iteratorINS0_17counting_iteratorImlEEZNS1_24adjacent_difference_implIS3_Lb1ELb0EPtSB_N6thrust23THRUST_200600_302600_NS4plusItEEEE10hipError_tPvRmT2_T3_mT4_P12ihipStream_tbEUlmE_tEESB_NS0_8identityIvEEEESG_SJ_SK_mSL_SN_bEUlT_E_NS1_11comp_targetILNS1_3genE4ELNS1_11target_archE910ELNS1_3gpuE8ELNS1_3repE0EEENS1_30default_config_static_selectorELNS0_4arch9wavefront6targetE1EEEvT1_
	.p2align	8
	.type	_ZN7rocprim17ROCPRIM_400000_NS6detail17trampoline_kernelINS0_14default_configENS1_25transform_config_selectorItLb0EEEZNS1_14transform_implILb0ES3_S5_NS0_18transform_iteratorINS0_17counting_iteratorImlEEZNS1_24adjacent_difference_implIS3_Lb1ELb0EPtSB_N6thrust23THRUST_200600_302600_NS4plusItEEEE10hipError_tPvRmT2_T3_mT4_P12ihipStream_tbEUlmE_tEESB_NS0_8identityIvEEEESG_SJ_SK_mSL_SN_bEUlT_E_NS1_11comp_targetILNS1_3genE4ELNS1_11target_archE910ELNS1_3gpuE8ELNS1_3repE0EEENS1_30default_config_static_selectorELNS0_4arch9wavefront6targetE1EEEvT1_,@function
_ZN7rocprim17ROCPRIM_400000_NS6detail17trampoline_kernelINS0_14default_configENS1_25transform_config_selectorItLb0EEEZNS1_14transform_implILb0ES3_S5_NS0_18transform_iteratorINS0_17counting_iteratorImlEEZNS1_24adjacent_difference_implIS3_Lb1ELb0EPtSB_N6thrust23THRUST_200600_302600_NS4plusItEEEE10hipError_tPvRmT2_T3_mT4_P12ihipStream_tbEUlmE_tEESB_NS0_8identityIvEEEESG_SJ_SK_mSL_SN_bEUlT_E_NS1_11comp_targetILNS1_3genE4ELNS1_11target_archE910ELNS1_3gpuE8ELNS1_3repE0EEENS1_30default_config_static_selectorELNS0_4arch9wavefront6targetE1EEEvT1_: ; @_ZN7rocprim17ROCPRIM_400000_NS6detail17trampoline_kernelINS0_14default_configENS1_25transform_config_selectorItLb0EEEZNS1_14transform_implILb0ES3_S5_NS0_18transform_iteratorINS0_17counting_iteratorImlEEZNS1_24adjacent_difference_implIS3_Lb1ELb0EPtSB_N6thrust23THRUST_200600_302600_NS4plusItEEEE10hipError_tPvRmT2_T3_mT4_P12ihipStream_tbEUlmE_tEESB_NS0_8identityIvEEEESG_SJ_SK_mSL_SN_bEUlT_E_NS1_11comp_targetILNS1_3genE4ELNS1_11target_archE910ELNS1_3gpuE8ELNS1_3repE0EEENS1_30default_config_static_selectorELNS0_4arch9wavefront6targetE1EEEvT1_
; %bb.0:
	s_load_dwordx4 s[0:3], s[4:5], 0x18
	s_load_dwordx2 s[8:9], s[4:5], 0x28
	s_load_dwordx4 s[16:19], s[4:5], 0x0
	s_load_dword s22, s[4:5], 0x10
	s_waitcnt lgkmcnt(0)
	s_load_dword s3, s[4:5], 0x38
                                        ; kill: killed $sgpr4_sgpr5
	s_lshl_b64 s[4:5], s[0:1], 1
	s_add_u32 s26, s8, s4
	s_addc_u32 s27, s9, s5
	s_lshl_b32 s20, s6, 9
	s_waitcnt lgkmcnt(0)
	s_add_i32 s3, s3, -1
	s_add_u32 s4, s16, s20
	s_addc_u32 s5, s17, 0
	s_add_u32 s28, s4, s0
	s_addc_u32 s29, s5, s1
	s_mov_b32 s21, 0
	s_cmp_lg_u32 s6, s3
	v_lshlrev_b32_e32 v1, 1, v0
	s_cbranch_scc0 .LBB349_2
; %bb.1:
	v_mov_b32_e32 v2, s29
	v_add_co_u32_e32 v3, vcc, s28, v0
	v_addc_co_u32_e32 v5, vcc, 0, v2, vcc
	v_mad_u64_u32 v[2:3], s[0:1], v3, s22, 0
	v_mov_b32_e32 v4, v3
	v_mad_u64_u32 v[4:5], s[0:1], v5, s22, v[4:5]
	v_mov_b32_e32 v3, v4
	v_lshlrev_b64 v[2:3], 1, v[2:3]
	s_mov_b32 s23, s21
	v_mov_b32_e32 v4, s19
	v_add_co_u32_e32 v2, vcc, s18, v2
	v_addc_co_u32_e32 v3, vcc, v4, v3, vcc
	s_lshl_b64 s[0:1], s[22:23], 7
	v_mov_b32_e32 v12, s1
	v_add_co_u32_e32 v4, vcc, s0, v2
	v_addc_co_u32_e32 v5, vcc, v3, v12, vcc
	v_add_co_u32_e32 v6, vcc, s0, v4
	v_addc_co_u32_e32 v7, vcc, v5, v12, vcc
	;; [unrolled: 2-line block ×4, first 2 shown]
	global_load_ushort v13, v[2:3], off
	global_load_ushort v14, v[4:5], off
	;; [unrolled: 1-line block ×5, first 2 shown]
	v_add_co_u32_e32 v2, vcc, s0, v10
	v_addc_co_u32_e32 v3, vcc, v11, v12, vcc
	global_load_ushort v4, v[2:3], off
	v_add_co_u32_e32 v2, vcc, s0, v2
	v_addc_co_u32_e32 v3, vcc, v3, v12, vcc
	global_load_ushort v5, v[2:3], off
	;; [unrolled: 3-line block ×3, first 2 shown]
	s_lshl_b64 s[4:5], s[20:21], 1
	s_add_u32 s4, s26, s4
	s_addc_u32 s5, s27, s5
	v_mov_b32_e32 v3, s5
	v_add_co_u32_e32 v6, vcc, s4, v1
	v_addc_co_u32_e32 v7, vcc, 0, v3, vcc
	s_mov_b64 s[16:17], -1
	s_waitcnt vmcnt(7)
	global_store_short v1, v13, s[4:5]
	s_waitcnt vmcnt(7)
	global_store_short v1, v14, s[4:5] offset:128
	s_waitcnt vmcnt(7)
	global_store_short v1, v15, s[4:5] offset:256
	;; [unrolled: 2-line block ×6, first 2 shown]
	s_cbranch_execz .LBB349_3
	s_branch .LBB349_32
.LBB349_2:
	s_mov_b64 s[16:17], 0
                                        ; implicit-def: $vgpr2
                                        ; implicit-def: $vgpr6_vgpr7
.LBB349_3:
	s_sub_i32 s23, s2, s20
	v_cmp_gt_u32_e32 vcc, s23, v0
                                        ; implicit-def: $vgpr2_vgpr3_vgpr4_vgpr5
	s_and_saveexec_b64 s[2:3], vcc
	s_cbranch_execz .LBB349_5
; %bb.4:
	s_waitcnt vmcnt(7)
	v_mov_b32_e32 v2, s29
	v_add_co_u32_e64 v3, s[0:1], s28, v0
	v_addc_co_u32_e64 v5, s[0:1], 0, v2, s[0:1]
	v_mad_u64_u32 v[2:3], s[0:1], v3, s22, 0
	v_mov_b32_e32 v4, v3
	v_mad_u64_u32 v[4:5], s[0:1], v5, s22, v[4:5]
	v_mov_b32_e32 v3, v4
	v_lshlrev_b64 v[2:3], 1, v[2:3]
	v_mov_b32_e32 v4, s19
	v_add_co_u32_e64 v2, s[0:1], s18, v2
	v_addc_co_u32_e64 v3, s[0:1], v4, v3, s[0:1]
	global_load_ushort v2, v[2:3], off
.LBB349_5:
	s_or_b64 exec, exec, s[2:3]
	v_or_b32_e32 v6, 64, v0
	v_cmp_gt_u32_e64 s[0:1], s23, v6
	s_and_saveexec_b64 s[4:5], s[0:1]
	s_cbranch_execz .LBB349_7
; %bb.6:
	v_mov_b32_e32 v7, s29
	v_add_co_u32_e64 v6, s[2:3], s28, v6
	v_addc_co_u32_e64 v9, s[2:3], 0, v7, s[2:3]
	v_mad_u64_u32 v[6:7], s[2:3], v6, s22, 0
	v_mov_b32_e32 v8, v7
	v_mad_u64_u32 v[8:9], s[2:3], v9, s22, v[8:9]
	v_mov_b32_e32 v7, v8
	v_lshlrev_b64 v[6:7], 1, v[6:7]
	v_mov_b32_e32 v8, s19
	v_add_co_u32_e64 v6, s[2:3], s18, v6
	v_addc_co_u32_e64 v7, s[2:3], v8, v7, s[2:3]
	global_load_ushort v6, v[6:7], off
	s_mov_b32 s2, 0x5040100
	s_waitcnt vmcnt(0)
	v_perm_b32 v2, v6, v2, s2
.LBB349_7:
	s_or_b64 exec, exec, s[4:5]
	v_or_b32_e32 v6, 0x80, v0
	v_cmp_gt_u32_e64 s[2:3], s23, v6
	s_and_saveexec_b64 s[6:7], s[2:3]
	s_cbranch_execz .LBB349_9
; %bb.8:
	v_mov_b32_e32 v7, s29
	v_add_co_u32_e64 v6, s[4:5], s28, v6
	v_addc_co_u32_e64 v9, s[4:5], 0, v7, s[4:5]
	v_mad_u64_u32 v[6:7], s[4:5], v6, s22, 0
	v_mov_b32_e32 v8, v7
	v_mad_u64_u32 v[8:9], s[4:5], v9, s22, v[8:9]
	v_mov_b32_e32 v7, v8
	v_lshlrev_b64 v[6:7], 1, v[6:7]
	v_mov_b32_e32 v8, s19
	v_add_co_u32_e64 v6, s[4:5], s18, v6
	v_addc_co_u32_e64 v7, s[4:5], v8, v7, s[4:5]
	global_load_ushort v6, v[6:7], off
	s_mov_b32 s4, 0xffff
	s_waitcnt vmcnt(0)
	v_bfi_b32 v3, s4, v6, v3
.LBB349_9:
	s_or_b64 exec, exec, s[6:7]
	v_or_b32_e32 v6, 0xc0, v0
	v_cmp_gt_u32_e64 s[4:5], s23, v6
	s_and_saveexec_b64 s[8:9], s[4:5]
	s_cbranch_execz .LBB349_11
; %bb.10:
	v_mov_b32_e32 v7, s29
	v_add_co_u32_e64 v6, s[6:7], s28, v6
	v_addc_co_u32_e64 v9, s[6:7], 0, v7, s[6:7]
	v_mad_u64_u32 v[6:7], s[6:7], v6, s22, 0
	v_mov_b32_e32 v8, v7
	v_mad_u64_u32 v[8:9], s[6:7], v9, s22, v[8:9]
	v_mov_b32_e32 v7, v8
	v_lshlrev_b64 v[6:7], 1, v[6:7]
	v_mov_b32_e32 v8, s19
	v_add_co_u32_e64 v6, s[6:7], s18, v6
	v_addc_co_u32_e64 v7, s[6:7], v8, v7, s[6:7]
	global_load_ushort v6, v[6:7], off
	s_mov_b32 s6, 0x5040100
	s_waitcnt vmcnt(0)
	v_perm_b32 v3, v6, v3, s6
.LBB349_11:
	s_or_b64 exec, exec, s[8:9]
	v_or_b32_e32 v6, 0x100, v0
	v_cmp_gt_u32_e64 s[6:7], s23, v6
	s_and_saveexec_b64 s[10:11], s[6:7]
	s_cbranch_execz .LBB349_13
; %bb.12:
	v_mov_b32_e32 v7, s29
	v_add_co_u32_e64 v6, s[8:9], s28, v6
	v_addc_co_u32_e64 v9, s[8:9], 0, v7, s[8:9]
	v_mad_u64_u32 v[6:7], s[8:9], v6, s22, 0
	v_mov_b32_e32 v8, v7
	v_mad_u64_u32 v[8:9], s[8:9], v9, s22, v[8:9]
	v_mov_b32_e32 v7, v8
	v_lshlrev_b64 v[6:7], 1, v[6:7]
	v_mov_b32_e32 v8, s19
	v_add_co_u32_e64 v6, s[8:9], s18, v6
	v_addc_co_u32_e64 v7, s[8:9], v8, v7, s[8:9]
	global_load_ushort v6, v[6:7], off
	s_mov_b32 s8, 0xffff
	s_waitcnt vmcnt(0)
	v_bfi_b32 v4, s8, v6, v4
.LBB349_13:
	;; [unrolled: 44-line block ×3, first 2 shown]
	s_or_b64 exec, exec, s[14:15]
	v_or_b32_e32 v0, 0x1c0, v0
	v_cmp_gt_u32_e64 s[12:13], s23, v0
	s_and_saveexec_b64 s[24:25], s[12:13]
	s_cbranch_execz .LBB349_19
; %bb.18:
	v_mov_b32_e32 v6, s29
	v_add_co_u32_e64 v0, s[14:15], s28, v0
	v_addc_co_u32_e64 v8, s[14:15], 0, v6, s[14:15]
	v_mad_u64_u32 v[6:7], s[14:15], v0, s22, 0
	v_mov_b32_e32 v0, v7
	v_mad_u64_u32 v[8:9], s[14:15], v8, s22, v[0:1]
	v_mov_b32_e32 v7, v8
	v_lshlrev_b64 v[6:7], 1, v[6:7]
	v_mov_b32_e32 v0, s19
	v_add_co_u32_e64 v6, s[14:15], s18, v6
	v_addc_co_u32_e64 v7, s[14:15], v0, v7, s[14:15]
	global_load_ushort v0, v[6:7], off
	s_mov_b32 s14, 0x5040100
	s_waitcnt vmcnt(0)
	v_perm_b32 v5, v0, v5, s14
.LBB349_19:
	s_or_b64 exec, exec, s[24:25]
	s_lshl_b64 s[14:15], s[20:21], 1
	s_add_u32 s14, s26, s14
	s_addc_u32 s15, s27, s15
	v_mov_b32_e32 v0, s15
	v_add_co_u32_e64 v6, s[14:15], s14, v1
	v_addc_co_u32_e64 v7, s[14:15], 0, v0, s[14:15]
	s_and_saveexec_b64 s[14:15], vcc
	s_cbranch_execnz .LBB349_35
; %bb.20:
	s_or_b64 exec, exec, s[14:15]
	s_and_saveexec_b64 s[14:15], s[0:1]
	s_cbranch_execnz .LBB349_36
.LBB349_21:
	s_or_b64 exec, exec, s[14:15]
	s_mov_b32 s14, 0xffff
	s_and_saveexec_b64 s[0:1], s[2:3]
	s_cbranch_execz .LBB349_23
.LBB349_22:
	global_store_short v[6:7], v3, off offset:256
.LBB349_23:
	s_or_b64 exec, exec, s[0:1]
	v_bfi_b32 v0, s14, v3, v3
	v_cndmask_b32_e64 v0, v0, v3, s[4:5]
	s_and_saveexec_b64 s[0:1], s[4:5]
	s_cbranch_execz .LBB349_25
; %bb.24:
	global_store_short_d16_hi v[6:7], v0, off offset:384
.LBB349_25:
	s_or_b64 exec, exec, s[0:1]
	s_mov_b32 s2, 0xffff
	v_cndmask_b32_e64 v0, v4, v4, s[6:7]
	s_and_saveexec_b64 s[0:1], s[6:7]
	s_cbranch_execz .LBB349_27
; %bb.26:
	global_store_short v[6:7], v0, off offset:512
.LBB349_27:
	s_or_b64 exec, exec, s[0:1]
	v_bfi_b32 v0, s2, v0, v4
	v_cndmask_b32_e64 v0, v0, v4, s[8:9]
	s_and_saveexec_b64 s[0:1], s[8:9]
	s_cbranch_execnz .LBB349_37
; %bb.28:
	s_or_b64 exec, exec, s[0:1]
	s_and_saveexec_b64 s[0:1], s[10:11]
	s_cbranch_execnz .LBB349_38
.LBB349_29:
	s_or_b64 exec, exec, s[0:1]
                                        ; implicit-def: $vgpr2
	s_and_saveexec_b64 s[0:1], s[12:13]
	s_cbranch_execz .LBB349_31
.LBB349_30:
	v_cndmask_b32_e64 v0, v5, v5, s[12:13]
	s_waitcnt vmcnt(0)
	v_lshrrev_b32_e32 v2, 16, v0
	s_or_b64 s[16:17], s[16:17], exec
.LBB349_31:
	s_or_b64 exec, exec, s[0:1]
.LBB349_32:
	s_and_saveexec_b64 s[0:1], s[16:17]
	s_cbranch_execnz .LBB349_34
; %bb.33:
	s_endpgm
.LBB349_34:
	s_waitcnt vmcnt(0)
	global_store_short v[6:7], v2, off offset:896
	s_endpgm
.LBB349_35:
	s_waitcnt vmcnt(0)
	global_store_short v[6:7], v2, off
	s_or_b64 exec, exec, s[14:15]
	s_and_saveexec_b64 s[14:15], s[0:1]
	s_cbranch_execz .LBB349_21
.LBB349_36:
	s_waitcnt vmcnt(0)
	global_store_short_d16_hi v[6:7], v2, off offset:128
	s_or_b64 exec, exec, s[14:15]
	s_mov_b32 s14, 0xffff
	s_and_saveexec_b64 s[0:1], s[2:3]
	s_cbranch_execnz .LBB349_22
	s_branch .LBB349_23
.LBB349_37:
	global_store_short_d16_hi v[6:7], v0, off offset:640
	s_or_b64 exec, exec, s[0:1]
	s_and_saveexec_b64 s[0:1], s[10:11]
	s_cbranch_execz .LBB349_29
.LBB349_38:
	v_cndmask_b32_e64 v0, v5, v5, s[10:11]
	global_store_short v[6:7], v0, off offset:768
	s_or_b64 exec, exec, s[0:1]
                                        ; implicit-def: $vgpr2
	s_and_saveexec_b64 s[0:1], s[12:13]
	s_cbranch_execnz .LBB349_30
	s_branch .LBB349_31
	.section	.rodata,"a",@progbits
	.p2align	6, 0x0
	.amdhsa_kernel _ZN7rocprim17ROCPRIM_400000_NS6detail17trampoline_kernelINS0_14default_configENS1_25transform_config_selectorItLb0EEEZNS1_14transform_implILb0ES3_S5_NS0_18transform_iteratorINS0_17counting_iteratorImlEEZNS1_24adjacent_difference_implIS3_Lb1ELb0EPtSB_N6thrust23THRUST_200600_302600_NS4plusItEEEE10hipError_tPvRmT2_T3_mT4_P12ihipStream_tbEUlmE_tEESB_NS0_8identityIvEEEESG_SJ_SK_mSL_SN_bEUlT_E_NS1_11comp_targetILNS1_3genE4ELNS1_11target_archE910ELNS1_3gpuE8ELNS1_3repE0EEENS1_30default_config_static_selectorELNS0_4arch9wavefront6targetE1EEEvT1_
		.amdhsa_group_segment_fixed_size 0
		.amdhsa_private_segment_fixed_size 0
		.amdhsa_kernarg_size 312
		.amdhsa_user_sgpr_count 6
		.amdhsa_user_sgpr_private_segment_buffer 1
		.amdhsa_user_sgpr_dispatch_ptr 0
		.amdhsa_user_sgpr_queue_ptr 0
		.amdhsa_user_sgpr_kernarg_segment_ptr 1
		.amdhsa_user_sgpr_dispatch_id 0
		.amdhsa_user_sgpr_flat_scratch_init 0
		.amdhsa_user_sgpr_kernarg_preload_length 0
		.amdhsa_user_sgpr_kernarg_preload_offset 0
		.amdhsa_user_sgpr_private_segment_size 0
		.amdhsa_uses_dynamic_stack 0
		.amdhsa_system_sgpr_private_segment_wavefront_offset 0
		.amdhsa_system_sgpr_workgroup_id_x 1
		.amdhsa_system_sgpr_workgroup_id_y 0
		.amdhsa_system_sgpr_workgroup_id_z 0
		.amdhsa_system_sgpr_workgroup_info 0
		.amdhsa_system_vgpr_workitem_id 0
		.amdhsa_next_free_vgpr 18
		.amdhsa_next_free_sgpr 30
		.amdhsa_accum_offset 20
		.amdhsa_reserve_vcc 1
		.amdhsa_reserve_flat_scratch 0
		.amdhsa_float_round_mode_32 0
		.amdhsa_float_round_mode_16_64 0
		.amdhsa_float_denorm_mode_32 3
		.amdhsa_float_denorm_mode_16_64 3
		.amdhsa_dx10_clamp 1
		.amdhsa_ieee_mode 1
		.amdhsa_fp16_overflow 0
		.amdhsa_tg_split 0
		.amdhsa_exception_fp_ieee_invalid_op 0
		.amdhsa_exception_fp_denorm_src 0
		.amdhsa_exception_fp_ieee_div_zero 0
		.amdhsa_exception_fp_ieee_overflow 0
		.amdhsa_exception_fp_ieee_underflow 0
		.amdhsa_exception_fp_ieee_inexact 0
		.amdhsa_exception_int_div_zero 0
	.end_amdhsa_kernel
	.section	.text._ZN7rocprim17ROCPRIM_400000_NS6detail17trampoline_kernelINS0_14default_configENS1_25transform_config_selectorItLb0EEEZNS1_14transform_implILb0ES3_S5_NS0_18transform_iteratorINS0_17counting_iteratorImlEEZNS1_24adjacent_difference_implIS3_Lb1ELb0EPtSB_N6thrust23THRUST_200600_302600_NS4plusItEEEE10hipError_tPvRmT2_T3_mT4_P12ihipStream_tbEUlmE_tEESB_NS0_8identityIvEEEESG_SJ_SK_mSL_SN_bEUlT_E_NS1_11comp_targetILNS1_3genE4ELNS1_11target_archE910ELNS1_3gpuE8ELNS1_3repE0EEENS1_30default_config_static_selectorELNS0_4arch9wavefront6targetE1EEEvT1_,"axG",@progbits,_ZN7rocprim17ROCPRIM_400000_NS6detail17trampoline_kernelINS0_14default_configENS1_25transform_config_selectorItLb0EEEZNS1_14transform_implILb0ES3_S5_NS0_18transform_iteratorINS0_17counting_iteratorImlEEZNS1_24adjacent_difference_implIS3_Lb1ELb0EPtSB_N6thrust23THRUST_200600_302600_NS4plusItEEEE10hipError_tPvRmT2_T3_mT4_P12ihipStream_tbEUlmE_tEESB_NS0_8identityIvEEEESG_SJ_SK_mSL_SN_bEUlT_E_NS1_11comp_targetILNS1_3genE4ELNS1_11target_archE910ELNS1_3gpuE8ELNS1_3repE0EEENS1_30default_config_static_selectorELNS0_4arch9wavefront6targetE1EEEvT1_,comdat
.Lfunc_end349:
	.size	_ZN7rocprim17ROCPRIM_400000_NS6detail17trampoline_kernelINS0_14default_configENS1_25transform_config_selectorItLb0EEEZNS1_14transform_implILb0ES3_S5_NS0_18transform_iteratorINS0_17counting_iteratorImlEEZNS1_24adjacent_difference_implIS3_Lb1ELb0EPtSB_N6thrust23THRUST_200600_302600_NS4plusItEEEE10hipError_tPvRmT2_T3_mT4_P12ihipStream_tbEUlmE_tEESB_NS0_8identityIvEEEESG_SJ_SK_mSL_SN_bEUlT_E_NS1_11comp_targetILNS1_3genE4ELNS1_11target_archE910ELNS1_3gpuE8ELNS1_3repE0EEENS1_30default_config_static_selectorELNS0_4arch9wavefront6targetE1EEEvT1_, .Lfunc_end349-_ZN7rocprim17ROCPRIM_400000_NS6detail17trampoline_kernelINS0_14default_configENS1_25transform_config_selectorItLb0EEEZNS1_14transform_implILb0ES3_S5_NS0_18transform_iteratorINS0_17counting_iteratorImlEEZNS1_24adjacent_difference_implIS3_Lb1ELb0EPtSB_N6thrust23THRUST_200600_302600_NS4plusItEEEE10hipError_tPvRmT2_T3_mT4_P12ihipStream_tbEUlmE_tEESB_NS0_8identityIvEEEESG_SJ_SK_mSL_SN_bEUlT_E_NS1_11comp_targetILNS1_3genE4ELNS1_11target_archE910ELNS1_3gpuE8ELNS1_3repE0EEENS1_30default_config_static_selectorELNS0_4arch9wavefront6targetE1EEEvT1_
                                        ; -- End function
	.section	.AMDGPU.csdata,"",@progbits
; Kernel info:
; codeLenInByte = 1776
; NumSgprs: 34
; NumVgprs: 18
; NumAgprs: 0
; TotalNumVgprs: 18
; ScratchSize: 0
; MemoryBound: 0
; FloatMode: 240
; IeeeMode: 1
; LDSByteSize: 0 bytes/workgroup (compile time only)
; SGPRBlocks: 4
; VGPRBlocks: 2
; NumSGPRsForWavesPerEU: 34
; NumVGPRsForWavesPerEU: 18
; AccumOffset: 20
; Occupancy: 8
; WaveLimiterHint : 1
; COMPUTE_PGM_RSRC2:SCRATCH_EN: 0
; COMPUTE_PGM_RSRC2:USER_SGPR: 6
; COMPUTE_PGM_RSRC2:TRAP_HANDLER: 0
; COMPUTE_PGM_RSRC2:TGID_X_EN: 1
; COMPUTE_PGM_RSRC2:TGID_Y_EN: 0
; COMPUTE_PGM_RSRC2:TGID_Z_EN: 0
; COMPUTE_PGM_RSRC2:TIDIG_COMP_CNT: 0
; COMPUTE_PGM_RSRC3_GFX90A:ACCUM_OFFSET: 4
; COMPUTE_PGM_RSRC3_GFX90A:TG_SPLIT: 0
	.section	.text._ZN7rocprim17ROCPRIM_400000_NS6detail17trampoline_kernelINS0_14default_configENS1_25transform_config_selectorItLb0EEEZNS1_14transform_implILb0ES3_S5_NS0_18transform_iteratorINS0_17counting_iteratorImlEEZNS1_24adjacent_difference_implIS3_Lb1ELb0EPtSB_N6thrust23THRUST_200600_302600_NS4plusItEEEE10hipError_tPvRmT2_T3_mT4_P12ihipStream_tbEUlmE_tEESB_NS0_8identityIvEEEESG_SJ_SK_mSL_SN_bEUlT_E_NS1_11comp_targetILNS1_3genE3ELNS1_11target_archE908ELNS1_3gpuE7ELNS1_3repE0EEENS1_30default_config_static_selectorELNS0_4arch9wavefront6targetE1EEEvT1_,"axG",@progbits,_ZN7rocprim17ROCPRIM_400000_NS6detail17trampoline_kernelINS0_14default_configENS1_25transform_config_selectorItLb0EEEZNS1_14transform_implILb0ES3_S5_NS0_18transform_iteratorINS0_17counting_iteratorImlEEZNS1_24adjacent_difference_implIS3_Lb1ELb0EPtSB_N6thrust23THRUST_200600_302600_NS4plusItEEEE10hipError_tPvRmT2_T3_mT4_P12ihipStream_tbEUlmE_tEESB_NS0_8identityIvEEEESG_SJ_SK_mSL_SN_bEUlT_E_NS1_11comp_targetILNS1_3genE3ELNS1_11target_archE908ELNS1_3gpuE7ELNS1_3repE0EEENS1_30default_config_static_selectorELNS0_4arch9wavefront6targetE1EEEvT1_,comdat
	.protected	_ZN7rocprim17ROCPRIM_400000_NS6detail17trampoline_kernelINS0_14default_configENS1_25transform_config_selectorItLb0EEEZNS1_14transform_implILb0ES3_S5_NS0_18transform_iteratorINS0_17counting_iteratorImlEEZNS1_24adjacent_difference_implIS3_Lb1ELb0EPtSB_N6thrust23THRUST_200600_302600_NS4plusItEEEE10hipError_tPvRmT2_T3_mT4_P12ihipStream_tbEUlmE_tEESB_NS0_8identityIvEEEESG_SJ_SK_mSL_SN_bEUlT_E_NS1_11comp_targetILNS1_3genE3ELNS1_11target_archE908ELNS1_3gpuE7ELNS1_3repE0EEENS1_30default_config_static_selectorELNS0_4arch9wavefront6targetE1EEEvT1_ ; -- Begin function _ZN7rocprim17ROCPRIM_400000_NS6detail17trampoline_kernelINS0_14default_configENS1_25transform_config_selectorItLb0EEEZNS1_14transform_implILb0ES3_S5_NS0_18transform_iteratorINS0_17counting_iteratorImlEEZNS1_24adjacent_difference_implIS3_Lb1ELb0EPtSB_N6thrust23THRUST_200600_302600_NS4plusItEEEE10hipError_tPvRmT2_T3_mT4_P12ihipStream_tbEUlmE_tEESB_NS0_8identityIvEEEESG_SJ_SK_mSL_SN_bEUlT_E_NS1_11comp_targetILNS1_3genE3ELNS1_11target_archE908ELNS1_3gpuE7ELNS1_3repE0EEENS1_30default_config_static_selectorELNS0_4arch9wavefront6targetE1EEEvT1_
	.globl	_ZN7rocprim17ROCPRIM_400000_NS6detail17trampoline_kernelINS0_14default_configENS1_25transform_config_selectorItLb0EEEZNS1_14transform_implILb0ES3_S5_NS0_18transform_iteratorINS0_17counting_iteratorImlEEZNS1_24adjacent_difference_implIS3_Lb1ELb0EPtSB_N6thrust23THRUST_200600_302600_NS4plusItEEEE10hipError_tPvRmT2_T3_mT4_P12ihipStream_tbEUlmE_tEESB_NS0_8identityIvEEEESG_SJ_SK_mSL_SN_bEUlT_E_NS1_11comp_targetILNS1_3genE3ELNS1_11target_archE908ELNS1_3gpuE7ELNS1_3repE0EEENS1_30default_config_static_selectorELNS0_4arch9wavefront6targetE1EEEvT1_
	.p2align	8
	.type	_ZN7rocprim17ROCPRIM_400000_NS6detail17trampoline_kernelINS0_14default_configENS1_25transform_config_selectorItLb0EEEZNS1_14transform_implILb0ES3_S5_NS0_18transform_iteratorINS0_17counting_iteratorImlEEZNS1_24adjacent_difference_implIS3_Lb1ELb0EPtSB_N6thrust23THRUST_200600_302600_NS4plusItEEEE10hipError_tPvRmT2_T3_mT4_P12ihipStream_tbEUlmE_tEESB_NS0_8identityIvEEEESG_SJ_SK_mSL_SN_bEUlT_E_NS1_11comp_targetILNS1_3genE3ELNS1_11target_archE908ELNS1_3gpuE7ELNS1_3repE0EEENS1_30default_config_static_selectorELNS0_4arch9wavefront6targetE1EEEvT1_,@function
_ZN7rocprim17ROCPRIM_400000_NS6detail17trampoline_kernelINS0_14default_configENS1_25transform_config_selectorItLb0EEEZNS1_14transform_implILb0ES3_S5_NS0_18transform_iteratorINS0_17counting_iteratorImlEEZNS1_24adjacent_difference_implIS3_Lb1ELb0EPtSB_N6thrust23THRUST_200600_302600_NS4plusItEEEE10hipError_tPvRmT2_T3_mT4_P12ihipStream_tbEUlmE_tEESB_NS0_8identityIvEEEESG_SJ_SK_mSL_SN_bEUlT_E_NS1_11comp_targetILNS1_3genE3ELNS1_11target_archE908ELNS1_3gpuE7ELNS1_3repE0EEENS1_30default_config_static_selectorELNS0_4arch9wavefront6targetE1EEEvT1_: ; @_ZN7rocprim17ROCPRIM_400000_NS6detail17trampoline_kernelINS0_14default_configENS1_25transform_config_selectorItLb0EEEZNS1_14transform_implILb0ES3_S5_NS0_18transform_iteratorINS0_17counting_iteratorImlEEZNS1_24adjacent_difference_implIS3_Lb1ELb0EPtSB_N6thrust23THRUST_200600_302600_NS4plusItEEEE10hipError_tPvRmT2_T3_mT4_P12ihipStream_tbEUlmE_tEESB_NS0_8identityIvEEEESG_SJ_SK_mSL_SN_bEUlT_E_NS1_11comp_targetILNS1_3genE3ELNS1_11target_archE908ELNS1_3gpuE7ELNS1_3repE0EEENS1_30default_config_static_selectorELNS0_4arch9wavefront6targetE1EEEvT1_
; %bb.0:
	.section	.rodata,"a",@progbits
	.p2align	6, 0x0
	.amdhsa_kernel _ZN7rocprim17ROCPRIM_400000_NS6detail17trampoline_kernelINS0_14default_configENS1_25transform_config_selectorItLb0EEEZNS1_14transform_implILb0ES3_S5_NS0_18transform_iteratorINS0_17counting_iteratorImlEEZNS1_24adjacent_difference_implIS3_Lb1ELb0EPtSB_N6thrust23THRUST_200600_302600_NS4plusItEEEE10hipError_tPvRmT2_T3_mT4_P12ihipStream_tbEUlmE_tEESB_NS0_8identityIvEEEESG_SJ_SK_mSL_SN_bEUlT_E_NS1_11comp_targetILNS1_3genE3ELNS1_11target_archE908ELNS1_3gpuE7ELNS1_3repE0EEENS1_30default_config_static_selectorELNS0_4arch9wavefront6targetE1EEEvT1_
		.amdhsa_group_segment_fixed_size 0
		.amdhsa_private_segment_fixed_size 0
		.amdhsa_kernarg_size 56
		.amdhsa_user_sgpr_count 6
		.amdhsa_user_sgpr_private_segment_buffer 1
		.amdhsa_user_sgpr_dispatch_ptr 0
		.amdhsa_user_sgpr_queue_ptr 0
		.amdhsa_user_sgpr_kernarg_segment_ptr 1
		.amdhsa_user_sgpr_dispatch_id 0
		.amdhsa_user_sgpr_flat_scratch_init 0
		.amdhsa_user_sgpr_kernarg_preload_length 0
		.amdhsa_user_sgpr_kernarg_preload_offset 0
		.amdhsa_user_sgpr_private_segment_size 0
		.amdhsa_uses_dynamic_stack 0
		.amdhsa_system_sgpr_private_segment_wavefront_offset 0
		.amdhsa_system_sgpr_workgroup_id_x 1
		.amdhsa_system_sgpr_workgroup_id_y 0
		.amdhsa_system_sgpr_workgroup_id_z 0
		.amdhsa_system_sgpr_workgroup_info 0
		.amdhsa_system_vgpr_workitem_id 0
		.amdhsa_next_free_vgpr 1
		.amdhsa_next_free_sgpr 0
		.amdhsa_accum_offset 4
		.amdhsa_reserve_vcc 0
		.amdhsa_reserve_flat_scratch 0
		.amdhsa_float_round_mode_32 0
		.amdhsa_float_round_mode_16_64 0
		.amdhsa_float_denorm_mode_32 3
		.amdhsa_float_denorm_mode_16_64 3
		.amdhsa_dx10_clamp 1
		.amdhsa_ieee_mode 1
		.amdhsa_fp16_overflow 0
		.amdhsa_tg_split 0
		.amdhsa_exception_fp_ieee_invalid_op 0
		.amdhsa_exception_fp_denorm_src 0
		.amdhsa_exception_fp_ieee_div_zero 0
		.amdhsa_exception_fp_ieee_overflow 0
		.amdhsa_exception_fp_ieee_underflow 0
		.amdhsa_exception_fp_ieee_inexact 0
		.amdhsa_exception_int_div_zero 0
	.end_amdhsa_kernel
	.section	.text._ZN7rocprim17ROCPRIM_400000_NS6detail17trampoline_kernelINS0_14default_configENS1_25transform_config_selectorItLb0EEEZNS1_14transform_implILb0ES3_S5_NS0_18transform_iteratorINS0_17counting_iteratorImlEEZNS1_24adjacent_difference_implIS3_Lb1ELb0EPtSB_N6thrust23THRUST_200600_302600_NS4plusItEEEE10hipError_tPvRmT2_T3_mT4_P12ihipStream_tbEUlmE_tEESB_NS0_8identityIvEEEESG_SJ_SK_mSL_SN_bEUlT_E_NS1_11comp_targetILNS1_3genE3ELNS1_11target_archE908ELNS1_3gpuE7ELNS1_3repE0EEENS1_30default_config_static_selectorELNS0_4arch9wavefront6targetE1EEEvT1_,"axG",@progbits,_ZN7rocprim17ROCPRIM_400000_NS6detail17trampoline_kernelINS0_14default_configENS1_25transform_config_selectorItLb0EEEZNS1_14transform_implILb0ES3_S5_NS0_18transform_iteratorINS0_17counting_iteratorImlEEZNS1_24adjacent_difference_implIS3_Lb1ELb0EPtSB_N6thrust23THRUST_200600_302600_NS4plusItEEEE10hipError_tPvRmT2_T3_mT4_P12ihipStream_tbEUlmE_tEESB_NS0_8identityIvEEEESG_SJ_SK_mSL_SN_bEUlT_E_NS1_11comp_targetILNS1_3genE3ELNS1_11target_archE908ELNS1_3gpuE7ELNS1_3repE0EEENS1_30default_config_static_selectorELNS0_4arch9wavefront6targetE1EEEvT1_,comdat
.Lfunc_end350:
	.size	_ZN7rocprim17ROCPRIM_400000_NS6detail17trampoline_kernelINS0_14default_configENS1_25transform_config_selectorItLb0EEEZNS1_14transform_implILb0ES3_S5_NS0_18transform_iteratorINS0_17counting_iteratorImlEEZNS1_24adjacent_difference_implIS3_Lb1ELb0EPtSB_N6thrust23THRUST_200600_302600_NS4plusItEEEE10hipError_tPvRmT2_T3_mT4_P12ihipStream_tbEUlmE_tEESB_NS0_8identityIvEEEESG_SJ_SK_mSL_SN_bEUlT_E_NS1_11comp_targetILNS1_3genE3ELNS1_11target_archE908ELNS1_3gpuE7ELNS1_3repE0EEENS1_30default_config_static_selectorELNS0_4arch9wavefront6targetE1EEEvT1_, .Lfunc_end350-_ZN7rocprim17ROCPRIM_400000_NS6detail17trampoline_kernelINS0_14default_configENS1_25transform_config_selectorItLb0EEEZNS1_14transform_implILb0ES3_S5_NS0_18transform_iteratorINS0_17counting_iteratorImlEEZNS1_24adjacent_difference_implIS3_Lb1ELb0EPtSB_N6thrust23THRUST_200600_302600_NS4plusItEEEE10hipError_tPvRmT2_T3_mT4_P12ihipStream_tbEUlmE_tEESB_NS0_8identityIvEEEESG_SJ_SK_mSL_SN_bEUlT_E_NS1_11comp_targetILNS1_3genE3ELNS1_11target_archE908ELNS1_3gpuE7ELNS1_3repE0EEENS1_30default_config_static_selectorELNS0_4arch9wavefront6targetE1EEEvT1_
                                        ; -- End function
	.section	.AMDGPU.csdata,"",@progbits
; Kernel info:
; codeLenInByte = 0
; NumSgprs: 4
; NumVgprs: 0
; NumAgprs: 0
; TotalNumVgprs: 0
; ScratchSize: 0
; MemoryBound: 0
; FloatMode: 240
; IeeeMode: 1
; LDSByteSize: 0 bytes/workgroup (compile time only)
; SGPRBlocks: 0
; VGPRBlocks: 0
; NumSGPRsForWavesPerEU: 4
; NumVGPRsForWavesPerEU: 1
; AccumOffset: 4
; Occupancy: 8
; WaveLimiterHint : 0
; COMPUTE_PGM_RSRC2:SCRATCH_EN: 0
; COMPUTE_PGM_RSRC2:USER_SGPR: 6
; COMPUTE_PGM_RSRC2:TRAP_HANDLER: 0
; COMPUTE_PGM_RSRC2:TGID_X_EN: 1
; COMPUTE_PGM_RSRC2:TGID_Y_EN: 0
; COMPUTE_PGM_RSRC2:TGID_Z_EN: 0
; COMPUTE_PGM_RSRC2:TIDIG_COMP_CNT: 0
; COMPUTE_PGM_RSRC3_GFX90A:ACCUM_OFFSET: 0
; COMPUTE_PGM_RSRC3_GFX90A:TG_SPLIT: 0
	.section	.text._ZN7rocprim17ROCPRIM_400000_NS6detail17trampoline_kernelINS0_14default_configENS1_25transform_config_selectorItLb0EEEZNS1_14transform_implILb0ES3_S5_NS0_18transform_iteratorINS0_17counting_iteratorImlEEZNS1_24adjacent_difference_implIS3_Lb1ELb0EPtSB_N6thrust23THRUST_200600_302600_NS4plusItEEEE10hipError_tPvRmT2_T3_mT4_P12ihipStream_tbEUlmE_tEESB_NS0_8identityIvEEEESG_SJ_SK_mSL_SN_bEUlT_E_NS1_11comp_targetILNS1_3genE2ELNS1_11target_archE906ELNS1_3gpuE6ELNS1_3repE0EEENS1_30default_config_static_selectorELNS0_4arch9wavefront6targetE1EEEvT1_,"axG",@progbits,_ZN7rocprim17ROCPRIM_400000_NS6detail17trampoline_kernelINS0_14default_configENS1_25transform_config_selectorItLb0EEEZNS1_14transform_implILb0ES3_S5_NS0_18transform_iteratorINS0_17counting_iteratorImlEEZNS1_24adjacent_difference_implIS3_Lb1ELb0EPtSB_N6thrust23THRUST_200600_302600_NS4plusItEEEE10hipError_tPvRmT2_T3_mT4_P12ihipStream_tbEUlmE_tEESB_NS0_8identityIvEEEESG_SJ_SK_mSL_SN_bEUlT_E_NS1_11comp_targetILNS1_3genE2ELNS1_11target_archE906ELNS1_3gpuE6ELNS1_3repE0EEENS1_30default_config_static_selectorELNS0_4arch9wavefront6targetE1EEEvT1_,comdat
	.protected	_ZN7rocprim17ROCPRIM_400000_NS6detail17trampoline_kernelINS0_14default_configENS1_25transform_config_selectorItLb0EEEZNS1_14transform_implILb0ES3_S5_NS0_18transform_iteratorINS0_17counting_iteratorImlEEZNS1_24adjacent_difference_implIS3_Lb1ELb0EPtSB_N6thrust23THRUST_200600_302600_NS4plusItEEEE10hipError_tPvRmT2_T3_mT4_P12ihipStream_tbEUlmE_tEESB_NS0_8identityIvEEEESG_SJ_SK_mSL_SN_bEUlT_E_NS1_11comp_targetILNS1_3genE2ELNS1_11target_archE906ELNS1_3gpuE6ELNS1_3repE0EEENS1_30default_config_static_selectorELNS0_4arch9wavefront6targetE1EEEvT1_ ; -- Begin function _ZN7rocprim17ROCPRIM_400000_NS6detail17trampoline_kernelINS0_14default_configENS1_25transform_config_selectorItLb0EEEZNS1_14transform_implILb0ES3_S5_NS0_18transform_iteratorINS0_17counting_iteratorImlEEZNS1_24adjacent_difference_implIS3_Lb1ELb0EPtSB_N6thrust23THRUST_200600_302600_NS4plusItEEEE10hipError_tPvRmT2_T3_mT4_P12ihipStream_tbEUlmE_tEESB_NS0_8identityIvEEEESG_SJ_SK_mSL_SN_bEUlT_E_NS1_11comp_targetILNS1_3genE2ELNS1_11target_archE906ELNS1_3gpuE6ELNS1_3repE0EEENS1_30default_config_static_selectorELNS0_4arch9wavefront6targetE1EEEvT1_
	.globl	_ZN7rocprim17ROCPRIM_400000_NS6detail17trampoline_kernelINS0_14default_configENS1_25transform_config_selectorItLb0EEEZNS1_14transform_implILb0ES3_S5_NS0_18transform_iteratorINS0_17counting_iteratorImlEEZNS1_24adjacent_difference_implIS3_Lb1ELb0EPtSB_N6thrust23THRUST_200600_302600_NS4plusItEEEE10hipError_tPvRmT2_T3_mT4_P12ihipStream_tbEUlmE_tEESB_NS0_8identityIvEEEESG_SJ_SK_mSL_SN_bEUlT_E_NS1_11comp_targetILNS1_3genE2ELNS1_11target_archE906ELNS1_3gpuE6ELNS1_3repE0EEENS1_30default_config_static_selectorELNS0_4arch9wavefront6targetE1EEEvT1_
	.p2align	8
	.type	_ZN7rocprim17ROCPRIM_400000_NS6detail17trampoline_kernelINS0_14default_configENS1_25transform_config_selectorItLb0EEEZNS1_14transform_implILb0ES3_S5_NS0_18transform_iteratorINS0_17counting_iteratorImlEEZNS1_24adjacent_difference_implIS3_Lb1ELb0EPtSB_N6thrust23THRUST_200600_302600_NS4plusItEEEE10hipError_tPvRmT2_T3_mT4_P12ihipStream_tbEUlmE_tEESB_NS0_8identityIvEEEESG_SJ_SK_mSL_SN_bEUlT_E_NS1_11comp_targetILNS1_3genE2ELNS1_11target_archE906ELNS1_3gpuE6ELNS1_3repE0EEENS1_30default_config_static_selectorELNS0_4arch9wavefront6targetE1EEEvT1_,@function
_ZN7rocprim17ROCPRIM_400000_NS6detail17trampoline_kernelINS0_14default_configENS1_25transform_config_selectorItLb0EEEZNS1_14transform_implILb0ES3_S5_NS0_18transform_iteratorINS0_17counting_iteratorImlEEZNS1_24adjacent_difference_implIS3_Lb1ELb0EPtSB_N6thrust23THRUST_200600_302600_NS4plusItEEEE10hipError_tPvRmT2_T3_mT4_P12ihipStream_tbEUlmE_tEESB_NS0_8identityIvEEEESG_SJ_SK_mSL_SN_bEUlT_E_NS1_11comp_targetILNS1_3genE2ELNS1_11target_archE906ELNS1_3gpuE6ELNS1_3repE0EEENS1_30default_config_static_selectorELNS0_4arch9wavefront6targetE1EEEvT1_: ; @_ZN7rocprim17ROCPRIM_400000_NS6detail17trampoline_kernelINS0_14default_configENS1_25transform_config_selectorItLb0EEEZNS1_14transform_implILb0ES3_S5_NS0_18transform_iteratorINS0_17counting_iteratorImlEEZNS1_24adjacent_difference_implIS3_Lb1ELb0EPtSB_N6thrust23THRUST_200600_302600_NS4plusItEEEE10hipError_tPvRmT2_T3_mT4_P12ihipStream_tbEUlmE_tEESB_NS0_8identityIvEEEESG_SJ_SK_mSL_SN_bEUlT_E_NS1_11comp_targetILNS1_3genE2ELNS1_11target_archE906ELNS1_3gpuE6ELNS1_3repE0EEENS1_30default_config_static_selectorELNS0_4arch9wavefront6targetE1EEEvT1_
; %bb.0:
	.section	.rodata,"a",@progbits
	.p2align	6, 0x0
	.amdhsa_kernel _ZN7rocprim17ROCPRIM_400000_NS6detail17trampoline_kernelINS0_14default_configENS1_25transform_config_selectorItLb0EEEZNS1_14transform_implILb0ES3_S5_NS0_18transform_iteratorINS0_17counting_iteratorImlEEZNS1_24adjacent_difference_implIS3_Lb1ELb0EPtSB_N6thrust23THRUST_200600_302600_NS4plusItEEEE10hipError_tPvRmT2_T3_mT4_P12ihipStream_tbEUlmE_tEESB_NS0_8identityIvEEEESG_SJ_SK_mSL_SN_bEUlT_E_NS1_11comp_targetILNS1_3genE2ELNS1_11target_archE906ELNS1_3gpuE6ELNS1_3repE0EEENS1_30default_config_static_selectorELNS0_4arch9wavefront6targetE1EEEvT1_
		.amdhsa_group_segment_fixed_size 0
		.amdhsa_private_segment_fixed_size 0
		.amdhsa_kernarg_size 56
		.amdhsa_user_sgpr_count 6
		.amdhsa_user_sgpr_private_segment_buffer 1
		.amdhsa_user_sgpr_dispatch_ptr 0
		.amdhsa_user_sgpr_queue_ptr 0
		.amdhsa_user_sgpr_kernarg_segment_ptr 1
		.amdhsa_user_sgpr_dispatch_id 0
		.amdhsa_user_sgpr_flat_scratch_init 0
		.amdhsa_user_sgpr_kernarg_preload_length 0
		.amdhsa_user_sgpr_kernarg_preload_offset 0
		.amdhsa_user_sgpr_private_segment_size 0
		.amdhsa_uses_dynamic_stack 0
		.amdhsa_system_sgpr_private_segment_wavefront_offset 0
		.amdhsa_system_sgpr_workgroup_id_x 1
		.amdhsa_system_sgpr_workgroup_id_y 0
		.amdhsa_system_sgpr_workgroup_id_z 0
		.amdhsa_system_sgpr_workgroup_info 0
		.amdhsa_system_vgpr_workitem_id 0
		.amdhsa_next_free_vgpr 1
		.amdhsa_next_free_sgpr 0
		.amdhsa_accum_offset 4
		.amdhsa_reserve_vcc 0
		.amdhsa_reserve_flat_scratch 0
		.amdhsa_float_round_mode_32 0
		.amdhsa_float_round_mode_16_64 0
		.amdhsa_float_denorm_mode_32 3
		.amdhsa_float_denorm_mode_16_64 3
		.amdhsa_dx10_clamp 1
		.amdhsa_ieee_mode 1
		.amdhsa_fp16_overflow 0
		.amdhsa_tg_split 0
		.amdhsa_exception_fp_ieee_invalid_op 0
		.amdhsa_exception_fp_denorm_src 0
		.amdhsa_exception_fp_ieee_div_zero 0
		.amdhsa_exception_fp_ieee_overflow 0
		.amdhsa_exception_fp_ieee_underflow 0
		.amdhsa_exception_fp_ieee_inexact 0
		.amdhsa_exception_int_div_zero 0
	.end_amdhsa_kernel
	.section	.text._ZN7rocprim17ROCPRIM_400000_NS6detail17trampoline_kernelINS0_14default_configENS1_25transform_config_selectorItLb0EEEZNS1_14transform_implILb0ES3_S5_NS0_18transform_iteratorINS0_17counting_iteratorImlEEZNS1_24adjacent_difference_implIS3_Lb1ELb0EPtSB_N6thrust23THRUST_200600_302600_NS4plusItEEEE10hipError_tPvRmT2_T3_mT4_P12ihipStream_tbEUlmE_tEESB_NS0_8identityIvEEEESG_SJ_SK_mSL_SN_bEUlT_E_NS1_11comp_targetILNS1_3genE2ELNS1_11target_archE906ELNS1_3gpuE6ELNS1_3repE0EEENS1_30default_config_static_selectorELNS0_4arch9wavefront6targetE1EEEvT1_,"axG",@progbits,_ZN7rocprim17ROCPRIM_400000_NS6detail17trampoline_kernelINS0_14default_configENS1_25transform_config_selectorItLb0EEEZNS1_14transform_implILb0ES3_S5_NS0_18transform_iteratorINS0_17counting_iteratorImlEEZNS1_24adjacent_difference_implIS3_Lb1ELb0EPtSB_N6thrust23THRUST_200600_302600_NS4plusItEEEE10hipError_tPvRmT2_T3_mT4_P12ihipStream_tbEUlmE_tEESB_NS0_8identityIvEEEESG_SJ_SK_mSL_SN_bEUlT_E_NS1_11comp_targetILNS1_3genE2ELNS1_11target_archE906ELNS1_3gpuE6ELNS1_3repE0EEENS1_30default_config_static_selectorELNS0_4arch9wavefront6targetE1EEEvT1_,comdat
.Lfunc_end351:
	.size	_ZN7rocprim17ROCPRIM_400000_NS6detail17trampoline_kernelINS0_14default_configENS1_25transform_config_selectorItLb0EEEZNS1_14transform_implILb0ES3_S5_NS0_18transform_iteratorINS0_17counting_iteratorImlEEZNS1_24adjacent_difference_implIS3_Lb1ELb0EPtSB_N6thrust23THRUST_200600_302600_NS4plusItEEEE10hipError_tPvRmT2_T3_mT4_P12ihipStream_tbEUlmE_tEESB_NS0_8identityIvEEEESG_SJ_SK_mSL_SN_bEUlT_E_NS1_11comp_targetILNS1_3genE2ELNS1_11target_archE906ELNS1_3gpuE6ELNS1_3repE0EEENS1_30default_config_static_selectorELNS0_4arch9wavefront6targetE1EEEvT1_, .Lfunc_end351-_ZN7rocprim17ROCPRIM_400000_NS6detail17trampoline_kernelINS0_14default_configENS1_25transform_config_selectorItLb0EEEZNS1_14transform_implILb0ES3_S5_NS0_18transform_iteratorINS0_17counting_iteratorImlEEZNS1_24adjacent_difference_implIS3_Lb1ELb0EPtSB_N6thrust23THRUST_200600_302600_NS4plusItEEEE10hipError_tPvRmT2_T3_mT4_P12ihipStream_tbEUlmE_tEESB_NS0_8identityIvEEEESG_SJ_SK_mSL_SN_bEUlT_E_NS1_11comp_targetILNS1_3genE2ELNS1_11target_archE906ELNS1_3gpuE6ELNS1_3repE0EEENS1_30default_config_static_selectorELNS0_4arch9wavefront6targetE1EEEvT1_
                                        ; -- End function
	.section	.AMDGPU.csdata,"",@progbits
; Kernel info:
; codeLenInByte = 0
; NumSgprs: 4
; NumVgprs: 0
; NumAgprs: 0
; TotalNumVgprs: 0
; ScratchSize: 0
; MemoryBound: 0
; FloatMode: 240
; IeeeMode: 1
; LDSByteSize: 0 bytes/workgroup (compile time only)
; SGPRBlocks: 0
; VGPRBlocks: 0
; NumSGPRsForWavesPerEU: 4
; NumVGPRsForWavesPerEU: 1
; AccumOffset: 4
; Occupancy: 8
; WaveLimiterHint : 0
; COMPUTE_PGM_RSRC2:SCRATCH_EN: 0
; COMPUTE_PGM_RSRC2:USER_SGPR: 6
; COMPUTE_PGM_RSRC2:TRAP_HANDLER: 0
; COMPUTE_PGM_RSRC2:TGID_X_EN: 1
; COMPUTE_PGM_RSRC2:TGID_Y_EN: 0
; COMPUTE_PGM_RSRC2:TGID_Z_EN: 0
; COMPUTE_PGM_RSRC2:TIDIG_COMP_CNT: 0
; COMPUTE_PGM_RSRC3_GFX90A:ACCUM_OFFSET: 0
; COMPUTE_PGM_RSRC3_GFX90A:TG_SPLIT: 0
	.section	.text._ZN7rocprim17ROCPRIM_400000_NS6detail17trampoline_kernelINS0_14default_configENS1_25transform_config_selectorItLb0EEEZNS1_14transform_implILb0ES3_S5_NS0_18transform_iteratorINS0_17counting_iteratorImlEEZNS1_24adjacent_difference_implIS3_Lb1ELb0EPtSB_N6thrust23THRUST_200600_302600_NS4plusItEEEE10hipError_tPvRmT2_T3_mT4_P12ihipStream_tbEUlmE_tEESB_NS0_8identityIvEEEESG_SJ_SK_mSL_SN_bEUlT_E_NS1_11comp_targetILNS1_3genE10ELNS1_11target_archE1201ELNS1_3gpuE5ELNS1_3repE0EEENS1_30default_config_static_selectorELNS0_4arch9wavefront6targetE1EEEvT1_,"axG",@progbits,_ZN7rocprim17ROCPRIM_400000_NS6detail17trampoline_kernelINS0_14default_configENS1_25transform_config_selectorItLb0EEEZNS1_14transform_implILb0ES3_S5_NS0_18transform_iteratorINS0_17counting_iteratorImlEEZNS1_24adjacent_difference_implIS3_Lb1ELb0EPtSB_N6thrust23THRUST_200600_302600_NS4plusItEEEE10hipError_tPvRmT2_T3_mT4_P12ihipStream_tbEUlmE_tEESB_NS0_8identityIvEEEESG_SJ_SK_mSL_SN_bEUlT_E_NS1_11comp_targetILNS1_3genE10ELNS1_11target_archE1201ELNS1_3gpuE5ELNS1_3repE0EEENS1_30default_config_static_selectorELNS0_4arch9wavefront6targetE1EEEvT1_,comdat
	.protected	_ZN7rocprim17ROCPRIM_400000_NS6detail17trampoline_kernelINS0_14default_configENS1_25transform_config_selectorItLb0EEEZNS1_14transform_implILb0ES3_S5_NS0_18transform_iteratorINS0_17counting_iteratorImlEEZNS1_24adjacent_difference_implIS3_Lb1ELb0EPtSB_N6thrust23THRUST_200600_302600_NS4plusItEEEE10hipError_tPvRmT2_T3_mT4_P12ihipStream_tbEUlmE_tEESB_NS0_8identityIvEEEESG_SJ_SK_mSL_SN_bEUlT_E_NS1_11comp_targetILNS1_3genE10ELNS1_11target_archE1201ELNS1_3gpuE5ELNS1_3repE0EEENS1_30default_config_static_selectorELNS0_4arch9wavefront6targetE1EEEvT1_ ; -- Begin function _ZN7rocprim17ROCPRIM_400000_NS6detail17trampoline_kernelINS0_14default_configENS1_25transform_config_selectorItLb0EEEZNS1_14transform_implILb0ES3_S5_NS0_18transform_iteratorINS0_17counting_iteratorImlEEZNS1_24adjacent_difference_implIS3_Lb1ELb0EPtSB_N6thrust23THRUST_200600_302600_NS4plusItEEEE10hipError_tPvRmT2_T3_mT4_P12ihipStream_tbEUlmE_tEESB_NS0_8identityIvEEEESG_SJ_SK_mSL_SN_bEUlT_E_NS1_11comp_targetILNS1_3genE10ELNS1_11target_archE1201ELNS1_3gpuE5ELNS1_3repE0EEENS1_30default_config_static_selectorELNS0_4arch9wavefront6targetE1EEEvT1_
	.globl	_ZN7rocprim17ROCPRIM_400000_NS6detail17trampoline_kernelINS0_14default_configENS1_25transform_config_selectorItLb0EEEZNS1_14transform_implILb0ES3_S5_NS0_18transform_iteratorINS0_17counting_iteratorImlEEZNS1_24adjacent_difference_implIS3_Lb1ELb0EPtSB_N6thrust23THRUST_200600_302600_NS4plusItEEEE10hipError_tPvRmT2_T3_mT4_P12ihipStream_tbEUlmE_tEESB_NS0_8identityIvEEEESG_SJ_SK_mSL_SN_bEUlT_E_NS1_11comp_targetILNS1_3genE10ELNS1_11target_archE1201ELNS1_3gpuE5ELNS1_3repE0EEENS1_30default_config_static_selectorELNS0_4arch9wavefront6targetE1EEEvT1_
	.p2align	8
	.type	_ZN7rocprim17ROCPRIM_400000_NS6detail17trampoline_kernelINS0_14default_configENS1_25transform_config_selectorItLb0EEEZNS1_14transform_implILb0ES3_S5_NS0_18transform_iteratorINS0_17counting_iteratorImlEEZNS1_24adjacent_difference_implIS3_Lb1ELb0EPtSB_N6thrust23THRUST_200600_302600_NS4plusItEEEE10hipError_tPvRmT2_T3_mT4_P12ihipStream_tbEUlmE_tEESB_NS0_8identityIvEEEESG_SJ_SK_mSL_SN_bEUlT_E_NS1_11comp_targetILNS1_3genE10ELNS1_11target_archE1201ELNS1_3gpuE5ELNS1_3repE0EEENS1_30default_config_static_selectorELNS0_4arch9wavefront6targetE1EEEvT1_,@function
_ZN7rocprim17ROCPRIM_400000_NS6detail17trampoline_kernelINS0_14default_configENS1_25transform_config_selectorItLb0EEEZNS1_14transform_implILb0ES3_S5_NS0_18transform_iteratorINS0_17counting_iteratorImlEEZNS1_24adjacent_difference_implIS3_Lb1ELb0EPtSB_N6thrust23THRUST_200600_302600_NS4plusItEEEE10hipError_tPvRmT2_T3_mT4_P12ihipStream_tbEUlmE_tEESB_NS0_8identityIvEEEESG_SJ_SK_mSL_SN_bEUlT_E_NS1_11comp_targetILNS1_3genE10ELNS1_11target_archE1201ELNS1_3gpuE5ELNS1_3repE0EEENS1_30default_config_static_selectorELNS0_4arch9wavefront6targetE1EEEvT1_: ; @_ZN7rocprim17ROCPRIM_400000_NS6detail17trampoline_kernelINS0_14default_configENS1_25transform_config_selectorItLb0EEEZNS1_14transform_implILb0ES3_S5_NS0_18transform_iteratorINS0_17counting_iteratorImlEEZNS1_24adjacent_difference_implIS3_Lb1ELb0EPtSB_N6thrust23THRUST_200600_302600_NS4plusItEEEE10hipError_tPvRmT2_T3_mT4_P12ihipStream_tbEUlmE_tEESB_NS0_8identityIvEEEESG_SJ_SK_mSL_SN_bEUlT_E_NS1_11comp_targetILNS1_3genE10ELNS1_11target_archE1201ELNS1_3gpuE5ELNS1_3repE0EEENS1_30default_config_static_selectorELNS0_4arch9wavefront6targetE1EEEvT1_
; %bb.0:
	.section	.rodata,"a",@progbits
	.p2align	6, 0x0
	.amdhsa_kernel _ZN7rocprim17ROCPRIM_400000_NS6detail17trampoline_kernelINS0_14default_configENS1_25transform_config_selectorItLb0EEEZNS1_14transform_implILb0ES3_S5_NS0_18transform_iteratorINS0_17counting_iteratorImlEEZNS1_24adjacent_difference_implIS3_Lb1ELb0EPtSB_N6thrust23THRUST_200600_302600_NS4plusItEEEE10hipError_tPvRmT2_T3_mT4_P12ihipStream_tbEUlmE_tEESB_NS0_8identityIvEEEESG_SJ_SK_mSL_SN_bEUlT_E_NS1_11comp_targetILNS1_3genE10ELNS1_11target_archE1201ELNS1_3gpuE5ELNS1_3repE0EEENS1_30default_config_static_selectorELNS0_4arch9wavefront6targetE1EEEvT1_
		.amdhsa_group_segment_fixed_size 0
		.amdhsa_private_segment_fixed_size 0
		.amdhsa_kernarg_size 56
		.amdhsa_user_sgpr_count 6
		.amdhsa_user_sgpr_private_segment_buffer 1
		.amdhsa_user_sgpr_dispatch_ptr 0
		.amdhsa_user_sgpr_queue_ptr 0
		.amdhsa_user_sgpr_kernarg_segment_ptr 1
		.amdhsa_user_sgpr_dispatch_id 0
		.amdhsa_user_sgpr_flat_scratch_init 0
		.amdhsa_user_sgpr_kernarg_preload_length 0
		.amdhsa_user_sgpr_kernarg_preload_offset 0
		.amdhsa_user_sgpr_private_segment_size 0
		.amdhsa_uses_dynamic_stack 0
		.amdhsa_system_sgpr_private_segment_wavefront_offset 0
		.amdhsa_system_sgpr_workgroup_id_x 1
		.amdhsa_system_sgpr_workgroup_id_y 0
		.amdhsa_system_sgpr_workgroup_id_z 0
		.amdhsa_system_sgpr_workgroup_info 0
		.amdhsa_system_vgpr_workitem_id 0
		.amdhsa_next_free_vgpr 1
		.amdhsa_next_free_sgpr 0
		.amdhsa_accum_offset 4
		.amdhsa_reserve_vcc 0
		.amdhsa_reserve_flat_scratch 0
		.amdhsa_float_round_mode_32 0
		.amdhsa_float_round_mode_16_64 0
		.amdhsa_float_denorm_mode_32 3
		.amdhsa_float_denorm_mode_16_64 3
		.amdhsa_dx10_clamp 1
		.amdhsa_ieee_mode 1
		.amdhsa_fp16_overflow 0
		.amdhsa_tg_split 0
		.amdhsa_exception_fp_ieee_invalid_op 0
		.amdhsa_exception_fp_denorm_src 0
		.amdhsa_exception_fp_ieee_div_zero 0
		.amdhsa_exception_fp_ieee_overflow 0
		.amdhsa_exception_fp_ieee_underflow 0
		.amdhsa_exception_fp_ieee_inexact 0
		.amdhsa_exception_int_div_zero 0
	.end_amdhsa_kernel
	.section	.text._ZN7rocprim17ROCPRIM_400000_NS6detail17trampoline_kernelINS0_14default_configENS1_25transform_config_selectorItLb0EEEZNS1_14transform_implILb0ES3_S5_NS0_18transform_iteratorINS0_17counting_iteratorImlEEZNS1_24adjacent_difference_implIS3_Lb1ELb0EPtSB_N6thrust23THRUST_200600_302600_NS4plusItEEEE10hipError_tPvRmT2_T3_mT4_P12ihipStream_tbEUlmE_tEESB_NS0_8identityIvEEEESG_SJ_SK_mSL_SN_bEUlT_E_NS1_11comp_targetILNS1_3genE10ELNS1_11target_archE1201ELNS1_3gpuE5ELNS1_3repE0EEENS1_30default_config_static_selectorELNS0_4arch9wavefront6targetE1EEEvT1_,"axG",@progbits,_ZN7rocprim17ROCPRIM_400000_NS6detail17trampoline_kernelINS0_14default_configENS1_25transform_config_selectorItLb0EEEZNS1_14transform_implILb0ES3_S5_NS0_18transform_iteratorINS0_17counting_iteratorImlEEZNS1_24adjacent_difference_implIS3_Lb1ELb0EPtSB_N6thrust23THRUST_200600_302600_NS4plusItEEEE10hipError_tPvRmT2_T3_mT4_P12ihipStream_tbEUlmE_tEESB_NS0_8identityIvEEEESG_SJ_SK_mSL_SN_bEUlT_E_NS1_11comp_targetILNS1_3genE10ELNS1_11target_archE1201ELNS1_3gpuE5ELNS1_3repE0EEENS1_30default_config_static_selectorELNS0_4arch9wavefront6targetE1EEEvT1_,comdat
.Lfunc_end352:
	.size	_ZN7rocprim17ROCPRIM_400000_NS6detail17trampoline_kernelINS0_14default_configENS1_25transform_config_selectorItLb0EEEZNS1_14transform_implILb0ES3_S5_NS0_18transform_iteratorINS0_17counting_iteratorImlEEZNS1_24adjacent_difference_implIS3_Lb1ELb0EPtSB_N6thrust23THRUST_200600_302600_NS4plusItEEEE10hipError_tPvRmT2_T3_mT4_P12ihipStream_tbEUlmE_tEESB_NS0_8identityIvEEEESG_SJ_SK_mSL_SN_bEUlT_E_NS1_11comp_targetILNS1_3genE10ELNS1_11target_archE1201ELNS1_3gpuE5ELNS1_3repE0EEENS1_30default_config_static_selectorELNS0_4arch9wavefront6targetE1EEEvT1_, .Lfunc_end352-_ZN7rocprim17ROCPRIM_400000_NS6detail17trampoline_kernelINS0_14default_configENS1_25transform_config_selectorItLb0EEEZNS1_14transform_implILb0ES3_S5_NS0_18transform_iteratorINS0_17counting_iteratorImlEEZNS1_24adjacent_difference_implIS3_Lb1ELb0EPtSB_N6thrust23THRUST_200600_302600_NS4plusItEEEE10hipError_tPvRmT2_T3_mT4_P12ihipStream_tbEUlmE_tEESB_NS0_8identityIvEEEESG_SJ_SK_mSL_SN_bEUlT_E_NS1_11comp_targetILNS1_3genE10ELNS1_11target_archE1201ELNS1_3gpuE5ELNS1_3repE0EEENS1_30default_config_static_selectorELNS0_4arch9wavefront6targetE1EEEvT1_
                                        ; -- End function
	.section	.AMDGPU.csdata,"",@progbits
; Kernel info:
; codeLenInByte = 0
; NumSgprs: 4
; NumVgprs: 0
; NumAgprs: 0
; TotalNumVgprs: 0
; ScratchSize: 0
; MemoryBound: 0
; FloatMode: 240
; IeeeMode: 1
; LDSByteSize: 0 bytes/workgroup (compile time only)
; SGPRBlocks: 0
; VGPRBlocks: 0
; NumSGPRsForWavesPerEU: 4
; NumVGPRsForWavesPerEU: 1
; AccumOffset: 4
; Occupancy: 8
; WaveLimiterHint : 0
; COMPUTE_PGM_RSRC2:SCRATCH_EN: 0
; COMPUTE_PGM_RSRC2:USER_SGPR: 6
; COMPUTE_PGM_RSRC2:TRAP_HANDLER: 0
; COMPUTE_PGM_RSRC2:TGID_X_EN: 1
; COMPUTE_PGM_RSRC2:TGID_Y_EN: 0
; COMPUTE_PGM_RSRC2:TGID_Z_EN: 0
; COMPUTE_PGM_RSRC2:TIDIG_COMP_CNT: 0
; COMPUTE_PGM_RSRC3_GFX90A:ACCUM_OFFSET: 0
; COMPUTE_PGM_RSRC3_GFX90A:TG_SPLIT: 0
	.section	.text._ZN7rocprim17ROCPRIM_400000_NS6detail17trampoline_kernelINS0_14default_configENS1_25transform_config_selectorItLb0EEEZNS1_14transform_implILb0ES3_S5_NS0_18transform_iteratorINS0_17counting_iteratorImlEEZNS1_24adjacent_difference_implIS3_Lb1ELb0EPtSB_N6thrust23THRUST_200600_302600_NS4plusItEEEE10hipError_tPvRmT2_T3_mT4_P12ihipStream_tbEUlmE_tEESB_NS0_8identityIvEEEESG_SJ_SK_mSL_SN_bEUlT_E_NS1_11comp_targetILNS1_3genE10ELNS1_11target_archE1200ELNS1_3gpuE4ELNS1_3repE0EEENS1_30default_config_static_selectorELNS0_4arch9wavefront6targetE1EEEvT1_,"axG",@progbits,_ZN7rocprim17ROCPRIM_400000_NS6detail17trampoline_kernelINS0_14default_configENS1_25transform_config_selectorItLb0EEEZNS1_14transform_implILb0ES3_S5_NS0_18transform_iteratorINS0_17counting_iteratorImlEEZNS1_24adjacent_difference_implIS3_Lb1ELb0EPtSB_N6thrust23THRUST_200600_302600_NS4plusItEEEE10hipError_tPvRmT2_T3_mT4_P12ihipStream_tbEUlmE_tEESB_NS0_8identityIvEEEESG_SJ_SK_mSL_SN_bEUlT_E_NS1_11comp_targetILNS1_3genE10ELNS1_11target_archE1200ELNS1_3gpuE4ELNS1_3repE0EEENS1_30default_config_static_selectorELNS0_4arch9wavefront6targetE1EEEvT1_,comdat
	.protected	_ZN7rocprim17ROCPRIM_400000_NS6detail17trampoline_kernelINS0_14default_configENS1_25transform_config_selectorItLb0EEEZNS1_14transform_implILb0ES3_S5_NS0_18transform_iteratorINS0_17counting_iteratorImlEEZNS1_24adjacent_difference_implIS3_Lb1ELb0EPtSB_N6thrust23THRUST_200600_302600_NS4plusItEEEE10hipError_tPvRmT2_T3_mT4_P12ihipStream_tbEUlmE_tEESB_NS0_8identityIvEEEESG_SJ_SK_mSL_SN_bEUlT_E_NS1_11comp_targetILNS1_3genE10ELNS1_11target_archE1200ELNS1_3gpuE4ELNS1_3repE0EEENS1_30default_config_static_selectorELNS0_4arch9wavefront6targetE1EEEvT1_ ; -- Begin function _ZN7rocprim17ROCPRIM_400000_NS6detail17trampoline_kernelINS0_14default_configENS1_25transform_config_selectorItLb0EEEZNS1_14transform_implILb0ES3_S5_NS0_18transform_iteratorINS0_17counting_iteratorImlEEZNS1_24adjacent_difference_implIS3_Lb1ELb0EPtSB_N6thrust23THRUST_200600_302600_NS4plusItEEEE10hipError_tPvRmT2_T3_mT4_P12ihipStream_tbEUlmE_tEESB_NS0_8identityIvEEEESG_SJ_SK_mSL_SN_bEUlT_E_NS1_11comp_targetILNS1_3genE10ELNS1_11target_archE1200ELNS1_3gpuE4ELNS1_3repE0EEENS1_30default_config_static_selectorELNS0_4arch9wavefront6targetE1EEEvT1_
	.globl	_ZN7rocprim17ROCPRIM_400000_NS6detail17trampoline_kernelINS0_14default_configENS1_25transform_config_selectorItLb0EEEZNS1_14transform_implILb0ES3_S5_NS0_18transform_iteratorINS0_17counting_iteratorImlEEZNS1_24adjacent_difference_implIS3_Lb1ELb0EPtSB_N6thrust23THRUST_200600_302600_NS4plusItEEEE10hipError_tPvRmT2_T3_mT4_P12ihipStream_tbEUlmE_tEESB_NS0_8identityIvEEEESG_SJ_SK_mSL_SN_bEUlT_E_NS1_11comp_targetILNS1_3genE10ELNS1_11target_archE1200ELNS1_3gpuE4ELNS1_3repE0EEENS1_30default_config_static_selectorELNS0_4arch9wavefront6targetE1EEEvT1_
	.p2align	8
	.type	_ZN7rocprim17ROCPRIM_400000_NS6detail17trampoline_kernelINS0_14default_configENS1_25transform_config_selectorItLb0EEEZNS1_14transform_implILb0ES3_S5_NS0_18transform_iteratorINS0_17counting_iteratorImlEEZNS1_24adjacent_difference_implIS3_Lb1ELb0EPtSB_N6thrust23THRUST_200600_302600_NS4plusItEEEE10hipError_tPvRmT2_T3_mT4_P12ihipStream_tbEUlmE_tEESB_NS0_8identityIvEEEESG_SJ_SK_mSL_SN_bEUlT_E_NS1_11comp_targetILNS1_3genE10ELNS1_11target_archE1200ELNS1_3gpuE4ELNS1_3repE0EEENS1_30default_config_static_selectorELNS0_4arch9wavefront6targetE1EEEvT1_,@function
_ZN7rocprim17ROCPRIM_400000_NS6detail17trampoline_kernelINS0_14default_configENS1_25transform_config_selectorItLb0EEEZNS1_14transform_implILb0ES3_S5_NS0_18transform_iteratorINS0_17counting_iteratorImlEEZNS1_24adjacent_difference_implIS3_Lb1ELb0EPtSB_N6thrust23THRUST_200600_302600_NS4plusItEEEE10hipError_tPvRmT2_T3_mT4_P12ihipStream_tbEUlmE_tEESB_NS0_8identityIvEEEESG_SJ_SK_mSL_SN_bEUlT_E_NS1_11comp_targetILNS1_3genE10ELNS1_11target_archE1200ELNS1_3gpuE4ELNS1_3repE0EEENS1_30default_config_static_selectorELNS0_4arch9wavefront6targetE1EEEvT1_: ; @_ZN7rocprim17ROCPRIM_400000_NS6detail17trampoline_kernelINS0_14default_configENS1_25transform_config_selectorItLb0EEEZNS1_14transform_implILb0ES3_S5_NS0_18transform_iteratorINS0_17counting_iteratorImlEEZNS1_24adjacent_difference_implIS3_Lb1ELb0EPtSB_N6thrust23THRUST_200600_302600_NS4plusItEEEE10hipError_tPvRmT2_T3_mT4_P12ihipStream_tbEUlmE_tEESB_NS0_8identityIvEEEESG_SJ_SK_mSL_SN_bEUlT_E_NS1_11comp_targetILNS1_3genE10ELNS1_11target_archE1200ELNS1_3gpuE4ELNS1_3repE0EEENS1_30default_config_static_selectorELNS0_4arch9wavefront6targetE1EEEvT1_
; %bb.0:
	.section	.rodata,"a",@progbits
	.p2align	6, 0x0
	.amdhsa_kernel _ZN7rocprim17ROCPRIM_400000_NS6detail17trampoline_kernelINS0_14default_configENS1_25transform_config_selectorItLb0EEEZNS1_14transform_implILb0ES3_S5_NS0_18transform_iteratorINS0_17counting_iteratorImlEEZNS1_24adjacent_difference_implIS3_Lb1ELb0EPtSB_N6thrust23THRUST_200600_302600_NS4plusItEEEE10hipError_tPvRmT2_T3_mT4_P12ihipStream_tbEUlmE_tEESB_NS0_8identityIvEEEESG_SJ_SK_mSL_SN_bEUlT_E_NS1_11comp_targetILNS1_3genE10ELNS1_11target_archE1200ELNS1_3gpuE4ELNS1_3repE0EEENS1_30default_config_static_selectorELNS0_4arch9wavefront6targetE1EEEvT1_
		.amdhsa_group_segment_fixed_size 0
		.amdhsa_private_segment_fixed_size 0
		.amdhsa_kernarg_size 56
		.amdhsa_user_sgpr_count 6
		.amdhsa_user_sgpr_private_segment_buffer 1
		.amdhsa_user_sgpr_dispatch_ptr 0
		.amdhsa_user_sgpr_queue_ptr 0
		.amdhsa_user_sgpr_kernarg_segment_ptr 1
		.amdhsa_user_sgpr_dispatch_id 0
		.amdhsa_user_sgpr_flat_scratch_init 0
		.amdhsa_user_sgpr_kernarg_preload_length 0
		.amdhsa_user_sgpr_kernarg_preload_offset 0
		.amdhsa_user_sgpr_private_segment_size 0
		.amdhsa_uses_dynamic_stack 0
		.amdhsa_system_sgpr_private_segment_wavefront_offset 0
		.amdhsa_system_sgpr_workgroup_id_x 1
		.amdhsa_system_sgpr_workgroup_id_y 0
		.amdhsa_system_sgpr_workgroup_id_z 0
		.amdhsa_system_sgpr_workgroup_info 0
		.amdhsa_system_vgpr_workitem_id 0
		.amdhsa_next_free_vgpr 1
		.amdhsa_next_free_sgpr 0
		.amdhsa_accum_offset 4
		.amdhsa_reserve_vcc 0
		.amdhsa_reserve_flat_scratch 0
		.amdhsa_float_round_mode_32 0
		.amdhsa_float_round_mode_16_64 0
		.amdhsa_float_denorm_mode_32 3
		.amdhsa_float_denorm_mode_16_64 3
		.amdhsa_dx10_clamp 1
		.amdhsa_ieee_mode 1
		.amdhsa_fp16_overflow 0
		.amdhsa_tg_split 0
		.amdhsa_exception_fp_ieee_invalid_op 0
		.amdhsa_exception_fp_denorm_src 0
		.amdhsa_exception_fp_ieee_div_zero 0
		.amdhsa_exception_fp_ieee_overflow 0
		.amdhsa_exception_fp_ieee_underflow 0
		.amdhsa_exception_fp_ieee_inexact 0
		.amdhsa_exception_int_div_zero 0
	.end_amdhsa_kernel
	.section	.text._ZN7rocprim17ROCPRIM_400000_NS6detail17trampoline_kernelINS0_14default_configENS1_25transform_config_selectorItLb0EEEZNS1_14transform_implILb0ES3_S5_NS0_18transform_iteratorINS0_17counting_iteratorImlEEZNS1_24adjacent_difference_implIS3_Lb1ELb0EPtSB_N6thrust23THRUST_200600_302600_NS4plusItEEEE10hipError_tPvRmT2_T3_mT4_P12ihipStream_tbEUlmE_tEESB_NS0_8identityIvEEEESG_SJ_SK_mSL_SN_bEUlT_E_NS1_11comp_targetILNS1_3genE10ELNS1_11target_archE1200ELNS1_3gpuE4ELNS1_3repE0EEENS1_30default_config_static_selectorELNS0_4arch9wavefront6targetE1EEEvT1_,"axG",@progbits,_ZN7rocprim17ROCPRIM_400000_NS6detail17trampoline_kernelINS0_14default_configENS1_25transform_config_selectorItLb0EEEZNS1_14transform_implILb0ES3_S5_NS0_18transform_iteratorINS0_17counting_iteratorImlEEZNS1_24adjacent_difference_implIS3_Lb1ELb0EPtSB_N6thrust23THRUST_200600_302600_NS4plusItEEEE10hipError_tPvRmT2_T3_mT4_P12ihipStream_tbEUlmE_tEESB_NS0_8identityIvEEEESG_SJ_SK_mSL_SN_bEUlT_E_NS1_11comp_targetILNS1_3genE10ELNS1_11target_archE1200ELNS1_3gpuE4ELNS1_3repE0EEENS1_30default_config_static_selectorELNS0_4arch9wavefront6targetE1EEEvT1_,comdat
.Lfunc_end353:
	.size	_ZN7rocprim17ROCPRIM_400000_NS6detail17trampoline_kernelINS0_14default_configENS1_25transform_config_selectorItLb0EEEZNS1_14transform_implILb0ES3_S5_NS0_18transform_iteratorINS0_17counting_iteratorImlEEZNS1_24adjacent_difference_implIS3_Lb1ELb0EPtSB_N6thrust23THRUST_200600_302600_NS4plusItEEEE10hipError_tPvRmT2_T3_mT4_P12ihipStream_tbEUlmE_tEESB_NS0_8identityIvEEEESG_SJ_SK_mSL_SN_bEUlT_E_NS1_11comp_targetILNS1_3genE10ELNS1_11target_archE1200ELNS1_3gpuE4ELNS1_3repE0EEENS1_30default_config_static_selectorELNS0_4arch9wavefront6targetE1EEEvT1_, .Lfunc_end353-_ZN7rocprim17ROCPRIM_400000_NS6detail17trampoline_kernelINS0_14default_configENS1_25transform_config_selectorItLb0EEEZNS1_14transform_implILb0ES3_S5_NS0_18transform_iteratorINS0_17counting_iteratorImlEEZNS1_24adjacent_difference_implIS3_Lb1ELb0EPtSB_N6thrust23THRUST_200600_302600_NS4plusItEEEE10hipError_tPvRmT2_T3_mT4_P12ihipStream_tbEUlmE_tEESB_NS0_8identityIvEEEESG_SJ_SK_mSL_SN_bEUlT_E_NS1_11comp_targetILNS1_3genE10ELNS1_11target_archE1200ELNS1_3gpuE4ELNS1_3repE0EEENS1_30default_config_static_selectorELNS0_4arch9wavefront6targetE1EEEvT1_
                                        ; -- End function
	.section	.AMDGPU.csdata,"",@progbits
; Kernel info:
; codeLenInByte = 0
; NumSgprs: 4
; NumVgprs: 0
; NumAgprs: 0
; TotalNumVgprs: 0
; ScratchSize: 0
; MemoryBound: 0
; FloatMode: 240
; IeeeMode: 1
; LDSByteSize: 0 bytes/workgroup (compile time only)
; SGPRBlocks: 0
; VGPRBlocks: 0
; NumSGPRsForWavesPerEU: 4
; NumVGPRsForWavesPerEU: 1
; AccumOffset: 4
; Occupancy: 8
; WaveLimiterHint : 0
; COMPUTE_PGM_RSRC2:SCRATCH_EN: 0
; COMPUTE_PGM_RSRC2:USER_SGPR: 6
; COMPUTE_PGM_RSRC2:TRAP_HANDLER: 0
; COMPUTE_PGM_RSRC2:TGID_X_EN: 1
; COMPUTE_PGM_RSRC2:TGID_Y_EN: 0
; COMPUTE_PGM_RSRC2:TGID_Z_EN: 0
; COMPUTE_PGM_RSRC2:TIDIG_COMP_CNT: 0
; COMPUTE_PGM_RSRC3_GFX90A:ACCUM_OFFSET: 0
; COMPUTE_PGM_RSRC3_GFX90A:TG_SPLIT: 0
	.section	.text._ZN7rocprim17ROCPRIM_400000_NS6detail17trampoline_kernelINS0_14default_configENS1_25transform_config_selectorItLb0EEEZNS1_14transform_implILb0ES3_S5_NS0_18transform_iteratorINS0_17counting_iteratorImlEEZNS1_24adjacent_difference_implIS3_Lb1ELb0EPtSB_N6thrust23THRUST_200600_302600_NS4plusItEEEE10hipError_tPvRmT2_T3_mT4_P12ihipStream_tbEUlmE_tEESB_NS0_8identityIvEEEESG_SJ_SK_mSL_SN_bEUlT_E_NS1_11comp_targetILNS1_3genE9ELNS1_11target_archE1100ELNS1_3gpuE3ELNS1_3repE0EEENS1_30default_config_static_selectorELNS0_4arch9wavefront6targetE1EEEvT1_,"axG",@progbits,_ZN7rocprim17ROCPRIM_400000_NS6detail17trampoline_kernelINS0_14default_configENS1_25transform_config_selectorItLb0EEEZNS1_14transform_implILb0ES3_S5_NS0_18transform_iteratorINS0_17counting_iteratorImlEEZNS1_24adjacent_difference_implIS3_Lb1ELb0EPtSB_N6thrust23THRUST_200600_302600_NS4plusItEEEE10hipError_tPvRmT2_T3_mT4_P12ihipStream_tbEUlmE_tEESB_NS0_8identityIvEEEESG_SJ_SK_mSL_SN_bEUlT_E_NS1_11comp_targetILNS1_3genE9ELNS1_11target_archE1100ELNS1_3gpuE3ELNS1_3repE0EEENS1_30default_config_static_selectorELNS0_4arch9wavefront6targetE1EEEvT1_,comdat
	.protected	_ZN7rocprim17ROCPRIM_400000_NS6detail17trampoline_kernelINS0_14default_configENS1_25transform_config_selectorItLb0EEEZNS1_14transform_implILb0ES3_S5_NS0_18transform_iteratorINS0_17counting_iteratorImlEEZNS1_24adjacent_difference_implIS3_Lb1ELb0EPtSB_N6thrust23THRUST_200600_302600_NS4plusItEEEE10hipError_tPvRmT2_T3_mT4_P12ihipStream_tbEUlmE_tEESB_NS0_8identityIvEEEESG_SJ_SK_mSL_SN_bEUlT_E_NS1_11comp_targetILNS1_3genE9ELNS1_11target_archE1100ELNS1_3gpuE3ELNS1_3repE0EEENS1_30default_config_static_selectorELNS0_4arch9wavefront6targetE1EEEvT1_ ; -- Begin function _ZN7rocprim17ROCPRIM_400000_NS6detail17trampoline_kernelINS0_14default_configENS1_25transform_config_selectorItLb0EEEZNS1_14transform_implILb0ES3_S5_NS0_18transform_iteratorINS0_17counting_iteratorImlEEZNS1_24adjacent_difference_implIS3_Lb1ELb0EPtSB_N6thrust23THRUST_200600_302600_NS4plusItEEEE10hipError_tPvRmT2_T3_mT4_P12ihipStream_tbEUlmE_tEESB_NS0_8identityIvEEEESG_SJ_SK_mSL_SN_bEUlT_E_NS1_11comp_targetILNS1_3genE9ELNS1_11target_archE1100ELNS1_3gpuE3ELNS1_3repE0EEENS1_30default_config_static_selectorELNS0_4arch9wavefront6targetE1EEEvT1_
	.globl	_ZN7rocprim17ROCPRIM_400000_NS6detail17trampoline_kernelINS0_14default_configENS1_25transform_config_selectorItLb0EEEZNS1_14transform_implILb0ES3_S5_NS0_18transform_iteratorINS0_17counting_iteratorImlEEZNS1_24adjacent_difference_implIS3_Lb1ELb0EPtSB_N6thrust23THRUST_200600_302600_NS4plusItEEEE10hipError_tPvRmT2_T3_mT4_P12ihipStream_tbEUlmE_tEESB_NS0_8identityIvEEEESG_SJ_SK_mSL_SN_bEUlT_E_NS1_11comp_targetILNS1_3genE9ELNS1_11target_archE1100ELNS1_3gpuE3ELNS1_3repE0EEENS1_30default_config_static_selectorELNS0_4arch9wavefront6targetE1EEEvT1_
	.p2align	8
	.type	_ZN7rocprim17ROCPRIM_400000_NS6detail17trampoline_kernelINS0_14default_configENS1_25transform_config_selectorItLb0EEEZNS1_14transform_implILb0ES3_S5_NS0_18transform_iteratorINS0_17counting_iteratorImlEEZNS1_24adjacent_difference_implIS3_Lb1ELb0EPtSB_N6thrust23THRUST_200600_302600_NS4plusItEEEE10hipError_tPvRmT2_T3_mT4_P12ihipStream_tbEUlmE_tEESB_NS0_8identityIvEEEESG_SJ_SK_mSL_SN_bEUlT_E_NS1_11comp_targetILNS1_3genE9ELNS1_11target_archE1100ELNS1_3gpuE3ELNS1_3repE0EEENS1_30default_config_static_selectorELNS0_4arch9wavefront6targetE1EEEvT1_,@function
_ZN7rocprim17ROCPRIM_400000_NS6detail17trampoline_kernelINS0_14default_configENS1_25transform_config_selectorItLb0EEEZNS1_14transform_implILb0ES3_S5_NS0_18transform_iteratorINS0_17counting_iteratorImlEEZNS1_24adjacent_difference_implIS3_Lb1ELb0EPtSB_N6thrust23THRUST_200600_302600_NS4plusItEEEE10hipError_tPvRmT2_T3_mT4_P12ihipStream_tbEUlmE_tEESB_NS0_8identityIvEEEESG_SJ_SK_mSL_SN_bEUlT_E_NS1_11comp_targetILNS1_3genE9ELNS1_11target_archE1100ELNS1_3gpuE3ELNS1_3repE0EEENS1_30default_config_static_selectorELNS0_4arch9wavefront6targetE1EEEvT1_: ; @_ZN7rocprim17ROCPRIM_400000_NS6detail17trampoline_kernelINS0_14default_configENS1_25transform_config_selectorItLb0EEEZNS1_14transform_implILb0ES3_S5_NS0_18transform_iteratorINS0_17counting_iteratorImlEEZNS1_24adjacent_difference_implIS3_Lb1ELb0EPtSB_N6thrust23THRUST_200600_302600_NS4plusItEEEE10hipError_tPvRmT2_T3_mT4_P12ihipStream_tbEUlmE_tEESB_NS0_8identityIvEEEESG_SJ_SK_mSL_SN_bEUlT_E_NS1_11comp_targetILNS1_3genE9ELNS1_11target_archE1100ELNS1_3gpuE3ELNS1_3repE0EEENS1_30default_config_static_selectorELNS0_4arch9wavefront6targetE1EEEvT1_
; %bb.0:
	.section	.rodata,"a",@progbits
	.p2align	6, 0x0
	.amdhsa_kernel _ZN7rocprim17ROCPRIM_400000_NS6detail17trampoline_kernelINS0_14default_configENS1_25transform_config_selectorItLb0EEEZNS1_14transform_implILb0ES3_S5_NS0_18transform_iteratorINS0_17counting_iteratorImlEEZNS1_24adjacent_difference_implIS3_Lb1ELb0EPtSB_N6thrust23THRUST_200600_302600_NS4plusItEEEE10hipError_tPvRmT2_T3_mT4_P12ihipStream_tbEUlmE_tEESB_NS0_8identityIvEEEESG_SJ_SK_mSL_SN_bEUlT_E_NS1_11comp_targetILNS1_3genE9ELNS1_11target_archE1100ELNS1_3gpuE3ELNS1_3repE0EEENS1_30default_config_static_selectorELNS0_4arch9wavefront6targetE1EEEvT1_
		.amdhsa_group_segment_fixed_size 0
		.amdhsa_private_segment_fixed_size 0
		.amdhsa_kernarg_size 56
		.amdhsa_user_sgpr_count 6
		.amdhsa_user_sgpr_private_segment_buffer 1
		.amdhsa_user_sgpr_dispatch_ptr 0
		.amdhsa_user_sgpr_queue_ptr 0
		.amdhsa_user_sgpr_kernarg_segment_ptr 1
		.amdhsa_user_sgpr_dispatch_id 0
		.amdhsa_user_sgpr_flat_scratch_init 0
		.amdhsa_user_sgpr_kernarg_preload_length 0
		.amdhsa_user_sgpr_kernarg_preload_offset 0
		.amdhsa_user_sgpr_private_segment_size 0
		.amdhsa_uses_dynamic_stack 0
		.amdhsa_system_sgpr_private_segment_wavefront_offset 0
		.amdhsa_system_sgpr_workgroup_id_x 1
		.amdhsa_system_sgpr_workgroup_id_y 0
		.amdhsa_system_sgpr_workgroup_id_z 0
		.amdhsa_system_sgpr_workgroup_info 0
		.amdhsa_system_vgpr_workitem_id 0
		.amdhsa_next_free_vgpr 1
		.amdhsa_next_free_sgpr 0
		.amdhsa_accum_offset 4
		.amdhsa_reserve_vcc 0
		.amdhsa_reserve_flat_scratch 0
		.amdhsa_float_round_mode_32 0
		.amdhsa_float_round_mode_16_64 0
		.amdhsa_float_denorm_mode_32 3
		.amdhsa_float_denorm_mode_16_64 3
		.amdhsa_dx10_clamp 1
		.amdhsa_ieee_mode 1
		.amdhsa_fp16_overflow 0
		.amdhsa_tg_split 0
		.amdhsa_exception_fp_ieee_invalid_op 0
		.amdhsa_exception_fp_denorm_src 0
		.amdhsa_exception_fp_ieee_div_zero 0
		.amdhsa_exception_fp_ieee_overflow 0
		.amdhsa_exception_fp_ieee_underflow 0
		.amdhsa_exception_fp_ieee_inexact 0
		.amdhsa_exception_int_div_zero 0
	.end_amdhsa_kernel
	.section	.text._ZN7rocprim17ROCPRIM_400000_NS6detail17trampoline_kernelINS0_14default_configENS1_25transform_config_selectorItLb0EEEZNS1_14transform_implILb0ES3_S5_NS0_18transform_iteratorINS0_17counting_iteratorImlEEZNS1_24adjacent_difference_implIS3_Lb1ELb0EPtSB_N6thrust23THRUST_200600_302600_NS4plusItEEEE10hipError_tPvRmT2_T3_mT4_P12ihipStream_tbEUlmE_tEESB_NS0_8identityIvEEEESG_SJ_SK_mSL_SN_bEUlT_E_NS1_11comp_targetILNS1_3genE9ELNS1_11target_archE1100ELNS1_3gpuE3ELNS1_3repE0EEENS1_30default_config_static_selectorELNS0_4arch9wavefront6targetE1EEEvT1_,"axG",@progbits,_ZN7rocprim17ROCPRIM_400000_NS6detail17trampoline_kernelINS0_14default_configENS1_25transform_config_selectorItLb0EEEZNS1_14transform_implILb0ES3_S5_NS0_18transform_iteratorINS0_17counting_iteratorImlEEZNS1_24adjacent_difference_implIS3_Lb1ELb0EPtSB_N6thrust23THRUST_200600_302600_NS4plusItEEEE10hipError_tPvRmT2_T3_mT4_P12ihipStream_tbEUlmE_tEESB_NS0_8identityIvEEEESG_SJ_SK_mSL_SN_bEUlT_E_NS1_11comp_targetILNS1_3genE9ELNS1_11target_archE1100ELNS1_3gpuE3ELNS1_3repE0EEENS1_30default_config_static_selectorELNS0_4arch9wavefront6targetE1EEEvT1_,comdat
.Lfunc_end354:
	.size	_ZN7rocprim17ROCPRIM_400000_NS6detail17trampoline_kernelINS0_14default_configENS1_25transform_config_selectorItLb0EEEZNS1_14transform_implILb0ES3_S5_NS0_18transform_iteratorINS0_17counting_iteratorImlEEZNS1_24adjacent_difference_implIS3_Lb1ELb0EPtSB_N6thrust23THRUST_200600_302600_NS4plusItEEEE10hipError_tPvRmT2_T3_mT4_P12ihipStream_tbEUlmE_tEESB_NS0_8identityIvEEEESG_SJ_SK_mSL_SN_bEUlT_E_NS1_11comp_targetILNS1_3genE9ELNS1_11target_archE1100ELNS1_3gpuE3ELNS1_3repE0EEENS1_30default_config_static_selectorELNS0_4arch9wavefront6targetE1EEEvT1_, .Lfunc_end354-_ZN7rocprim17ROCPRIM_400000_NS6detail17trampoline_kernelINS0_14default_configENS1_25transform_config_selectorItLb0EEEZNS1_14transform_implILb0ES3_S5_NS0_18transform_iteratorINS0_17counting_iteratorImlEEZNS1_24adjacent_difference_implIS3_Lb1ELb0EPtSB_N6thrust23THRUST_200600_302600_NS4plusItEEEE10hipError_tPvRmT2_T3_mT4_P12ihipStream_tbEUlmE_tEESB_NS0_8identityIvEEEESG_SJ_SK_mSL_SN_bEUlT_E_NS1_11comp_targetILNS1_3genE9ELNS1_11target_archE1100ELNS1_3gpuE3ELNS1_3repE0EEENS1_30default_config_static_selectorELNS0_4arch9wavefront6targetE1EEEvT1_
                                        ; -- End function
	.section	.AMDGPU.csdata,"",@progbits
; Kernel info:
; codeLenInByte = 0
; NumSgprs: 4
; NumVgprs: 0
; NumAgprs: 0
; TotalNumVgprs: 0
; ScratchSize: 0
; MemoryBound: 0
; FloatMode: 240
; IeeeMode: 1
; LDSByteSize: 0 bytes/workgroup (compile time only)
; SGPRBlocks: 0
; VGPRBlocks: 0
; NumSGPRsForWavesPerEU: 4
; NumVGPRsForWavesPerEU: 1
; AccumOffset: 4
; Occupancy: 8
; WaveLimiterHint : 0
; COMPUTE_PGM_RSRC2:SCRATCH_EN: 0
; COMPUTE_PGM_RSRC2:USER_SGPR: 6
; COMPUTE_PGM_RSRC2:TRAP_HANDLER: 0
; COMPUTE_PGM_RSRC2:TGID_X_EN: 1
; COMPUTE_PGM_RSRC2:TGID_Y_EN: 0
; COMPUTE_PGM_RSRC2:TGID_Z_EN: 0
; COMPUTE_PGM_RSRC2:TIDIG_COMP_CNT: 0
; COMPUTE_PGM_RSRC3_GFX90A:ACCUM_OFFSET: 0
; COMPUTE_PGM_RSRC3_GFX90A:TG_SPLIT: 0
	.section	.text._ZN7rocprim17ROCPRIM_400000_NS6detail17trampoline_kernelINS0_14default_configENS1_25transform_config_selectorItLb0EEEZNS1_14transform_implILb0ES3_S5_NS0_18transform_iteratorINS0_17counting_iteratorImlEEZNS1_24adjacent_difference_implIS3_Lb1ELb0EPtSB_N6thrust23THRUST_200600_302600_NS4plusItEEEE10hipError_tPvRmT2_T3_mT4_P12ihipStream_tbEUlmE_tEESB_NS0_8identityIvEEEESG_SJ_SK_mSL_SN_bEUlT_E_NS1_11comp_targetILNS1_3genE8ELNS1_11target_archE1030ELNS1_3gpuE2ELNS1_3repE0EEENS1_30default_config_static_selectorELNS0_4arch9wavefront6targetE1EEEvT1_,"axG",@progbits,_ZN7rocprim17ROCPRIM_400000_NS6detail17trampoline_kernelINS0_14default_configENS1_25transform_config_selectorItLb0EEEZNS1_14transform_implILb0ES3_S5_NS0_18transform_iteratorINS0_17counting_iteratorImlEEZNS1_24adjacent_difference_implIS3_Lb1ELb0EPtSB_N6thrust23THRUST_200600_302600_NS4plusItEEEE10hipError_tPvRmT2_T3_mT4_P12ihipStream_tbEUlmE_tEESB_NS0_8identityIvEEEESG_SJ_SK_mSL_SN_bEUlT_E_NS1_11comp_targetILNS1_3genE8ELNS1_11target_archE1030ELNS1_3gpuE2ELNS1_3repE0EEENS1_30default_config_static_selectorELNS0_4arch9wavefront6targetE1EEEvT1_,comdat
	.protected	_ZN7rocprim17ROCPRIM_400000_NS6detail17trampoline_kernelINS0_14default_configENS1_25transform_config_selectorItLb0EEEZNS1_14transform_implILb0ES3_S5_NS0_18transform_iteratorINS0_17counting_iteratorImlEEZNS1_24adjacent_difference_implIS3_Lb1ELb0EPtSB_N6thrust23THRUST_200600_302600_NS4plusItEEEE10hipError_tPvRmT2_T3_mT4_P12ihipStream_tbEUlmE_tEESB_NS0_8identityIvEEEESG_SJ_SK_mSL_SN_bEUlT_E_NS1_11comp_targetILNS1_3genE8ELNS1_11target_archE1030ELNS1_3gpuE2ELNS1_3repE0EEENS1_30default_config_static_selectorELNS0_4arch9wavefront6targetE1EEEvT1_ ; -- Begin function _ZN7rocprim17ROCPRIM_400000_NS6detail17trampoline_kernelINS0_14default_configENS1_25transform_config_selectorItLb0EEEZNS1_14transform_implILb0ES3_S5_NS0_18transform_iteratorINS0_17counting_iteratorImlEEZNS1_24adjacent_difference_implIS3_Lb1ELb0EPtSB_N6thrust23THRUST_200600_302600_NS4plusItEEEE10hipError_tPvRmT2_T3_mT4_P12ihipStream_tbEUlmE_tEESB_NS0_8identityIvEEEESG_SJ_SK_mSL_SN_bEUlT_E_NS1_11comp_targetILNS1_3genE8ELNS1_11target_archE1030ELNS1_3gpuE2ELNS1_3repE0EEENS1_30default_config_static_selectorELNS0_4arch9wavefront6targetE1EEEvT1_
	.globl	_ZN7rocprim17ROCPRIM_400000_NS6detail17trampoline_kernelINS0_14default_configENS1_25transform_config_selectorItLb0EEEZNS1_14transform_implILb0ES3_S5_NS0_18transform_iteratorINS0_17counting_iteratorImlEEZNS1_24adjacent_difference_implIS3_Lb1ELb0EPtSB_N6thrust23THRUST_200600_302600_NS4plusItEEEE10hipError_tPvRmT2_T3_mT4_P12ihipStream_tbEUlmE_tEESB_NS0_8identityIvEEEESG_SJ_SK_mSL_SN_bEUlT_E_NS1_11comp_targetILNS1_3genE8ELNS1_11target_archE1030ELNS1_3gpuE2ELNS1_3repE0EEENS1_30default_config_static_selectorELNS0_4arch9wavefront6targetE1EEEvT1_
	.p2align	8
	.type	_ZN7rocprim17ROCPRIM_400000_NS6detail17trampoline_kernelINS0_14default_configENS1_25transform_config_selectorItLb0EEEZNS1_14transform_implILb0ES3_S5_NS0_18transform_iteratorINS0_17counting_iteratorImlEEZNS1_24adjacent_difference_implIS3_Lb1ELb0EPtSB_N6thrust23THRUST_200600_302600_NS4plusItEEEE10hipError_tPvRmT2_T3_mT4_P12ihipStream_tbEUlmE_tEESB_NS0_8identityIvEEEESG_SJ_SK_mSL_SN_bEUlT_E_NS1_11comp_targetILNS1_3genE8ELNS1_11target_archE1030ELNS1_3gpuE2ELNS1_3repE0EEENS1_30default_config_static_selectorELNS0_4arch9wavefront6targetE1EEEvT1_,@function
_ZN7rocprim17ROCPRIM_400000_NS6detail17trampoline_kernelINS0_14default_configENS1_25transform_config_selectorItLb0EEEZNS1_14transform_implILb0ES3_S5_NS0_18transform_iteratorINS0_17counting_iteratorImlEEZNS1_24adjacent_difference_implIS3_Lb1ELb0EPtSB_N6thrust23THRUST_200600_302600_NS4plusItEEEE10hipError_tPvRmT2_T3_mT4_P12ihipStream_tbEUlmE_tEESB_NS0_8identityIvEEEESG_SJ_SK_mSL_SN_bEUlT_E_NS1_11comp_targetILNS1_3genE8ELNS1_11target_archE1030ELNS1_3gpuE2ELNS1_3repE0EEENS1_30default_config_static_selectorELNS0_4arch9wavefront6targetE1EEEvT1_: ; @_ZN7rocprim17ROCPRIM_400000_NS6detail17trampoline_kernelINS0_14default_configENS1_25transform_config_selectorItLb0EEEZNS1_14transform_implILb0ES3_S5_NS0_18transform_iteratorINS0_17counting_iteratorImlEEZNS1_24adjacent_difference_implIS3_Lb1ELb0EPtSB_N6thrust23THRUST_200600_302600_NS4plusItEEEE10hipError_tPvRmT2_T3_mT4_P12ihipStream_tbEUlmE_tEESB_NS0_8identityIvEEEESG_SJ_SK_mSL_SN_bEUlT_E_NS1_11comp_targetILNS1_3genE8ELNS1_11target_archE1030ELNS1_3gpuE2ELNS1_3repE0EEENS1_30default_config_static_selectorELNS0_4arch9wavefront6targetE1EEEvT1_
; %bb.0:
	.section	.rodata,"a",@progbits
	.p2align	6, 0x0
	.amdhsa_kernel _ZN7rocprim17ROCPRIM_400000_NS6detail17trampoline_kernelINS0_14default_configENS1_25transform_config_selectorItLb0EEEZNS1_14transform_implILb0ES3_S5_NS0_18transform_iteratorINS0_17counting_iteratorImlEEZNS1_24adjacent_difference_implIS3_Lb1ELb0EPtSB_N6thrust23THRUST_200600_302600_NS4plusItEEEE10hipError_tPvRmT2_T3_mT4_P12ihipStream_tbEUlmE_tEESB_NS0_8identityIvEEEESG_SJ_SK_mSL_SN_bEUlT_E_NS1_11comp_targetILNS1_3genE8ELNS1_11target_archE1030ELNS1_3gpuE2ELNS1_3repE0EEENS1_30default_config_static_selectorELNS0_4arch9wavefront6targetE1EEEvT1_
		.amdhsa_group_segment_fixed_size 0
		.amdhsa_private_segment_fixed_size 0
		.amdhsa_kernarg_size 56
		.amdhsa_user_sgpr_count 6
		.amdhsa_user_sgpr_private_segment_buffer 1
		.amdhsa_user_sgpr_dispatch_ptr 0
		.amdhsa_user_sgpr_queue_ptr 0
		.amdhsa_user_sgpr_kernarg_segment_ptr 1
		.amdhsa_user_sgpr_dispatch_id 0
		.amdhsa_user_sgpr_flat_scratch_init 0
		.amdhsa_user_sgpr_kernarg_preload_length 0
		.amdhsa_user_sgpr_kernarg_preload_offset 0
		.amdhsa_user_sgpr_private_segment_size 0
		.amdhsa_uses_dynamic_stack 0
		.amdhsa_system_sgpr_private_segment_wavefront_offset 0
		.amdhsa_system_sgpr_workgroup_id_x 1
		.amdhsa_system_sgpr_workgroup_id_y 0
		.amdhsa_system_sgpr_workgroup_id_z 0
		.amdhsa_system_sgpr_workgroup_info 0
		.amdhsa_system_vgpr_workitem_id 0
		.amdhsa_next_free_vgpr 1
		.amdhsa_next_free_sgpr 0
		.amdhsa_accum_offset 4
		.amdhsa_reserve_vcc 0
		.amdhsa_reserve_flat_scratch 0
		.amdhsa_float_round_mode_32 0
		.amdhsa_float_round_mode_16_64 0
		.amdhsa_float_denorm_mode_32 3
		.amdhsa_float_denorm_mode_16_64 3
		.amdhsa_dx10_clamp 1
		.amdhsa_ieee_mode 1
		.amdhsa_fp16_overflow 0
		.amdhsa_tg_split 0
		.amdhsa_exception_fp_ieee_invalid_op 0
		.amdhsa_exception_fp_denorm_src 0
		.amdhsa_exception_fp_ieee_div_zero 0
		.amdhsa_exception_fp_ieee_overflow 0
		.amdhsa_exception_fp_ieee_underflow 0
		.amdhsa_exception_fp_ieee_inexact 0
		.amdhsa_exception_int_div_zero 0
	.end_amdhsa_kernel
	.section	.text._ZN7rocprim17ROCPRIM_400000_NS6detail17trampoline_kernelINS0_14default_configENS1_25transform_config_selectorItLb0EEEZNS1_14transform_implILb0ES3_S5_NS0_18transform_iteratorINS0_17counting_iteratorImlEEZNS1_24adjacent_difference_implIS3_Lb1ELb0EPtSB_N6thrust23THRUST_200600_302600_NS4plusItEEEE10hipError_tPvRmT2_T3_mT4_P12ihipStream_tbEUlmE_tEESB_NS0_8identityIvEEEESG_SJ_SK_mSL_SN_bEUlT_E_NS1_11comp_targetILNS1_3genE8ELNS1_11target_archE1030ELNS1_3gpuE2ELNS1_3repE0EEENS1_30default_config_static_selectorELNS0_4arch9wavefront6targetE1EEEvT1_,"axG",@progbits,_ZN7rocprim17ROCPRIM_400000_NS6detail17trampoline_kernelINS0_14default_configENS1_25transform_config_selectorItLb0EEEZNS1_14transform_implILb0ES3_S5_NS0_18transform_iteratorINS0_17counting_iteratorImlEEZNS1_24adjacent_difference_implIS3_Lb1ELb0EPtSB_N6thrust23THRUST_200600_302600_NS4plusItEEEE10hipError_tPvRmT2_T3_mT4_P12ihipStream_tbEUlmE_tEESB_NS0_8identityIvEEEESG_SJ_SK_mSL_SN_bEUlT_E_NS1_11comp_targetILNS1_3genE8ELNS1_11target_archE1030ELNS1_3gpuE2ELNS1_3repE0EEENS1_30default_config_static_selectorELNS0_4arch9wavefront6targetE1EEEvT1_,comdat
.Lfunc_end355:
	.size	_ZN7rocprim17ROCPRIM_400000_NS6detail17trampoline_kernelINS0_14default_configENS1_25transform_config_selectorItLb0EEEZNS1_14transform_implILb0ES3_S5_NS0_18transform_iteratorINS0_17counting_iteratorImlEEZNS1_24adjacent_difference_implIS3_Lb1ELb0EPtSB_N6thrust23THRUST_200600_302600_NS4plusItEEEE10hipError_tPvRmT2_T3_mT4_P12ihipStream_tbEUlmE_tEESB_NS0_8identityIvEEEESG_SJ_SK_mSL_SN_bEUlT_E_NS1_11comp_targetILNS1_3genE8ELNS1_11target_archE1030ELNS1_3gpuE2ELNS1_3repE0EEENS1_30default_config_static_selectorELNS0_4arch9wavefront6targetE1EEEvT1_, .Lfunc_end355-_ZN7rocprim17ROCPRIM_400000_NS6detail17trampoline_kernelINS0_14default_configENS1_25transform_config_selectorItLb0EEEZNS1_14transform_implILb0ES3_S5_NS0_18transform_iteratorINS0_17counting_iteratorImlEEZNS1_24adjacent_difference_implIS3_Lb1ELb0EPtSB_N6thrust23THRUST_200600_302600_NS4plusItEEEE10hipError_tPvRmT2_T3_mT4_P12ihipStream_tbEUlmE_tEESB_NS0_8identityIvEEEESG_SJ_SK_mSL_SN_bEUlT_E_NS1_11comp_targetILNS1_3genE8ELNS1_11target_archE1030ELNS1_3gpuE2ELNS1_3repE0EEENS1_30default_config_static_selectorELNS0_4arch9wavefront6targetE1EEEvT1_
                                        ; -- End function
	.section	.AMDGPU.csdata,"",@progbits
; Kernel info:
; codeLenInByte = 0
; NumSgprs: 4
; NumVgprs: 0
; NumAgprs: 0
; TotalNumVgprs: 0
; ScratchSize: 0
; MemoryBound: 0
; FloatMode: 240
; IeeeMode: 1
; LDSByteSize: 0 bytes/workgroup (compile time only)
; SGPRBlocks: 0
; VGPRBlocks: 0
; NumSGPRsForWavesPerEU: 4
; NumVGPRsForWavesPerEU: 1
; AccumOffset: 4
; Occupancy: 8
; WaveLimiterHint : 0
; COMPUTE_PGM_RSRC2:SCRATCH_EN: 0
; COMPUTE_PGM_RSRC2:USER_SGPR: 6
; COMPUTE_PGM_RSRC2:TRAP_HANDLER: 0
; COMPUTE_PGM_RSRC2:TGID_X_EN: 1
; COMPUTE_PGM_RSRC2:TGID_Y_EN: 0
; COMPUTE_PGM_RSRC2:TGID_Z_EN: 0
; COMPUTE_PGM_RSRC2:TIDIG_COMP_CNT: 0
; COMPUTE_PGM_RSRC3_GFX90A:ACCUM_OFFSET: 0
; COMPUTE_PGM_RSRC3_GFX90A:TG_SPLIT: 0
	.section	.text._ZN7rocprim17ROCPRIM_400000_NS6detail17trampoline_kernelINS0_14default_configENS1_35adjacent_difference_config_selectorILb1EtEEZNS1_24adjacent_difference_implIS3_Lb1ELb0EPtS7_N6thrust23THRUST_200600_302600_NS4plusItEEEE10hipError_tPvRmT2_T3_mT4_P12ihipStream_tbEUlT_E_NS1_11comp_targetILNS1_3genE0ELNS1_11target_archE4294967295ELNS1_3gpuE0ELNS1_3repE0EEENS1_30default_config_static_selectorELNS0_4arch9wavefront6targetE1EEEvT1_,"axG",@progbits,_ZN7rocprim17ROCPRIM_400000_NS6detail17trampoline_kernelINS0_14default_configENS1_35adjacent_difference_config_selectorILb1EtEEZNS1_24adjacent_difference_implIS3_Lb1ELb0EPtS7_N6thrust23THRUST_200600_302600_NS4plusItEEEE10hipError_tPvRmT2_T3_mT4_P12ihipStream_tbEUlT_E_NS1_11comp_targetILNS1_3genE0ELNS1_11target_archE4294967295ELNS1_3gpuE0ELNS1_3repE0EEENS1_30default_config_static_selectorELNS0_4arch9wavefront6targetE1EEEvT1_,comdat
	.protected	_ZN7rocprim17ROCPRIM_400000_NS6detail17trampoline_kernelINS0_14default_configENS1_35adjacent_difference_config_selectorILb1EtEEZNS1_24adjacent_difference_implIS3_Lb1ELb0EPtS7_N6thrust23THRUST_200600_302600_NS4plusItEEEE10hipError_tPvRmT2_T3_mT4_P12ihipStream_tbEUlT_E_NS1_11comp_targetILNS1_3genE0ELNS1_11target_archE4294967295ELNS1_3gpuE0ELNS1_3repE0EEENS1_30default_config_static_selectorELNS0_4arch9wavefront6targetE1EEEvT1_ ; -- Begin function _ZN7rocprim17ROCPRIM_400000_NS6detail17trampoline_kernelINS0_14default_configENS1_35adjacent_difference_config_selectorILb1EtEEZNS1_24adjacent_difference_implIS3_Lb1ELb0EPtS7_N6thrust23THRUST_200600_302600_NS4plusItEEEE10hipError_tPvRmT2_T3_mT4_P12ihipStream_tbEUlT_E_NS1_11comp_targetILNS1_3genE0ELNS1_11target_archE4294967295ELNS1_3gpuE0ELNS1_3repE0EEENS1_30default_config_static_selectorELNS0_4arch9wavefront6targetE1EEEvT1_
	.globl	_ZN7rocprim17ROCPRIM_400000_NS6detail17trampoline_kernelINS0_14default_configENS1_35adjacent_difference_config_selectorILb1EtEEZNS1_24adjacent_difference_implIS3_Lb1ELb0EPtS7_N6thrust23THRUST_200600_302600_NS4plusItEEEE10hipError_tPvRmT2_T3_mT4_P12ihipStream_tbEUlT_E_NS1_11comp_targetILNS1_3genE0ELNS1_11target_archE4294967295ELNS1_3gpuE0ELNS1_3repE0EEENS1_30default_config_static_selectorELNS0_4arch9wavefront6targetE1EEEvT1_
	.p2align	8
	.type	_ZN7rocprim17ROCPRIM_400000_NS6detail17trampoline_kernelINS0_14default_configENS1_35adjacent_difference_config_selectorILb1EtEEZNS1_24adjacent_difference_implIS3_Lb1ELb0EPtS7_N6thrust23THRUST_200600_302600_NS4plusItEEEE10hipError_tPvRmT2_T3_mT4_P12ihipStream_tbEUlT_E_NS1_11comp_targetILNS1_3genE0ELNS1_11target_archE4294967295ELNS1_3gpuE0ELNS1_3repE0EEENS1_30default_config_static_selectorELNS0_4arch9wavefront6targetE1EEEvT1_,@function
_ZN7rocprim17ROCPRIM_400000_NS6detail17trampoline_kernelINS0_14default_configENS1_35adjacent_difference_config_selectorILb1EtEEZNS1_24adjacent_difference_implIS3_Lb1ELb0EPtS7_N6thrust23THRUST_200600_302600_NS4plusItEEEE10hipError_tPvRmT2_T3_mT4_P12ihipStream_tbEUlT_E_NS1_11comp_targetILNS1_3genE0ELNS1_11target_archE4294967295ELNS1_3gpuE0ELNS1_3repE0EEENS1_30default_config_static_selectorELNS0_4arch9wavefront6targetE1EEEvT1_: ; @_ZN7rocprim17ROCPRIM_400000_NS6detail17trampoline_kernelINS0_14default_configENS1_35adjacent_difference_config_selectorILb1EtEEZNS1_24adjacent_difference_implIS3_Lb1ELb0EPtS7_N6thrust23THRUST_200600_302600_NS4plusItEEEE10hipError_tPvRmT2_T3_mT4_P12ihipStream_tbEUlT_E_NS1_11comp_targetILNS1_3genE0ELNS1_11target_archE4294967295ELNS1_3gpuE0ELNS1_3repE0EEENS1_30default_config_static_selectorELNS0_4arch9wavefront6targetE1EEEvT1_
; %bb.0:
	.section	.rodata,"a",@progbits
	.p2align	6, 0x0
	.amdhsa_kernel _ZN7rocprim17ROCPRIM_400000_NS6detail17trampoline_kernelINS0_14default_configENS1_35adjacent_difference_config_selectorILb1EtEEZNS1_24adjacent_difference_implIS3_Lb1ELb0EPtS7_N6thrust23THRUST_200600_302600_NS4plusItEEEE10hipError_tPvRmT2_T3_mT4_P12ihipStream_tbEUlT_E_NS1_11comp_targetILNS1_3genE0ELNS1_11target_archE4294967295ELNS1_3gpuE0ELNS1_3repE0EEENS1_30default_config_static_selectorELNS0_4arch9wavefront6targetE1EEEvT1_
		.amdhsa_group_segment_fixed_size 0
		.amdhsa_private_segment_fixed_size 0
		.amdhsa_kernarg_size 56
		.amdhsa_user_sgpr_count 6
		.amdhsa_user_sgpr_private_segment_buffer 1
		.amdhsa_user_sgpr_dispatch_ptr 0
		.amdhsa_user_sgpr_queue_ptr 0
		.amdhsa_user_sgpr_kernarg_segment_ptr 1
		.amdhsa_user_sgpr_dispatch_id 0
		.amdhsa_user_sgpr_flat_scratch_init 0
		.amdhsa_user_sgpr_kernarg_preload_length 0
		.amdhsa_user_sgpr_kernarg_preload_offset 0
		.amdhsa_user_sgpr_private_segment_size 0
		.amdhsa_uses_dynamic_stack 0
		.amdhsa_system_sgpr_private_segment_wavefront_offset 0
		.amdhsa_system_sgpr_workgroup_id_x 1
		.amdhsa_system_sgpr_workgroup_id_y 0
		.amdhsa_system_sgpr_workgroup_id_z 0
		.amdhsa_system_sgpr_workgroup_info 0
		.amdhsa_system_vgpr_workitem_id 0
		.amdhsa_next_free_vgpr 1
		.amdhsa_next_free_sgpr 0
		.amdhsa_accum_offset 4
		.amdhsa_reserve_vcc 0
		.amdhsa_reserve_flat_scratch 0
		.amdhsa_float_round_mode_32 0
		.amdhsa_float_round_mode_16_64 0
		.amdhsa_float_denorm_mode_32 3
		.amdhsa_float_denorm_mode_16_64 3
		.amdhsa_dx10_clamp 1
		.amdhsa_ieee_mode 1
		.amdhsa_fp16_overflow 0
		.amdhsa_tg_split 0
		.amdhsa_exception_fp_ieee_invalid_op 0
		.amdhsa_exception_fp_denorm_src 0
		.amdhsa_exception_fp_ieee_div_zero 0
		.amdhsa_exception_fp_ieee_overflow 0
		.amdhsa_exception_fp_ieee_underflow 0
		.amdhsa_exception_fp_ieee_inexact 0
		.amdhsa_exception_int_div_zero 0
	.end_amdhsa_kernel
	.section	.text._ZN7rocprim17ROCPRIM_400000_NS6detail17trampoline_kernelINS0_14default_configENS1_35adjacent_difference_config_selectorILb1EtEEZNS1_24adjacent_difference_implIS3_Lb1ELb0EPtS7_N6thrust23THRUST_200600_302600_NS4plusItEEEE10hipError_tPvRmT2_T3_mT4_P12ihipStream_tbEUlT_E_NS1_11comp_targetILNS1_3genE0ELNS1_11target_archE4294967295ELNS1_3gpuE0ELNS1_3repE0EEENS1_30default_config_static_selectorELNS0_4arch9wavefront6targetE1EEEvT1_,"axG",@progbits,_ZN7rocprim17ROCPRIM_400000_NS6detail17trampoline_kernelINS0_14default_configENS1_35adjacent_difference_config_selectorILb1EtEEZNS1_24adjacent_difference_implIS3_Lb1ELb0EPtS7_N6thrust23THRUST_200600_302600_NS4plusItEEEE10hipError_tPvRmT2_T3_mT4_P12ihipStream_tbEUlT_E_NS1_11comp_targetILNS1_3genE0ELNS1_11target_archE4294967295ELNS1_3gpuE0ELNS1_3repE0EEENS1_30default_config_static_selectorELNS0_4arch9wavefront6targetE1EEEvT1_,comdat
.Lfunc_end356:
	.size	_ZN7rocprim17ROCPRIM_400000_NS6detail17trampoline_kernelINS0_14default_configENS1_35adjacent_difference_config_selectorILb1EtEEZNS1_24adjacent_difference_implIS3_Lb1ELb0EPtS7_N6thrust23THRUST_200600_302600_NS4plusItEEEE10hipError_tPvRmT2_T3_mT4_P12ihipStream_tbEUlT_E_NS1_11comp_targetILNS1_3genE0ELNS1_11target_archE4294967295ELNS1_3gpuE0ELNS1_3repE0EEENS1_30default_config_static_selectorELNS0_4arch9wavefront6targetE1EEEvT1_, .Lfunc_end356-_ZN7rocprim17ROCPRIM_400000_NS6detail17trampoline_kernelINS0_14default_configENS1_35adjacent_difference_config_selectorILb1EtEEZNS1_24adjacent_difference_implIS3_Lb1ELb0EPtS7_N6thrust23THRUST_200600_302600_NS4plusItEEEE10hipError_tPvRmT2_T3_mT4_P12ihipStream_tbEUlT_E_NS1_11comp_targetILNS1_3genE0ELNS1_11target_archE4294967295ELNS1_3gpuE0ELNS1_3repE0EEENS1_30default_config_static_selectorELNS0_4arch9wavefront6targetE1EEEvT1_
                                        ; -- End function
	.section	.AMDGPU.csdata,"",@progbits
; Kernel info:
; codeLenInByte = 0
; NumSgprs: 4
; NumVgprs: 0
; NumAgprs: 0
; TotalNumVgprs: 0
; ScratchSize: 0
; MemoryBound: 0
; FloatMode: 240
; IeeeMode: 1
; LDSByteSize: 0 bytes/workgroup (compile time only)
; SGPRBlocks: 0
; VGPRBlocks: 0
; NumSGPRsForWavesPerEU: 4
; NumVGPRsForWavesPerEU: 1
; AccumOffset: 4
; Occupancy: 8
; WaveLimiterHint : 0
; COMPUTE_PGM_RSRC2:SCRATCH_EN: 0
; COMPUTE_PGM_RSRC2:USER_SGPR: 6
; COMPUTE_PGM_RSRC2:TRAP_HANDLER: 0
; COMPUTE_PGM_RSRC2:TGID_X_EN: 1
; COMPUTE_PGM_RSRC2:TGID_Y_EN: 0
; COMPUTE_PGM_RSRC2:TGID_Z_EN: 0
; COMPUTE_PGM_RSRC2:TIDIG_COMP_CNT: 0
; COMPUTE_PGM_RSRC3_GFX90A:ACCUM_OFFSET: 0
; COMPUTE_PGM_RSRC3_GFX90A:TG_SPLIT: 0
	.section	.text._ZN7rocprim17ROCPRIM_400000_NS6detail17trampoline_kernelINS0_14default_configENS1_35adjacent_difference_config_selectorILb1EtEEZNS1_24adjacent_difference_implIS3_Lb1ELb0EPtS7_N6thrust23THRUST_200600_302600_NS4plusItEEEE10hipError_tPvRmT2_T3_mT4_P12ihipStream_tbEUlT_E_NS1_11comp_targetILNS1_3genE10ELNS1_11target_archE1201ELNS1_3gpuE5ELNS1_3repE0EEENS1_30default_config_static_selectorELNS0_4arch9wavefront6targetE1EEEvT1_,"axG",@progbits,_ZN7rocprim17ROCPRIM_400000_NS6detail17trampoline_kernelINS0_14default_configENS1_35adjacent_difference_config_selectorILb1EtEEZNS1_24adjacent_difference_implIS3_Lb1ELb0EPtS7_N6thrust23THRUST_200600_302600_NS4plusItEEEE10hipError_tPvRmT2_T3_mT4_P12ihipStream_tbEUlT_E_NS1_11comp_targetILNS1_3genE10ELNS1_11target_archE1201ELNS1_3gpuE5ELNS1_3repE0EEENS1_30default_config_static_selectorELNS0_4arch9wavefront6targetE1EEEvT1_,comdat
	.protected	_ZN7rocprim17ROCPRIM_400000_NS6detail17trampoline_kernelINS0_14default_configENS1_35adjacent_difference_config_selectorILb1EtEEZNS1_24adjacent_difference_implIS3_Lb1ELb0EPtS7_N6thrust23THRUST_200600_302600_NS4plusItEEEE10hipError_tPvRmT2_T3_mT4_P12ihipStream_tbEUlT_E_NS1_11comp_targetILNS1_3genE10ELNS1_11target_archE1201ELNS1_3gpuE5ELNS1_3repE0EEENS1_30default_config_static_selectorELNS0_4arch9wavefront6targetE1EEEvT1_ ; -- Begin function _ZN7rocprim17ROCPRIM_400000_NS6detail17trampoline_kernelINS0_14default_configENS1_35adjacent_difference_config_selectorILb1EtEEZNS1_24adjacent_difference_implIS3_Lb1ELb0EPtS7_N6thrust23THRUST_200600_302600_NS4plusItEEEE10hipError_tPvRmT2_T3_mT4_P12ihipStream_tbEUlT_E_NS1_11comp_targetILNS1_3genE10ELNS1_11target_archE1201ELNS1_3gpuE5ELNS1_3repE0EEENS1_30default_config_static_selectorELNS0_4arch9wavefront6targetE1EEEvT1_
	.globl	_ZN7rocprim17ROCPRIM_400000_NS6detail17trampoline_kernelINS0_14default_configENS1_35adjacent_difference_config_selectorILb1EtEEZNS1_24adjacent_difference_implIS3_Lb1ELb0EPtS7_N6thrust23THRUST_200600_302600_NS4plusItEEEE10hipError_tPvRmT2_T3_mT4_P12ihipStream_tbEUlT_E_NS1_11comp_targetILNS1_3genE10ELNS1_11target_archE1201ELNS1_3gpuE5ELNS1_3repE0EEENS1_30default_config_static_selectorELNS0_4arch9wavefront6targetE1EEEvT1_
	.p2align	8
	.type	_ZN7rocprim17ROCPRIM_400000_NS6detail17trampoline_kernelINS0_14default_configENS1_35adjacent_difference_config_selectorILb1EtEEZNS1_24adjacent_difference_implIS3_Lb1ELb0EPtS7_N6thrust23THRUST_200600_302600_NS4plusItEEEE10hipError_tPvRmT2_T3_mT4_P12ihipStream_tbEUlT_E_NS1_11comp_targetILNS1_3genE10ELNS1_11target_archE1201ELNS1_3gpuE5ELNS1_3repE0EEENS1_30default_config_static_selectorELNS0_4arch9wavefront6targetE1EEEvT1_,@function
_ZN7rocprim17ROCPRIM_400000_NS6detail17trampoline_kernelINS0_14default_configENS1_35adjacent_difference_config_selectorILb1EtEEZNS1_24adjacent_difference_implIS3_Lb1ELb0EPtS7_N6thrust23THRUST_200600_302600_NS4plusItEEEE10hipError_tPvRmT2_T3_mT4_P12ihipStream_tbEUlT_E_NS1_11comp_targetILNS1_3genE10ELNS1_11target_archE1201ELNS1_3gpuE5ELNS1_3repE0EEENS1_30default_config_static_selectorELNS0_4arch9wavefront6targetE1EEEvT1_: ; @_ZN7rocprim17ROCPRIM_400000_NS6detail17trampoline_kernelINS0_14default_configENS1_35adjacent_difference_config_selectorILb1EtEEZNS1_24adjacent_difference_implIS3_Lb1ELb0EPtS7_N6thrust23THRUST_200600_302600_NS4plusItEEEE10hipError_tPvRmT2_T3_mT4_P12ihipStream_tbEUlT_E_NS1_11comp_targetILNS1_3genE10ELNS1_11target_archE1201ELNS1_3gpuE5ELNS1_3repE0EEENS1_30default_config_static_selectorELNS0_4arch9wavefront6targetE1EEEvT1_
; %bb.0:
	.section	.rodata,"a",@progbits
	.p2align	6, 0x0
	.amdhsa_kernel _ZN7rocprim17ROCPRIM_400000_NS6detail17trampoline_kernelINS0_14default_configENS1_35adjacent_difference_config_selectorILb1EtEEZNS1_24adjacent_difference_implIS3_Lb1ELb0EPtS7_N6thrust23THRUST_200600_302600_NS4plusItEEEE10hipError_tPvRmT2_T3_mT4_P12ihipStream_tbEUlT_E_NS1_11comp_targetILNS1_3genE10ELNS1_11target_archE1201ELNS1_3gpuE5ELNS1_3repE0EEENS1_30default_config_static_selectorELNS0_4arch9wavefront6targetE1EEEvT1_
		.amdhsa_group_segment_fixed_size 0
		.amdhsa_private_segment_fixed_size 0
		.amdhsa_kernarg_size 56
		.amdhsa_user_sgpr_count 6
		.amdhsa_user_sgpr_private_segment_buffer 1
		.amdhsa_user_sgpr_dispatch_ptr 0
		.amdhsa_user_sgpr_queue_ptr 0
		.amdhsa_user_sgpr_kernarg_segment_ptr 1
		.amdhsa_user_sgpr_dispatch_id 0
		.amdhsa_user_sgpr_flat_scratch_init 0
		.amdhsa_user_sgpr_kernarg_preload_length 0
		.amdhsa_user_sgpr_kernarg_preload_offset 0
		.amdhsa_user_sgpr_private_segment_size 0
		.amdhsa_uses_dynamic_stack 0
		.amdhsa_system_sgpr_private_segment_wavefront_offset 0
		.amdhsa_system_sgpr_workgroup_id_x 1
		.amdhsa_system_sgpr_workgroup_id_y 0
		.amdhsa_system_sgpr_workgroup_id_z 0
		.amdhsa_system_sgpr_workgroup_info 0
		.amdhsa_system_vgpr_workitem_id 0
		.amdhsa_next_free_vgpr 1
		.amdhsa_next_free_sgpr 0
		.amdhsa_accum_offset 4
		.amdhsa_reserve_vcc 0
		.amdhsa_reserve_flat_scratch 0
		.amdhsa_float_round_mode_32 0
		.amdhsa_float_round_mode_16_64 0
		.amdhsa_float_denorm_mode_32 3
		.amdhsa_float_denorm_mode_16_64 3
		.amdhsa_dx10_clamp 1
		.amdhsa_ieee_mode 1
		.amdhsa_fp16_overflow 0
		.amdhsa_tg_split 0
		.amdhsa_exception_fp_ieee_invalid_op 0
		.amdhsa_exception_fp_denorm_src 0
		.amdhsa_exception_fp_ieee_div_zero 0
		.amdhsa_exception_fp_ieee_overflow 0
		.amdhsa_exception_fp_ieee_underflow 0
		.amdhsa_exception_fp_ieee_inexact 0
		.amdhsa_exception_int_div_zero 0
	.end_amdhsa_kernel
	.section	.text._ZN7rocprim17ROCPRIM_400000_NS6detail17trampoline_kernelINS0_14default_configENS1_35adjacent_difference_config_selectorILb1EtEEZNS1_24adjacent_difference_implIS3_Lb1ELb0EPtS7_N6thrust23THRUST_200600_302600_NS4plusItEEEE10hipError_tPvRmT2_T3_mT4_P12ihipStream_tbEUlT_E_NS1_11comp_targetILNS1_3genE10ELNS1_11target_archE1201ELNS1_3gpuE5ELNS1_3repE0EEENS1_30default_config_static_selectorELNS0_4arch9wavefront6targetE1EEEvT1_,"axG",@progbits,_ZN7rocprim17ROCPRIM_400000_NS6detail17trampoline_kernelINS0_14default_configENS1_35adjacent_difference_config_selectorILb1EtEEZNS1_24adjacent_difference_implIS3_Lb1ELb0EPtS7_N6thrust23THRUST_200600_302600_NS4plusItEEEE10hipError_tPvRmT2_T3_mT4_P12ihipStream_tbEUlT_E_NS1_11comp_targetILNS1_3genE10ELNS1_11target_archE1201ELNS1_3gpuE5ELNS1_3repE0EEENS1_30default_config_static_selectorELNS0_4arch9wavefront6targetE1EEEvT1_,comdat
.Lfunc_end357:
	.size	_ZN7rocprim17ROCPRIM_400000_NS6detail17trampoline_kernelINS0_14default_configENS1_35adjacent_difference_config_selectorILb1EtEEZNS1_24adjacent_difference_implIS3_Lb1ELb0EPtS7_N6thrust23THRUST_200600_302600_NS4plusItEEEE10hipError_tPvRmT2_T3_mT4_P12ihipStream_tbEUlT_E_NS1_11comp_targetILNS1_3genE10ELNS1_11target_archE1201ELNS1_3gpuE5ELNS1_3repE0EEENS1_30default_config_static_selectorELNS0_4arch9wavefront6targetE1EEEvT1_, .Lfunc_end357-_ZN7rocprim17ROCPRIM_400000_NS6detail17trampoline_kernelINS0_14default_configENS1_35adjacent_difference_config_selectorILb1EtEEZNS1_24adjacent_difference_implIS3_Lb1ELb0EPtS7_N6thrust23THRUST_200600_302600_NS4plusItEEEE10hipError_tPvRmT2_T3_mT4_P12ihipStream_tbEUlT_E_NS1_11comp_targetILNS1_3genE10ELNS1_11target_archE1201ELNS1_3gpuE5ELNS1_3repE0EEENS1_30default_config_static_selectorELNS0_4arch9wavefront6targetE1EEEvT1_
                                        ; -- End function
	.section	.AMDGPU.csdata,"",@progbits
; Kernel info:
; codeLenInByte = 0
; NumSgprs: 4
; NumVgprs: 0
; NumAgprs: 0
; TotalNumVgprs: 0
; ScratchSize: 0
; MemoryBound: 0
; FloatMode: 240
; IeeeMode: 1
; LDSByteSize: 0 bytes/workgroup (compile time only)
; SGPRBlocks: 0
; VGPRBlocks: 0
; NumSGPRsForWavesPerEU: 4
; NumVGPRsForWavesPerEU: 1
; AccumOffset: 4
; Occupancy: 8
; WaveLimiterHint : 0
; COMPUTE_PGM_RSRC2:SCRATCH_EN: 0
; COMPUTE_PGM_RSRC2:USER_SGPR: 6
; COMPUTE_PGM_RSRC2:TRAP_HANDLER: 0
; COMPUTE_PGM_RSRC2:TGID_X_EN: 1
; COMPUTE_PGM_RSRC2:TGID_Y_EN: 0
; COMPUTE_PGM_RSRC2:TGID_Z_EN: 0
; COMPUTE_PGM_RSRC2:TIDIG_COMP_CNT: 0
; COMPUTE_PGM_RSRC3_GFX90A:ACCUM_OFFSET: 0
; COMPUTE_PGM_RSRC3_GFX90A:TG_SPLIT: 0
	.section	.text._ZN7rocprim17ROCPRIM_400000_NS6detail17trampoline_kernelINS0_14default_configENS1_35adjacent_difference_config_selectorILb1EtEEZNS1_24adjacent_difference_implIS3_Lb1ELb0EPtS7_N6thrust23THRUST_200600_302600_NS4plusItEEEE10hipError_tPvRmT2_T3_mT4_P12ihipStream_tbEUlT_E_NS1_11comp_targetILNS1_3genE5ELNS1_11target_archE942ELNS1_3gpuE9ELNS1_3repE0EEENS1_30default_config_static_selectorELNS0_4arch9wavefront6targetE1EEEvT1_,"axG",@progbits,_ZN7rocprim17ROCPRIM_400000_NS6detail17trampoline_kernelINS0_14default_configENS1_35adjacent_difference_config_selectorILb1EtEEZNS1_24adjacent_difference_implIS3_Lb1ELb0EPtS7_N6thrust23THRUST_200600_302600_NS4plusItEEEE10hipError_tPvRmT2_T3_mT4_P12ihipStream_tbEUlT_E_NS1_11comp_targetILNS1_3genE5ELNS1_11target_archE942ELNS1_3gpuE9ELNS1_3repE0EEENS1_30default_config_static_selectorELNS0_4arch9wavefront6targetE1EEEvT1_,comdat
	.protected	_ZN7rocprim17ROCPRIM_400000_NS6detail17trampoline_kernelINS0_14default_configENS1_35adjacent_difference_config_selectorILb1EtEEZNS1_24adjacent_difference_implIS3_Lb1ELb0EPtS7_N6thrust23THRUST_200600_302600_NS4plusItEEEE10hipError_tPvRmT2_T3_mT4_P12ihipStream_tbEUlT_E_NS1_11comp_targetILNS1_3genE5ELNS1_11target_archE942ELNS1_3gpuE9ELNS1_3repE0EEENS1_30default_config_static_selectorELNS0_4arch9wavefront6targetE1EEEvT1_ ; -- Begin function _ZN7rocprim17ROCPRIM_400000_NS6detail17trampoline_kernelINS0_14default_configENS1_35adjacent_difference_config_selectorILb1EtEEZNS1_24adjacent_difference_implIS3_Lb1ELb0EPtS7_N6thrust23THRUST_200600_302600_NS4plusItEEEE10hipError_tPvRmT2_T3_mT4_P12ihipStream_tbEUlT_E_NS1_11comp_targetILNS1_3genE5ELNS1_11target_archE942ELNS1_3gpuE9ELNS1_3repE0EEENS1_30default_config_static_selectorELNS0_4arch9wavefront6targetE1EEEvT1_
	.globl	_ZN7rocprim17ROCPRIM_400000_NS6detail17trampoline_kernelINS0_14default_configENS1_35adjacent_difference_config_selectorILb1EtEEZNS1_24adjacent_difference_implIS3_Lb1ELb0EPtS7_N6thrust23THRUST_200600_302600_NS4plusItEEEE10hipError_tPvRmT2_T3_mT4_P12ihipStream_tbEUlT_E_NS1_11comp_targetILNS1_3genE5ELNS1_11target_archE942ELNS1_3gpuE9ELNS1_3repE0EEENS1_30default_config_static_selectorELNS0_4arch9wavefront6targetE1EEEvT1_
	.p2align	8
	.type	_ZN7rocprim17ROCPRIM_400000_NS6detail17trampoline_kernelINS0_14default_configENS1_35adjacent_difference_config_selectorILb1EtEEZNS1_24adjacent_difference_implIS3_Lb1ELb0EPtS7_N6thrust23THRUST_200600_302600_NS4plusItEEEE10hipError_tPvRmT2_T3_mT4_P12ihipStream_tbEUlT_E_NS1_11comp_targetILNS1_3genE5ELNS1_11target_archE942ELNS1_3gpuE9ELNS1_3repE0EEENS1_30default_config_static_selectorELNS0_4arch9wavefront6targetE1EEEvT1_,@function
_ZN7rocprim17ROCPRIM_400000_NS6detail17trampoline_kernelINS0_14default_configENS1_35adjacent_difference_config_selectorILb1EtEEZNS1_24adjacent_difference_implIS3_Lb1ELb0EPtS7_N6thrust23THRUST_200600_302600_NS4plusItEEEE10hipError_tPvRmT2_T3_mT4_P12ihipStream_tbEUlT_E_NS1_11comp_targetILNS1_3genE5ELNS1_11target_archE942ELNS1_3gpuE9ELNS1_3repE0EEENS1_30default_config_static_selectorELNS0_4arch9wavefront6targetE1EEEvT1_: ; @_ZN7rocprim17ROCPRIM_400000_NS6detail17trampoline_kernelINS0_14default_configENS1_35adjacent_difference_config_selectorILb1EtEEZNS1_24adjacent_difference_implIS3_Lb1ELb0EPtS7_N6thrust23THRUST_200600_302600_NS4plusItEEEE10hipError_tPvRmT2_T3_mT4_P12ihipStream_tbEUlT_E_NS1_11comp_targetILNS1_3genE5ELNS1_11target_archE942ELNS1_3gpuE9ELNS1_3repE0EEENS1_30default_config_static_selectorELNS0_4arch9wavefront6targetE1EEEvT1_
; %bb.0:
	.section	.rodata,"a",@progbits
	.p2align	6, 0x0
	.amdhsa_kernel _ZN7rocprim17ROCPRIM_400000_NS6detail17trampoline_kernelINS0_14default_configENS1_35adjacent_difference_config_selectorILb1EtEEZNS1_24adjacent_difference_implIS3_Lb1ELb0EPtS7_N6thrust23THRUST_200600_302600_NS4plusItEEEE10hipError_tPvRmT2_T3_mT4_P12ihipStream_tbEUlT_E_NS1_11comp_targetILNS1_3genE5ELNS1_11target_archE942ELNS1_3gpuE9ELNS1_3repE0EEENS1_30default_config_static_selectorELNS0_4arch9wavefront6targetE1EEEvT1_
		.amdhsa_group_segment_fixed_size 0
		.amdhsa_private_segment_fixed_size 0
		.amdhsa_kernarg_size 56
		.amdhsa_user_sgpr_count 6
		.amdhsa_user_sgpr_private_segment_buffer 1
		.amdhsa_user_sgpr_dispatch_ptr 0
		.amdhsa_user_sgpr_queue_ptr 0
		.amdhsa_user_sgpr_kernarg_segment_ptr 1
		.amdhsa_user_sgpr_dispatch_id 0
		.amdhsa_user_sgpr_flat_scratch_init 0
		.amdhsa_user_sgpr_kernarg_preload_length 0
		.amdhsa_user_sgpr_kernarg_preload_offset 0
		.amdhsa_user_sgpr_private_segment_size 0
		.amdhsa_uses_dynamic_stack 0
		.amdhsa_system_sgpr_private_segment_wavefront_offset 0
		.amdhsa_system_sgpr_workgroup_id_x 1
		.amdhsa_system_sgpr_workgroup_id_y 0
		.amdhsa_system_sgpr_workgroup_id_z 0
		.amdhsa_system_sgpr_workgroup_info 0
		.amdhsa_system_vgpr_workitem_id 0
		.amdhsa_next_free_vgpr 1
		.amdhsa_next_free_sgpr 0
		.amdhsa_accum_offset 4
		.amdhsa_reserve_vcc 0
		.amdhsa_reserve_flat_scratch 0
		.amdhsa_float_round_mode_32 0
		.amdhsa_float_round_mode_16_64 0
		.amdhsa_float_denorm_mode_32 3
		.amdhsa_float_denorm_mode_16_64 3
		.amdhsa_dx10_clamp 1
		.amdhsa_ieee_mode 1
		.amdhsa_fp16_overflow 0
		.amdhsa_tg_split 0
		.amdhsa_exception_fp_ieee_invalid_op 0
		.amdhsa_exception_fp_denorm_src 0
		.amdhsa_exception_fp_ieee_div_zero 0
		.amdhsa_exception_fp_ieee_overflow 0
		.amdhsa_exception_fp_ieee_underflow 0
		.amdhsa_exception_fp_ieee_inexact 0
		.amdhsa_exception_int_div_zero 0
	.end_amdhsa_kernel
	.section	.text._ZN7rocprim17ROCPRIM_400000_NS6detail17trampoline_kernelINS0_14default_configENS1_35adjacent_difference_config_selectorILb1EtEEZNS1_24adjacent_difference_implIS3_Lb1ELb0EPtS7_N6thrust23THRUST_200600_302600_NS4plusItEEEE10hipError_tPvRmT2_T3_mT4_P12ihipStream_tbEUlT_E_NS1_11comp_targetILNS1_3genE5ELNS1_11target_archE942ELNS1_3gpuE9ELNS1_3repE0EEENS1_30default_config_static_selectorELNS0_4arch9wavefront6targetE1EEEvT1_,"axG",@progbits,_ZN7rocprim17ROCPRIM_400000_NS6detail17trampoline_kernelINS0_14default_configENS1_35adjacent_difference_config_selectorILb1EtEEZNS1_24adjacent_difference_implIS3_Lb1ELb0EPtS7_N6thrust23THRUST_200600_302600_NS4plusItEEEE10hipError_tPvRmT2_T3_mT4_P12ihipStream_tbEUlT_E_NS1_11comp_targetILNS1_3genE5ELNS1_11target_archE942ELNS1_3gpuE9ELNS1_3repE0EEENS1_30default_config_static_selectorELNS0_4arch9wavefront6targetE1EEEvT1_,comdat
.Lfunc_end358:
	.size	_ZN7rocprim17ROCPRIM_400000_NS6detail17trampoline_kernelINS0_14default_configENS1_35adjacent_difference_config_selectorILb1EtEEZNS1_24adjacent_difference_implIS3_Lb1ELb0EPtS7_N6thrust23THRUST_200600_302600_NS4plusItEEEE10hipError_tPvRmT2_T3_mT4_P12ihipStream_tbEUlT_E_NS1_11comp_targetILNS1_3genE5ELNS1_11target_archE942ELNS1_3gpuE9ELNS1_3repE0EEENS1_30default_config_static_selectorELNS0_4arch9wavefront6targetE1EEEvT1_, .Lfunc_end358-_ZN7rocprim17ROCPRIM_400000_NS6detail17trampoline_kernelINS0_14default_configENS1_35adjacent_difference_config_selectorILb1EtEEZNS1_24adjacent_difference_implIS3_Lb1ELb0EPtS7_N6thrust23THRUST_200600_302600_NS4plusItEEEE10hipError_tPvRmT2_T3_mT4_P12ihipStream_tbEUlT_E_NS1_11comp_targetILNS1_3genE5ELNS1_11target_archE942ELNS1_3gpuE9ELNS1_3repE0EEENS1_30default_config_static_selectorELNS0_4arch9wavefront6targetE1EEEvT1_
                                        ; -- End function
	.section	.AMDGPU.csdata,"",@progbits
; Kernel info:
; codeLenInByte = 0
; NumSgprs: 4
; NumVgprs: 0
; NumAgprs: 0
; TotalNumVgprs: 0
; ScratchSize: 0
; MemoryBound: 0
; FloatMode: 240
; IeeeMode: 1
; LDSByteSize: 0 bytes/workgroup (compile time only)
; SGPRBlocks: 0
; VGPRBlocks: 0
; NumSGPRsForWavesPerEU: 4
; NumVGPRsForWavesPerEU: 1
; AccumOffset: 4
; Occupancy: 8
; WaveLimiterHint : 0
; COMPUTE_PGM_RSRC2:SCRATCH_EN: 0
; COMPUTE_PGM_RSRC2:USER_SGPR: 6
; COMPUTE_PGM_RSRC2:TRAP_HANDLER: 0
; COMPUTE_PGM_RSRC2:TGID_X_EN: 1
; COMPUTE_PGM_RSRC2:TGID_Y_EN: 0
; COMPUTE_PGM_RSRC2:TGID_Z_EN: 0
; COMPUTE_PGM_RSRC2:TIDIG_COMP_CNT: 0
; COMPUTE_PGM_RSRC3_GFX90A:ACCUM_OFFSET: 0
; COMPUTE_PGM_RSRC3_GFX90A:TG_SPLIT: 0
	.section	.text._ZN7rocprim17ROCPRIM_400000_NS6detail17trampoline_kernelINS0_14default_configENS1_35adjacent_difference_config_selectorILb1EtEEZNS1_24adjacent_difference_implIS3_Lb1ELb0EPtS7_N6thrust23THRUST_200600_302600_NS4plusItEEEE10hipError_tPvRmT2_T3_mT4_P12ihipStream_tbEUlT_E_NS1_11comp_targetILNS1_3genE4ELNS1_11target_archE910ELNS1_3gpuE8ELNS1_3repE0EEENS1_30default_config_static_selectorELNS0_4arch9wavefront6targetE1EEEvT1_,"axG",@progbits,_ZN7rocprim17ROCPRIM_400000_NS6detail17trampoline_kernelINS0_14default_configENS1_35adjacent_difference_config_selectorILb1EtEEZNS1_24adjacent_difference_implIS3_Lb1ELb0EPtS7_N6thrust23THRUST_200600_302600_NS4plusItEEEE10hipError_tPvRmT2_T3_mT4_P12ihipStream_tbEUlT_E_NS1_11comp_targetILNS1_3genE4ELNS1_11target_archE910ELNS1_3gpuE8ELNS1_3repE0EEENS1_30default_config_static_selectorELNS0_4arch9wavefront6targetE1EEEvT1_,comdat
	.protected	_ZN7rocprim17ROCPRIM_400000_NS6detail17trampoline_kernelINS0_14default_configENS1_35adjacent_difference_config_selectorILb1EtEEZNS1_24adjacent_difference_implIS3_Lb1ELb0EPtS7_N6thrust23THRUST_200600_302600_NS4plusItEEEE10hipError_tPvRmT2_T3_mT4_P12ihipStream_tbEUlT_E_NS1_11comp_targetILNS1_3genE4ELNS1_11target_archE910ELNS1_3gpuE8ELNS1_3repE0EEENS1_30default_config_static_selectorELNS0_4arch9wavefront6targetE1EEEvT1_ ; -- Begin function _ZN7rocprim17ROCPRIM_400000_NS6detail17trampoline_kernelINS0_14default_configENS1_35adjacent_difference_config_selectorILb1EtEEZNS1_24adjacent_difference_implIS3_Lb1ELb0EPtS7_N6thrust23THRUST_200600_302600_NS4plusItEEEE10hipError_tPvRmT2_T3_mT4_P12ihipStream_tbEUlT_E_NS1_11comp_targetILNS1_3genE4ELNS1_11target_archE910ELNS1_3gpuE8ELNS1_3repE0EEENS1_30default_config_static_selectorELNS0_4arch9wavefront6targetE1EEEvT1_
	.globl	_ZN7rocprim17ROCPRIM_400000_NS6detail17trampoline_kernelINS0_14default_configENS1_35adjacent_difference_config_selectorILb1EtEEZNS1_24adjacent_difference_implIS3_Lb1ELb0EPtS7_N6thrust23THRUST_200600_302600_NS4plusItEEEE10hipError_tPvRmT2_T3_mT4_P12ihipStream_tbEUlT_E_NS1_11comp_targetILNS1_3genE4ELNS1_11target_archE910ELNS1_3gpuE8ELNS1_3repE0EEENS1_30default_config_static_selectorELNS0_4arch9wavefront6targetE1EEEvT1_
	.p2align	8
	.type	_ZN7rocprim17ROCPRIM_400000_NS6detail17trampoline_kernelINS0_14default_configENS1_35adjacent_difference_config_selectorILb1EtEEZNS1_24adjacent_difference_implIS3_Lb1ELb0EPtS7_N6thrust23THRUST_200600_302600_NS4plusItEEEE10hipError_tPvRmT2_T3_mT4_P12ihipStream_tbEUlT_E_NS1_11comp_targetILNS1_3genE4ELNS1_11target_archE910ELNS1_3gpuE8ELNS1_3repE0EEENS1_30default_config_static_selectorELNS0_4arch9wavefront6targetE1EEEvT1_,@function
_ZN7rocprim17ROCPRIM_400000_NS6detail17trampoline_kernelINS0_14default_configENS1_35adjacent_difference_config_selectorILb1EtEEZNS1_24adjacent_difference_implIS3_Lb1ELb0EPtS7_N6thrust23THRUST_200600_302600_NS4plusItEEEE10hipError_tPvRmT2_T3_mT4_P12ihipStream_tbEUlT_E_NS1_11comp_targetILNS1_3genE4ELNS1_11target_archE910ELNS1_3gpuE8ELNS1_3repE0EEENS1_30default_config_static_selectorELNS0_4arch9wavefront6targetE1EEEvT1_: ; @_ZN7rocprim17ROCPRIM_400000_NS6detail17trampoline_kernelINS0_14default_configENS1_35adjacent_difference_config_selectorILb1EtEEZNS1_24adjacent_difference_implIS3_Lb1ELb0EPtS7_N6thrust23THRUST_200600_302600_NS4plusItEEEE10hipError_tPvRmT2_T3_mT4_P12ihipStream_tbEUlT_E_NS1_11comp_targetILNS1_3genE4ELNS1_11target_archE910ELNS1_3gpuE8ELNS1_3repE0EEENS1_30default_config_static_selectorELNS0_4arch9wavefront6targetE1EEEvT1_
; %bb.0:
	s_load_dwordx8 s[8:15], s[4:5], 0x0
	s_mov_b32 s0, 0xfc3c3710
	s_load_dwordx4 s[16:19], s[4:5], 0x28
	s_movk_i32 s2, 0x440
	s_mul_i32 s4, s6, 0x440
	s_waitcnt lgkmcnt(0)
	s_lshl_b64 s[10:11], s[10:11], 1
	s_add_u32 s26, s8, s10
	s_addc_u32 s27, s9, s11
	s_add_u32 s0, 0x10c, s0
	s_addc_u32 s3, 0, 0
	v_add_co_u32_e64 v1, s[0:1], s0, 2.0
	s_cmp_lg_u64 s[0:1], 0
	s_addc_u32 s0, s3, 0x3c3c3b
	v_readfirstlane_b32 s3, v1
	s_mul_hi_u32 s5, s3, 0xfffffbc0
	s_mul_i32 s1, s0, 0xfffffbc0
	s_sub_i32 s5, s5, s3
	s_add_i32 s5, s5, s1
	s_mul_i32 s9, s3, 0xfffffbc0
	s_mul_hi_u32 s1, s3, s5
	s_mul_i32 s8, s3, s5
	s_mul_hi_u32 s3, s3, s9
	s_add_u32 s3, s3, s8
	s_addc_u32 s1, 0, s1
	s_mul_hi_u32 s20, s0, s9
	s_mul_i32 s9, s0, s9
	s_add_u32 s3, s3, s9
	s_mul_hi_u32 s8, s0, s5
	s_addc_u32 s1, s1, s20
	s_addc_u32 s3, s8, 0
	s_mul_i32 s5, s0, s5
	s_add_u32 s1, s1, s5
	s_addc_u32 s3, 0, s3
	v_add_co_u32_e32 v1, vcc, s1, v1
	s_cmp_lg_u64 vcc, 0
	s_addc_u32 s0, s0, s3
	v_readfirstlane_b32 s5, v1
	s_mul_i32 s3, s14, s0
	s_mul_hi_u32 s8, s14, s5
	s_mul_hi_u32 s1, s14, s0
	s_add_u32 s3, s8, s3
	s_addc_u32 s1, 0, s1
	s_mul_hi_u32 s9, s15, s5
	s_mul_i32 s5, s15, s5
	s_add_u32 s3, s3, s5
	s_mul_hi_u32 s8, s15, s0
	s_addc_u32 s1, s1, s9
	s_addc_u32 s3, s8, 0
	s_mul_i32 s0, s15, s0
	s_add_u32 s0, s1, s0
	s_addc_u32 s1, 0, s3
	s_add_u32 s3, s0, 1
	s_addc_u32 s5, s1, 0
	s_add_u32 s8, s0, 2
	s_mul_i32 s20, s1, 0x440
	s_mul_hi_u32 s21, s0, 0x440
	s_addc_u32 s9, s1, 0
	s_add_i32 s21, s21, s20
	s_mul_i32 s20, s0, 0x440
	v_mov_b32_e32 v1, s20
	v_sub_co_u32_e32 v1, vcc, s14, v1
	s_cmp_lg_u64 vcc, 0
	s_subb_u32 s20, s15, s21
	v_subrev_co_u32_e32 v2, vcc, s2, v1
	s_cmp_lg_u64 vcc, 0
	s_subb_u32 s2, s20, 0
	v_readfirstlane_b32 s21, v2
	s_cmpk_gt_u32 s21, 0x43f
	s_cselect_b32 s21, -1, 0
	s_cmp_eq_u32 s2, 0
	s_cselect_b32 s2, s21, -1
	s_cmp_lg_u32 s2, 0
	s_cselect_b32 s2, s8, s3
	s_cselect_b32 s3, s9, s5
	v_readfirstlane_b32 s5, v1
	s_cmpk_gt_u32 s5, 0x43f
	s_cselect_b32 s5, -1, 0
	s_cmp_eq_u32 s20, 0
	s_cselect_b32 s5, s5, -1
	s_cmp_lg_u32 s5, 0
	s_cselect_b32 s3, s3, s1
	s_cselect_b32 s2, s2, s0
	s_mul_i32 s0, s3, 0x440
	s_mul_hi_u32 s1, s2, 0x440
	s_add_i32 s1, s1, s0
	s_mul_i32 s0, s2, 0x440
	s_sub_u32 s0, s14, s0
	s_subb_u32 s1, s15, s1
	s_cmp_lg_u64 s[0:1], 0
	s_cselect_b64 s[0:1], -1, 0
	v_cndmask_b32_e64 v1, 0, 1, s[0:1]
	v_readfirstlane_b32 s0, v1
	s_add_u32 s2, s2, s0
	s_addc_u32 s3, s3, 0
	s_add_u32 s8, s18, s6
	s_addc_u32 s9, s19, 0
	s_add_u32 s20, s2, -1
	s_addc_u32 s21, s3, -1
	v_pk_mov_b32 v[2:3], s[20:21], s[20:21] op_sel:[0,1]
	v_cmp_ge_u64_e64 s[0:1], s[8:9], v[2:3]
	s_mov_b32 s7, 0
	s_mov_b64 s[22:23], -1
	s_and_b64 vcc, exec, s[0:1]
	s_mul_i32 s15, s20, 0xfffffbc0
	s_cbranch_vccz .LBB359_36
; %bb.1:
	s_mov_b32 s5, s7
	s_add_i32 s28, s15, s14
	s_lshl_b64 s[22:23], s[4:5], 1
	s_add_u32 s22, s26, s22
	s_addc_u32 s23, s27, s23
	v_cmp_gt_u32_e32 vcc, s28, v0
                                        ; implicit-def: $vgpr1
	s_and_saveexec_b64 s[24:25], vcc
	s_cbranch_execz .LBB359_3
; %bb.2:
	v_lshlrev_b32_e32 v1, 1, v0
	global_load_ushort v1, v1, s[22:23]
.LBB359_3:
	s_or_b64 exec, exec, s[24:25]
	v_or_b32_e32 v2, 64, v0
	v_cmp_gt_u32_e32 vcc, s28, v2
                                        ; implicit-def: $vgpr2
	s_and_saveexec_b64 s[24:25], vcc
	s_cbranch_execz .LBB359_5
; %bb.4:
	v_lshlrev_b32_e32 v2, 1, v0
	global_load_ushort v2, v2, s[22:23] offset:128
.LBB359_5:
	s_or_b64 exec, exec, s[24:25]
	v_or_b32_e32 v3, 0x80, v0
	v_cmp_gt_u32_e32 vcc, s28, v3
                                        ; implicit-def: $vgpr3
	s_and_saveexec_b64 s[24:25], vcc
	s_cbranch_execz .LBB359_7
; %bb.6:
	v_lshlrev_b32_e32 v3, 1, v0
	global_load_ushort v3, v3, s[22:23] offset:256
.LBB359_7:
	s_or_b64 exec, exec, s[24:25]
	v_or_b32_e32 v4, 0xc0, v0
	v_cmp_gt_u32_e32 vcc, s28, v4
                                        ; implicit-def: $vgpr4
	s_and_saveexec_b64 s[24:25], vcc
	s_cbranch_execz .LBB359_9
; %bb.8:
	v_lshlrev_b32_e32 v4, 1, v0
	global_load_ushort v4, v4, s[22:23] offset:384
.LBB359_9:
	s_or_b64 exec, exec, s[24:25]
	v_or_b32_e32 v5, 0x100, v0
	v_cmp_gt_u32_e32 vcc, s28, v5
                                        ; implicit-def: $vgpr5
	s_and_saveexec_b64 s[24:25], vcc
	s_cbranch_execz .LBB359_11
; %bb.10:
	v_lshlrev_b32_e32 v5, 1, v0
	global_load_ushort v5, v5, s[22:23] offset:512
.LBB359_11:
	s_or_b64 exec, exec, s[24:25]
	v_or_b32_e32 v6, 0x140, v0
	v_cmp_gt_u32_e32 vcc, s28, v6
                                        ; implicit-def: $vgpr6
	s_and_saveexec_b64 s[24:25], vcc
	s_cbranch_execz .LBB359_13
; %bb.12:
	v_lshlrev_b32_e32 v6, 1, v0
	global_load_ushort v6, v6, s[22:23] offset:640
.LBB359_13:
	s_or_b64 exec, exec, s[24:25]
	v_or_b32_e32 v7, 0x180, v0
	v_cmp_gt_u32_e32 vcc, s28, v7
                                        ; implicit-def: $vgpr7
	s_and_saveexec_b64 s[24:25], vcc
	s_cbranch_execz .LBB359_15
; %bb.14:
	v_lshlrev_b32_e32 v7, 1, v0
	global_load_ushort v7, v7, s[22:23] offset:768
.LBB359_15:
	s_or_b64 exec, exec, s[24:25]
	v_or_b32_e32 v8, 0x1c0, v0
	v_cmp_gt_u32_e32 vcc, s28, v8
                                        ; implicit-def: $vgpr8
	s_and_saveexec_b64 s[24:25], vcc
	s_cbranch_execz .LBB359_17
; %bb.16:
	v_lshlrev_b32_e32 v8, 1, v0
	global_load_ushort v8, v8, s[22:23] offset:896
.LBB359_17:
	s_or_b64 exec, exec, s[24:25]
	v_or_b32_e32 v9, 0x200, v0
	v_cmp_gt_u32_e32 vcc, s28, v9
                                        ; implicit-def: $vgpr9
	s_and_saveexec_b64 s[24:25], vcc
	s_cbranch_execz .LBB359_19
; %bb.18:
	v_lshlrev_b32_e32 v9, 1, v0
	global_load_ushort v9, v9, s[22:23] offset:1024
.LBB359_19:
	s_or_b64 exec, exec, s[24:25]
	v_or_b32_e32 v10, 0x240, v0
	v_cmp_gt_u32_e32 vcc, s28, v10
                                        ; implicit-def: $vgpr10
	s_and_saveexec_b64 s[24:25], vcc
	s_cbranch_execz .LBB359_21
; %bb.20:
	v_lshlrev_b32_e32 v10, 1, v0
	global_load_ushort v10, v10, s[22:23] offset:1152
.LBB359_21:
	s_or_b64 exec, exec, s[24:25]
	v_or_b32_e32 v11, 0x280, v0
	v_cmp_gt_u32_e32 vcc, s28, v11
                                        ; implicit-def: $vgpr11
	s_and_saveexec_b64 s[24:25], vcc
	s_cbranch_execz .LBB359_23
; %bb.22:
	v_lshlrev_b32_e32 v11, 1, v0
	global_load_ushort v11, v11, s[22:23] offset:1280
.LBB359_23:
	s_or_b64 exec, exec, s[24:25]
	v_or_b32_e32 v12, 0x2c0, v0
	v_cmp_gt_u32_e32 vcc, s28, v12
                                        ; implicit-def: $vgpr12
	s_and_saveexec_b64 s[24:25], vcc
	s_cbranch_execz .LBB359_25
; %bb.24:
	v_lshlrev_b32_e32 v12, 1, v0
	global_load_ushort v12, v12, s[22:23] offset:1408
.LBB359_25:
	s_or_b64 exec, exec, s[24:25]
	v_or_b32_e32 v13, 0x300, v0
	v_cmp_gt_u32_e32 vcc, s28, v13
                                        ; implicit-def: $vgpr13
	s_and_saveexec_b64 s[24:25], vcc
	s_cbranch_execz .LBB359_27
; %bb.26:
	v_lshlrev_b32_e32 v13, 1, v0
	global_load_ushort v13, v13, s[22:23] offset:1536
.LBB359_27:
	s_or_b64 exec, exec, s[24:25]
	v_or_b32_e32 v14, 0x340, v0
	v_cmp_gt_u32_e32 vcc, s28, v14
                                        ; implicit-def: $vgpr14
	s_and_saveexec_b64 s[24:25], vcc
	s_cbranch_execz .LBB359_29
; %bb.28:
	v_lshlrev_b32_e32 v14, 1, v0
	global_load_ushort v14, v14, s[22:23] offset:1664
.LBB359_29:
	s_or_b64 exec, exec, s[24:25]
	v_or_b32_e32 v15, 0x380, v0
	v_cmp_gt_u32_e32 vcc, s28, v15
                                        ; implicit-def: $vgpr15
	s_and_saveexec_b64 s[24:25], vcc
	s_cbranch_execz .LBB359_31
; %bb.30:
	v_lshlrev_b32_e32 v15, 1, v0
	global_load_ushort v15, v15, s[22:23] offset:1792
.LBB359_31:
	s_or_b64 exec, exec, s[24:25]
	v_or_b32_e32 v16, 0x3c0, v0
	v_cmp_gt_u32_e32 vcc, s28, v16
                                        ; implicit-def: $vgpr16
	s_and_saveexec_b64 s[24:25], vcc
	s_cbranch_execz .LBB359_33
; %bb.32:
	v_lshlrev_b32_e32 v16, 1, v0
	global_load_ushort v16, v16, s[22:23] offset:1920
.LBB359_33:
	s_or_b64 exec, exec, s[24:25]
	v_or_b32_e32 v17, 0x400, v0
	v_cmp_gt_u32_e32 vcc, s28, v17
                                        ; implicit-def: $vgpr17
	s_and_saveexec_b64 s[24:25], vcc
	s_cbranch_execz .LBB359_35
; %bb.34:
	v_lshlrev_b32_e32 v17, 1, v0
	global_load_ushort v17, v17, s[22:23] offset:2048
.LBB359_35:
	s_or_b64 exec, exec, s[24:25]
	v_lshlrev_b32_e32 v18, 1, v0
	s_mov_b64 s[22:23], 0
	s_waitcnt vmcnt(0)
	ds_write_b16 v18, v1
	ds_write_b16 v18, v2 offset:128
	ds_write_b16 v18, v3 offset:256
	;; [unrolled: 1-line block ×16, first 2 shown]
	s_waitcnt lgkmcnt(0)
	; wave barrier
.LBB359_36:
	s_and_b64 vcc, exec, s[22:23]
	v_lshlrev_b32_e32 v1, 1, v0
	s_cbranch_vccz .LBB359_38
; %bb.37:
	s_mov_b32 s5, 0
	s_lshl_b64 s[22:23], s[4:5], 1
	s_add_u32 s22, s26, s22
	s_addc_u32 s23, s27, s23
	global_load_ushort v2, v1, s[22:23]
	global_load_ushort v3, v1, s[22:23] offset:128
	global_load_ushort v4, v1, s[22:23] offset:256
	;; [unrolled: 1-line block ×16, first 2 shown]
	s_waitcnt vmcnt(16)
	ds_write_b16 v1, v2
	s_waitcnt vmcnt(15)
	ds_write_b16 v1, v3 offset:128
	s_waitcnt vmcnt(14)
	ds_write_b16 v1, v4 offset:256
	;; [unrolled: 2-line block ×16, first 2 shown]
	s_waitcnt lgkmcnt(0)
	; wave barrier
.LBB359_38:
	v_mul_u32_u24_e32 v2, 17, v0
	v_lshlrev_b32_e32 v10, 1, v2
	s_waitcnt lgkmcnt(0)
	ds_read_b128 v[6:9], v10
	ds_read_b128 v[2:5], v10 offset:16
	ds_read_u16 v18, v10 offset:32
	s_cmp_eq_u64 s[8:9], 0
	s_waitcnt lgkmcnt(0)
	; wave barrier
	s_waitcnt lgkmcnt(0)
	s_cbranch_scc1 .LBB359_43
; %bb.39:
	s_lshl_b64 s[18:19], s[18:19], 1
	s_add_u32 s5, s16, s18
	s_addc_u32 s16, s17, s19
	s_lshl_b64 s[6:7], s[6:7], 1
	s_add_u32 s6, s5, s6
	s_addc_u32 s7, s16, s7
	v_mov_b32_e32 v10, 0
	global_load_ushort v20, v10, s[6:7] offset:-2
	s_cmp_eq_u64 s[8:9], s[20:21]
	s_cbranch_scc1 .LBB359_44
; %bb.40:
	v_cmp_ne_u32_e32 vcc, 0, v0
	s_waitcnt vmcnt(0)
	v_mov_b32_e32 v10, v20
	ds_write_b16 v1, v18
	s_waitcnt lgkmcnt(0)
	; wave barrier
	s_waitcnt lgkmcnt(0)
	s_and_saveexec_b64 s[6:7], vcc
	s_cbranch_execz .LBB359_42
; %bb.41:
	v_add_u32_e32 v10, -2, v1
	ds_read_u16 v10, v10
.LBB359_42:
	s_or_b64 exec, exec, s[6:7]
	s_waitcnt lgkmcnt(0)
	v_add_u16_e32 v19, v10, v6
	s_mov_b64 s[6:7], 0
	s_branch .LBB359_45
.LBB359_43:
                                        ; implicit-def: $vgpr10_vgpr11
                                        ; implicit-def: $vgpr12_vgpr13
                                        ; implicit-def: $vgpr14_vgpr15
                                        ; implicit-def: $vgpr16_vgpr17
                                        ; implicit-def: $vgpr19
	s_branch .LBB359_50
.LBB359_44:
	s_mov_b64 s[6:7], -1
                                        ; implicit-def: $vgpr19
.LBB359_45:
	s_and_b64 vcc, exec, s[6:7]
	v_pk_mov_b32 v[10:11], v[4:5], v[4:5] op_sel:[0,1]
	v_pk_mov_b32 v[12:13], v[2:3], v[2:3] op_sel:[0,1]
	;; [unrolled: 1-line block ×4, first 2 shown]
	s_cbranch_vccz .LBB359_49
; %bb.46:
	v_mul_u32_u24_e32 v19, 17, v0
	v_cmp_ne_u32_e32 vcc, 0, v0
	ds_write_b16 v1, v18
	s_waitcnt lgkmcnt(0)
	; wave barrier
	s_waitcnt lgkmcnt(0)
	s_and_saveexec_b64 s[6:7], vcc
	s_cbranch_execz .LBB359_48
; %bb.47:
	v_add_u32_e32 v10, -2, v1
	s_waitcnt vmcnt(0)
	ds_read_u16 v20, v10
.LBB359_48:
	s_or_b64 exec, exec, s[6:7]
	s_mul_i32 s5, s8, 0xfffffbc0
	s_add_i32 s5, s5, s14
	v_add_u32_e32 v10, 15, v19
	v_add_u32_e32 v11, 16, v19
	v_cmp_gt_u32_e32 vcc, s5, v10
	v_add_u32_e32 v12, 13, v19
	v_cndmask_b32_e32 v10, 0, v5, vcc
	v_lshrrev_b32_e32 v14, 16, v5
	v_cmp_gt_u32_e32 vcc, s5, v11
	v_add_u32_e32 v13, 14, v19
	v_cndmask_b32_e32 v11, 0, v14, vcc
	s_mov_b32 s6, 0x5040100
	v_cmp_gt_u32_e32 vcc, s5, v12
	v_perm_b32 v11, v11, v10, s6
	v_cndmask_b32_e32 v10, 0, v4, vcc
	v_lshrrev_b32_e32 v12, 16, v4
	v_cmp_gt_u32_e32 vcc, s5, v13
	v_cndmask_b32_e32 v12, 0, v12, vcc
	v_perm_b32 v10, v12, v10, s6
	v_add_u32_e32 v12, 11, v19
	v_add_u32_e32 v13, 12, v19
	v_cmp_gt_u32_e32 vcc, s5, v12
	v_add_u32_e32 v14, 9, v19
	v_cndmask_b32_e32 v12, 0, v3, vcc
	v_lshrrev_b32_e32 v16, 16, v3
	v_cmp_gt_u32_e32 vcc, s5, v13
	v_add_u32_e32 v15, 10, v19
	v_cndmask_b32_e32 v13, 0, v16, vcc
	v_cmp_gt_u32_e32 vcc, s5, v14
	v_perm_b32 v13, v13, v12, s6
	v_cndmask_b32_e32 v12, 0, v2, vcc
	v_lshrrev_b32_e32 v14, 16, v2
	v_cmp_gt_u32_e32 vcc, s5, v15
	v_cndmask_b32_e32 v14, 0, v14, vcc
	v_perm_b32 v12, v14, v12, s6
	v_add_u32_e32 v14, 7, v19
	v_add_u32_e32 v15, 8, v19
	v_cmp_gt_u32_e32 vcc, s5, v14
	v_add_u32_e32 v16, 5, v19
	v_cndmask_b32_e32 v14, 0, v9, vcc
	v_lshrrev_b32_e32 v21, 16, v9
	v_cmp_gt_u32_e32 vcc, s5, v15
	v_add_u32_e32 v17, 6, v19
	v_cndmask_b32_e32 v15, 0, v21, vcc
	;; [unrolled: 16-line block ×3, first 2 shown]
	v_cmp_gt_u32_e32 vcc, s5, v21
	v_perm_b32 v17, v17, v16, s6
	v_cndmask_b32_e32 v16, 0, v6, vcc
	v_lshrrev_b32_e32 v21, 16, v6
	v_cmp_gt_u32_e32 vcc, s5, v22
	v_cndmask_b32_e32 v21, 0, v21, vcc
	v_cmp_gt_u32_e32 vcc, s5, v19
	s_waitcnt vmcnt(0) lgkmcnt(0)
	v_cndmask_b32_e32 v19, 0, v20, vcc
	v_perm_b32 v16, v21, v16, s6
	v_add_u16_e32 v19, v19, v6
.LBB359_49:
	s_cbranch_execnz .LBB359_59
.LBB359_50:
	s_cmp_eq_u64 s[2:3], 1
	v_cmp_ne_u32_e32 vcc, 0, v0
	s_cbranch_scc1 .LBB359_54
; %bb.51:
	v_mov_b32_e32 v19, v6
	ds_write_b16 v1, v18
	s_waitcnt lgkmcnt(0)
	; wave barrier
	s_waitcnt lgkmcnt(0)
	s_and_saveexec_b64 s[2:3], vcc
	s_cbranch_execz .LBB359_53
; %bb.52:
	v_add_u32_e32 v10, -2, v1
	ds_read_u16 v10, v10
	s_waitcnt lgkmcnt(0)
	v_add_u16_e32 v19, v10, v6
.LBB359_53:
	s_or_b64 exec, exec, s[2:3]
	s_mov_b64 s[2:3], 0
	s_branch .LBB359_55
.LBB359_54:
	s_mov_b64 s[2:3], -1
                                        ; implicit-def: $vgpr19
.LBB359_55:
	s_andn2_b64 vcc, exec, s[2:3]
	v_pk_mov_b32 v[10:11], v[4:5], v[4:5] op_sel:[0,1]
	v_pk_mov_b32 v[12:13], v[2:3], v[2:3] op_sel:[0,1]
	;; [unrolled: 1-line block ×4, first 2 shown]
	s_cbranch_vccnz .LBB359_59
; %bb.56:
	v_mad_u32_u24 v10, v0, 17, 15
	v_mad_u32_u24 v11, v0, 17, 16
	v_cmp_gt_u32_e32 vcc, s14, v10
	v_mad_u32_u24 v12, v0, 17, 13
	v_cndmask_b32_e32 v10, 0, v5, vcc
	v_lshrrev_b32_e32 v14, 16, v5
	v_cmp_gt_u32_e32 vcc, s14, v11
	v_mad_u32_u24 v13, v0, 17, 14
	v_cndmask_b32_e32 v11, 0, v14, vcc
	s_mov_b32 s2, 0x5040100
	v_cmp_gt_u32_e32 vcc, s14, v12
	v_perm_b32 v11, v11, v10, s2
	v_cndmask_b32_e32 v10, 0, v4, vcc
	v_lshrrev_b32_e32 v12, 16, v4
	v_cmp_gt_u32_e32 vcc, s14, v13
	v_cndmask_b32_e32 v12, 0, v12, vcc
	v_perm_b32 v10, v12, v10, s2
	v_mad_u32_u24 v12, v0, 17, 11
	v_mad_u32_u24 v13, v0, 17, 12
	v_cmp_gt_u32_e32 vcc, s14, v12
	v_mad_u32_u24 v14, v0, 17, 9
	v_cndmask_b32_e32 v12, 0, v3, vcc
	v_lshrrev_b32_e32 v16, 16, v3
	v_cmp_gt_u32_e32 vcc, s14, v13
	v_mad_u32_u24 v15, v0, 17, 10
	v_cndmask_b32_e32 v13, 0, v16, vcc
	v_cmp_gt_u32_e32 vcc, s14, v14
	v_perm_b32 v13, v13, v12, s2
	v_cndmask_b32_e32 v12, 0, v2, vcc
	v_lshrrev_b32_e32 v14, 16, v2
	v_cmp_gt_u32_e32 vcc, s14, v15
	v_cndmask_b32_e32 v14, 0, v14, vcc
	v_perm_b32 v12, v14, v12, s2
	v_mad_u32_u24 v14, v0, 17, 7
	v_mad_u32_u24 v15, v0, 17, 8
	v_cmp_gt_u32_e32 vcc, s14, v14
	v_mad_u32_u24 v16, v0, 17, 5
	v_cndmask_b32_e32 v14, 0, v9, vcc
	s_waitcnt vmcnt(0)
	v_lshrrev_b32_e32 v20, 16, v9
	v_cmp_gt_u32_e32 vcc, s14, v15
	v_mad_u32_u24 v17, v0, 17, 6
	v_cndmask_b32_e32 v15, 0, v20, vcc
	v_cmp_gt_u32_e32 vcc, s14, v16
	v_perm_b32 v15, v15, v14, s2
	v_cndmask_b32_e32 v14, 0, v8, vcc
	v_lshrrev_b32_e32 v16, 16, v8
	v_cmp_gt_u32_e32 vcc, s14, v17
	v_cndmask_b32_e32 v16, 0, v16, vcc
	v_perm_b32 v14, v16, v14, s2
	v_mad_u32_u24 v16, v0, 17, 3
	v_mad_u32_u24 v17, v0, 17, 4
	v_cmp_gt_u32_e32 vcc, s14, v16
	v_mad_u32_u24 v20, v0, 17, 1
	v_cndmask_b32_e32 v16, 0, v7, vcc
	v_lshrrev_b32_e32 v22, 16, v7
	v_cmp_gt_u32_e32 vcc, s14, v17
	v_mad_u32_u24 v21, v0, 17, 2
	v_cndmask_b32_e32 v17, 0, v22, vcc
	v_cmp_gt_u32_e32 vcc, s14, v20
	v_perm_b32 v17, v17, v16, s2
	v_cndmask_b32_e32 v16, 0, v6, vcc
	v_lshrrev_b32_e32 v20, 16, v6
	v_cmp_gt_u32_e32 vcc, s14, v21
	v_mul_u32_u24_e32 v19, 17, v0
	v_cndmask_b32_e32 v20, 0, v20, vcc
	v_perm_b32 v16, v20, v16, s2
	v_cmp_ne_u32_e32 vcc, 0, v0
	v_cmp_gt_u32_e64 s[2:3], s14, v19
	s_and_b64 s[6:7], vcc, s[2:3]
	v_mov_b32_e32 v19, v6
	ds_write_b16 v1, v18
	s_waitcnt lgkmcnt(0)
	; wave barrier
	s_waitcnt lgkmcnt(0)
	s_and_saveexec_b64 s[2:3], s[6:7]
	s_cbranch_execz .LBB359_58
; %bb.57:
	v_add_u32_e32 v19, -2, v1
	ds_read_u16 v19, v19
	s_waitcnt lgkmcnt(0)
	v_add_u16_e32 v19, v19, v6
.LBB359_58:
	s_or_b64 exec, exec, s[2:3]
.LBB359_59:
	s_add_u32 s6, s12, s10
	v_alignbit_b32 v6, v7, v6, 16
	v_alignbit_b32 v7, v8, v7, 16
	;; [unrolled: 1-line block ×8, first 2 shown]
	s_addc_u32 s7, s13, s11
	v_pk_add_u16 v7, v17, v7
	v_pk_add_u16 v6, v16, v6
	;; [unrolled: 1-line block ×8, first 2 shown]
	s_and_b64 vcc, exec, s[0:1]
	v_mul_u32_u24_e32 v12, 34, v0
	v_lshlrev_b32_e32 v13, 5, v0
	s_waitcnt lgkmcnt(0)
	; wave barrier
	s_cbranch_vccz .LBB359_93
; %bb.60:
	v_sub_u32_e32 v10, v12, v13
	ds_write_b16 v12, v19
	ds_write_b128 v12, v[6:9] offset:2
	ds_write_b128 v12, v[2:5] offset:18
	s_waitcnt lgkmcnt(0)
	; wave barrier
	s_waitcnt lgkmcnt(0)
	ds_read_u16 v30, v10 offset:128
	ds_read_u16 v29, v10 offset:256
	;; [unrolled: 1-line block ×10, first 2 shown]
	s_waitcnt vmcnt(0)
	ds_read_u16 v20, v10 offset:1408
	ds_read_u16 v18, v10 offset:1536
	;; [unrolled: 1-line block ×6, first 2 shown]
	s_mov_b32 s5, 0
	s_add_i32 s15, s15, s14
	s_lshl_b64 s[0:1], s[4:5], 1
	s_add_u32 s0, s6, s0
	s_addc_u32 s1, s7, s1
	v_mov_b32_e32 v11, s1
	v_add_co_u32_e32 v10, vcc, s0, v1
	v_addc_co_u32_e32 v11, vcc, 0, v11, vcc
	v_cmp_gt_u32_e32 vcc, s15, v0
	s_and_saveexec_b64 s[0:1], vcc
	s_cbranch_execz .LBB359_62
; %bb.61:
	v_sub_u32_e32 v31, 0, v13
	v_add_u32_e32 v31, v12, v31
	ds_read_u16 v31, v31
	s_waitcnt lgkmcnt(0)
	global_store_short v[10:11], v31, off
.LBB359_62:
	s_or_b64 exec, exec, s[0:1]
	v_or_b32_e32 v31, 64, v0
	v_cmp_gt_u32_e32 vcc, s15, v31
	s_and_saveexec_b64 s[0:1], vcc
	s_cbranch_execz .LBB359_64
; %bb.63:
	s_waitcnt lgkmcnt(14)
	global_store_short v[10:11], v30, off offset:128
.LBB359_64:
	s_or_b64 exec, exec, s[0:1]
	s_waitcnt lgkmcnt(14)
	v_or_b32_e32 v30, 0x80, v0
	v_cmp_gt_u32_e32 vcc, s15, v30
	s_and_saveexec_b64 s[0:1], vcc
	s_cbranch_execz .LBB359_66
; %bb.65:
	global_store_short v[10:11], v29, off offset:256
.LBB359_66:
	s_or_b64 exec, exec, s[0:1]
	v_or_b32_e32 v29, 0xc0, v0
	v_cmp_gt_u32_e32 vcc, s15, v29
	s_and_saveexec_b64 s[0:1], vcc
	s_cbranch_execz .LBB359_68
; %bb.67:
	s_waitcnt lgkmcnt(13)
	global_store_short v[10:11], v28, off offset:384
.LBB359_68:
	s_or_b64 exec, exec, s[0:1]
	s_waitcnt lgkmcnt(13)
	v_or_b32_e32 v28, 0x100, v0
	v_cmp_gt_u32_e32 vcc, s15, v28
	s_and_saveexec_b64 s[0:1], vcc
	s_cbranch_execz .LBB359_70
; %bb.69:
	s_waitcnt lgkmcnt(12)
	global_store_short v[10:11], v27, off offset:512
.LBB359_70:
	s_or_b64 exec, exec, s[0:1]
	s_waitcnt lgkmcnt(12)
	;; [unrolled: 10-line block ×12, first 2 shown]
	v_or_b32_e32 v16, 0x3c0, v0
	v_cmp_gt_u32_e32 vcc, s15, v16
	s_and_saveexec_b64 s[0:1], vcc
	s_cbranch_execz .LBB359_92
; %bb.91:
	s_waitcnt lgkmcnt(1)
	global_store_short v[10:11], v15, off offset:1920
.LBB359_92:
	s_or_b64 exec, exec, s[0:1]
	v_or_b32_e32 v0, 0x400, v0
	v_cmp_gt_u32_e64 s[0:1], s15, v0
	s_branch .LBB359_95
.LBB359_93:
	s_mov_b64 s[0:1], 0
                                        ; implicit-def: $vgpr14
                                        ; implicit-def: $vgpr10_vgpr11
	s_cbranch_execz .LBB359_95
; %bb.94:
	s_mov_b32 s5, 0
	s_lshl_b64 s[2:3], s[4:5], 1
	v_sub_u32_e32 v0, v12, v13
	s_add_u32 s2, s6, s2
	ds_write_b16 v12, v19
	ds_write_b128 v12, v[6:9] offset:2
	ds_write_b128 v12, v[2:5] offset:18
	s_waitcnt lgkmcnt(0)
	; wave barrier
	s_waitcnt lgkmcnt(0)
	ds_read_u16 v2, v0
	ds_read_u16 v3, v0 offset:128
	ds_read_u16 v4, v0 offset:256
	;; [unrolled: 1-line block ×14, first 2 shown]
	s_waitcnt vmcnt(0)
	ds_read_u16 v20, v0 offset:1920
	ds_read_u16 v14, v0 offset:2048
	s_addc_u32 s3, s7, s3
	v_mov_b32_e32 v0, s3
	v_add_co_u32_e32 v10, vcc, s2, v1
	v_addc_co_u32_e32 v11, vcc, 0, v0, vcc
	s_or_b64 s[0:1], s[0:1], exec
	s_waitcnt lgkmcnt(14)
	global_store_short v1, v2, s[2:3]
	global_store_short v1, v3, s[2:3] offset:128
	global_store_short v1, v4, s[2:3] offset:256
	s_waitcnt lgkmcnt(13)
	global_store_short v1, v5, s[2:3] offset:384
	s_waitcnt lgkmcnt(12)
	;; [unrolled: 2-line block ×13, first 2 shown]
	global_store_short v1, v20, s[2:3] offset:1920
.LBB359_95:
	s_and_saveexec_b64 s[2:3], s[0:1]
	s_cbranch_execnz .LBB359_97
; %bb.96:
	s_endpgm
.LBB359_97:
	s_waitcnt lgkmcnt(0)
	global_store_short v[10:11], v14, off offset:2048
	s_endpgm
	.section	.rodata,"a",@progbits
	.p2align	6, 0x0
	.amdhsa_kernel _ZN7rocprim17ROCPRIM_400000_NS6detail17trampoline_kernelINS0_14default_configENS1_35adjacent_difference_config_selectorILb1EtEEZNS1_24adjacent_difference_implIS3_Lb1ELb0EPtS7_N6thrust23THRUST_200600_302600_NS4plusItEEEE10hipError_tPvRmT2_T3_mT4_P12ihipStream_tbEUlT_E_NS1_11comp_targetILNS1_3genE4ELNS1_11target_archE910ELNS1_3gpuE8ELNS1_3repE0EEENS1_30default_config_static_selectorELNS0_4arch9wavefront6targetE1EEEvT1_
		.amdhsa_group_segment_fixed_size 2176
		.amdhsa_private_segment_fixed_size 0
		.amdhsa_kernarg_size 56
		.amdhsa_user_sgpr_count 6
		.amdhsa_user_sgpr_private_segment_buffer 1
		.amdhsa_user_sgpr_dispatch_ptr 0
		.amdhsa_user_sgpr_queue_ptr 0
		.amdhsa_user_sgpr_kernarg_segment_ptr 1
		.amdhsa_user_sgpr_dispatch_id 0
		.amdhsa_user_sgpr_flat_scratch_init 0
		.amdhsa_user_sgpr_kernarg_preload_length 0
		.amdhsa_user_sgpr_kernarg_preload_offset 0
		.amdhsa_user_sgpr_private_segment_size 0
		.amdhsa_uses_dynamic_stack 0
		.amdhsa_system_sgpr_private_segment_wavefront_offset 0
		.amdhsa_system_sgpr_workgroup_id_x 1
		.amdhsa_system_sgpr_workgroup_id_y 0
		.amdhsa_system_sgpr_workgroup_id_z 0
		.amdhsa_system_sgpr_workgroup_info 0
		.amdhsa_system_vgpr_workitem_id 0
		.amdhsa_next_free_vgpr 32
		.amdhsa_next_free_sgpr 29
		.amdhsa_accum_offset 32
		.amdhsa_reserve_vcc 1
		.amdhsa_reserve_flat_scratch 0
		.amdhsa_float_round_mode_32 0
		.amdhsa_float_round_mode_16_64 0
		.amdhsa_float_denorm_mode_32 3
		.amdhsa_float_denorm_mode_16_64 3
		.amdhsa_dx10_clamp 1
		.amdhsa_ieee_mode 1
		.amdhsa_fp16_overflow 0
		.amdhsa_tg_split 0
		.amdhsa_exception_fp_ieee_invalid_op 0
		.amdhsa_exception_fp_denorm_src 0
		.amdhsa_exception_fp_ieee_div_zero 0
		.amdhsa_exception_fp_ieee_overflow 0
		.amdhsa_exception_fp_ieee_underflow 0
		.amdhsa_exception_fp_ieee_inexact 0
		.amdhsa_exception_int_div_zero 0
	.end_amdhsa_kernel
	.section	.text._ZN7rocprim17ROCPRIM_400000_NS6detail17trampoline_kernelINS0_14default_configENS1_35adjacent_difference_config_selectorILb1EtEEZNS1_24adjacent_difference_implIS3_Lb1ELb0EPtS7_N6thrust23THRUST_200600_302600_NS4plusItEEEE10hipError_tPvRmT2_T3_mT4_P12ihipStream_tbEUlT_E_NS1_11comp_targetILNS1_3genE4ELNS1_11target_archE910ELNS1_3gpuE8ELNS1_3repE0EEENS1_30default_config_static_selectorELNS0_4arch9wavefront6targetE1EEEvT1_,"axG",@progbits,_ZN7rocprim17ROCPRIM_400000_NS6detail17trampoline_kernelINS0_14default_configENS1_35adjacent_difference_config_selectorILb1EtEEZNS1_24adjacent_difference_implIS3_Lb1ELb0EPtS7_N6thrust23THRUST_200600_302600_NS4plusItEEEE10hipError_tPvRmT2_T3_mT4_P12ihipStream_tbEUlT_E_NS1_11comp_targetILNS1_3genE4ELNS1_11target_archE910ELNS1_3gpuE8ELNS1_3repE0EEENS1_30default_config_static_selectorELNS0_4arch9wavefront6targetE1EEEvT1_,comdat
.Lfunc_end359:
	.size	_ZN7rocprim17ROCPRIM_400000_NS6detail17trampoline_kernelINS0_14default_configENS1_35adjacent_difference_config_selectorILb1EtEEZNS1_24adjacent_difference_implIS3_Lb1ELb0EPtS7_N6thrust23THRUST_200600_302600_NS4plusItEEEE10hipError_tPvRmT2_T3_mT4_P12ihipStream_tbEUlT_E_NS1_11comp_targetILNS1_3genE4ELNS1_11target_archE910ELNS1_3gpuE8ELNS1_3repE0EEENS1_30default_config_static_selectorELNS0_4arch9wavefront6targetE1EEEvT1_, .Lfunc_end359-_ZN7rocprim17ROCPRIM_400000_NS6detail17trampoline_kernelINS0_14default_configENS1_35adjacent_difference_config_selectorILb1EtEEZNS1_24adjacent_difference_implIS3_Lb1ELb0EPtS7_N6thrust23THRUST_200600_302600_NS4plusItEEEE10hipError_tPvRmT2_T3_mT4_P12ihipStream_tbEUlT_E_NS1_11comp_targetILNS1_3genE4ELNS1_11target_archE910ELNS1_3gpuE8ELNS1_3repE0EEENS1_30default_config_static_selectorELNS0_4arch9wavefront6targetE1EEEvT1_
                                        ; -- End function
	.section	.AMDGPU.csdata,"",@progbits
; Kernel info:
; codeLenInByte = 4224
; NumSgprs: 33
; NumVgprs: 32
; NumAgprs: 0
; TotalNumVgprs: 32
; ScratchSize: 0
; MemoryBound: 0
; FloatMode: 240
; IeeeMode: 1
; LDSByteSize: 2176 bytes/workgroup (compile time only)
; SGPRBlocks: 4
; VGPRBlocks: 3
; NumSGPRsForWavesPerEU: 33
; NumVGPRsForWavesPerEU: 32
; AccumOffset: 32
; Occupancy: 8
; WaveLimiterHint : 1
; COMPUTE_PGM_RSRC2:SCRATCH_EN: 0
; COMPUTE_PGM_RSRC2:USER_SGPR: 6
; COMPUTE_PGM_RSRC2:TRAP_HANDLER: 0
; COMPUTE_PGM_RSRC2:TGID_X_EN: 1
; COMPUTE_PGM_RSRC2:TGID_Y_EN: 0
; COMPUTE_PGM_RSRC2:TGID_Z_EN: 0
; COMPUTE_PGM_RSRC2:TIDIG_COMP_CNT: 0
; COMPUTE_PGM_RSRC3_GFX90A:ACCUM_OFFSET: 7
; COMPUTE_PGM_RSRC3_GFX90A:TG_SPLIT: 0
	.section	.text._ZN7rocprim17ROCPRIM_400000_NS6detail17trampoline_kernelINS0_14default_configENS1_35adjacent_difference_config_selectorILb1EtEEZNS1_24adjacent_difference_implIS3_Lb1ELb0EPtS7_N6thrust23THRUST_200600_302600_NS4plusItEEEE10hipError_tPvRmT2_T3_mT4_P12ihipStream_tbEUlT_E_NS1_11comp_targetILNS1_3genE3ELNS1_11target_archE908ELNS1_3gpuE7ELNS1_3repE0EEENS1_30default_config_static_selectorELNS0_4arch9wavefront6targetE1EEEvT1_,"axG",@progbits,_ZN7rocprim17ROCPRIM_400000_NS6detail17trampoline_kernelINS0_14default_configENS1_35adjacent_difference_config_selectorILb1EtEEZNS1_24adjacent_difference_implIS3_Lb1ELb0EPtS7_N6thrust23THRUST_200600_302600_NS4plusItEEEE10hipError_tPvRmT2_T3_mT4_P12ihipStream_tbEUlT_E_NS1_11comp_targetILNS1_3genE3ELNS1_11target_archE908ELNS1_3gpuE7ELNS1_3repE0EEENS1_30default_config_static_selectorELNS0_4arch9wavefront6targetE1EEEvT1_,comdat
	.protected	_ZN7rocprim17ROCPRIM_400000_NS6detail17trampoline_kernelINS0_14default_configENS1_35adjacent_difference_config_selectorILb1EtEEZNS1_24adjacent_difference_implIS3_Lb1ELb0EPtS7_N6thrust23THRUST_200600_302600_NS4plusItEEEE10hipError_tPvRmT2_T3_mT4_P12ihipStream_tbEUlT_E_NS1_11comp_targetILNS1_3genE3ELNS1_11target_archE908ELNS1_3gpuE7ELNS1_3repE0EEENS1_30default_config_static_selectorELNS0_4arch9wavefront6targetE1EEEvT1_ ; -- Begin function _ZN7rocprim17ROCPRIM_400000_NS6detail17trampoline_kernelINS0_14default_configENS1_35adjacent_difference_config_selectorILb1EtEEZNS1_24adjacent_difference_implIS3_Lb1ELb0EPtS7_N6thrust23THRUST_200600_302600_NS4plusItEEEE10hipError_tPvRmT2_T3_mT4_P12ihipStream_tbEUlT_E_NS1_11comp_targetILNS1_3genE3ELNS1_11target_archE908ELNS1_3gpuE7ELNS1_3repE0EEENS1_30default_config_static_selectorELNS0_4arch9wavefront6targetE1EEEvT1_
	.globl	_ZN7rocprim17ROCPRIM_400000_NS6detail17trampoline_kernelINS0_14default_configENS1_35adjacent_difference_config_selectorILb1EtEEZNS1_24adjacent_difference_implIS3_Lb1ELb0EPtS7_N6thrust23THRUST_200600_302600_NS4plusItEEEE10hipError_tPvRmT2_T3_mT4_P12ihipStream_tbEUlT_E_NS1_11comp_targetILNS1_3genE3ELNS1_11target_archE908ELNS1_3gpuE7ELNS1_3repE0EEENS1_30default_config_static_selectorELNS0_4arch9wavefront6targetE1EEEvT1_
	.p2align	8
	.type	_ZN7rocprim17ROCPRIM_400000_NS6detail17trampoline_kernelINS0_14default_configENS1_35adjacent_difference_config_selectorILb1EtEEZNS1_24adjacent_difference_implIS3_Lb1ELb0EPtS7_N6thrust23THRUST_200600_302600_NS4plusItEEEE10hipError_tPvRmT2_T3_mT4_P12ihipStream_tbEUlT_E_NS1_11comp_targetILNS1_3genE3ELNS1_11target_archE908ELNS1_3gpuE7ELNS1_3repE0EEENS1_30default_config_static_selectorELNS0_4arch9wavefront6targetE1EEEvT1_,@function
_ZN7rocprim17ROCPRIM_400000_NS6detail17trampoline_kernelINS0_14default_configENS1_35adjacent_difference_config_selectorILb1EtEEZNS1_24adjacent_difference_implIS3_Lb1ELb0EPtS7_N6thrust23THRUST_200600_302600_NS4plusItEEEE10hipError_tPvRmT2_T3_mT4_P12ihipStream_tbEUlT_E_NS1_11comp_targetILNS1_3genE3ELNS1_11target_archE908ELNS1_3gpuE7ELNS1_3repE0EEENS1_30default_config_static_selectorELNS0_4arch9wavefront6targetE1EEEvT1_: ; @_ZN7rocprim17ROCPRIM_400000_NS6detail17trampoline_kernelINS0_14default_configENS1_35adjacent_difference_config_selectorILb1EtEEZNS1_24adjacent_difference_implIS3_Lb1ELb0EPtS7_N6thrust23THRUST_200600_302600_NS4plusItEEEE10hipError_tPvRmT2_T3_mT4_P12ihipStream_tbEUlT_E_NS1_11comp_targetILNS1_3genE3ELNS1_11target_archE908ELNS1_3gpuE7ELNS1_3repE0EEENS1_30default_config_static_selectorELNS0_4arch9wavefront6targetE1EEEvT1_
; %bb.0:
	.section	.rodata,"a",@progbits
	.p2align	6, 0x0
	.amdhsa_kernel _ZN7rocprim17ROCPRIM_400000_NS6detail17trampoline_kernelINS0_14default_configENS1_35adjacent_difference_config_selectorILb1EtEEZNS1_24adjacent_difference_implIS3_Lb1ELb0EPtS7_N6thrust23THRUST_200600_302600_NS4plusItEEEE10hipError_tPvRmT2_T3_mT4_P12ihipStream_tbEUlT_E_NS1_11comp_targetILNS1_3genE3ELNS1_11target_archE908ELNS1_3gpuE7ELNS1_3repE0EEENS1_30default_config_static_selectorELNS0_4arch9wavefront6targetE1EEEvT1_
		.amdhsa_group_segment_fixed_size 0
		.amdhsa_private_segment_fixed_size 0
		.amdhsa_kernarg_size 56
		.amdhsa_user_sgpr_count 6
		.amdhsa_user_sgpr_private_segment_buffer 1
		.amdhsa_user_sgpr_dispatch_ptr 0
		.amdhsa_user_sgpr_queue_ptr 0
		.amdhsa_user_sgpr_kernarg_segment_ptr 1
		.amdhsa_user_sgpr_dispatch_id 0
		.amdhsa_user_sgpr_flat_scratch_init 0
		.amdhsa_user_sgpr_kernarg_preload_length 0
		.amdhsa_user_sgpr_kernarg_preload_offset 0
		.amdhsa_user_sgpr_private_segment_size 0
		.amdhsa_uses_dynamic_stack 0
		.amdhsa_system_sgpr_private_segment_wavefront_offset 0
		.amdhsa_system_sgpr_workgroup_id_x 1
		.amdhsa_system_sgpr_workgroup_id_y 0
		.amdhsa_system_sgpr_workgroup_id_z 0
		.amdhsa_system_sgpr_workgroup_info 0
		.amdhsa_system_vgpr_workitem_id 0
		.amdhsa_next_free_vgpr 1
		.amdhsa_next_free_sgpr 0
		.amdhsa_accum_offset 4
		.amdhsa_reserve_vcc 0
		.amdhsa_reserve_flat_scratch 0
		.amdhsa_float_round_mode_32 0
		.amdhsa_float_round_mode_16_64 0
		.amdhsa_float_denorm_mode_32 3
		.amdhsa_float_denorm_mode_16_64 3
		.amdhsa_dx10_clamp 1
		.amdhsa_ieee_mode 1
		.amdhsa_fp16_overflow 0
		.amdhsa_tg_split 0
		.amdhsa_exception_fp_ieee_invalid_op 0
		.amdhsa_exception_fp_denorm_src 0
		.amdhsa_exception_fp_ieee_div_zero 0
		.amdhsa_exception_fp_ieee_overflow 0
		.amdhsa_exception_fp_ieee_underflow 0
		.amdhsa_exception_fp_ieee_inexact 0
		.amdhsa_exception_int_div_zero 0
	.end_amdhsa_kernel
	.section	.text._ZN7rocprim17ROCPRIM_400000_NS6detail17trampoline_kernelINS0_14default_configENS1_35adjacent_difference_config_selectorILb1EtEEZNS1_24adjacent_difference_implIS3_Lb1ELb0EPtS7_N6thrust23THRUST_200600_302600_NS4plusItEEEE10hipError_tPvRmT2_T3_mT4_P12ihipStream_tbEUlT_E_NS1_11comp_targetILNS1_3genE3ELNS1_11target_archE908ELNS1_3gpuE7ELNS1_3repE0EEENS1_30default_config_static_selectorELNS0_4arch9wavefront6targetE1EEEvT1_,"axG",@progbits,_ZN7rocprim17ROCPRIM_400000_NS6detail17trampoline_kernelINS0_14default_configENS1_35adjacent_difference_config_selectorILb1EtEEZNS1_24adjacent_difference_implIS3_Lb1ELb0EPtS7_N6thrust23THRUST_200600_302600_NS4plusItEEEE10hipError_tPvRmT2_T3_mT4_P12ihipStream_tbEUlT_E_NS1_11comp_targetILNS1_3genE3ELNS1_11target_archE908ELNS1_3gpuE7ELNS1_3repE0EEENS1_30default_config_static_selectorELNS0_4arch9wavefront6targetE1EEEvT1_,comdat
.Lfunc_end360:
	.size	_ZN7rocprim17ROCPRIM_400000_NS6detail17trampoline_kernelINS0_14default_configENS1_35adjacent_difference_config_selectorILb1EtEEZNS1_24adjacent_difference_implIS3_Lb1ELb0EPtS7_N6thrust23THRUST_200600_302600_NS4plusItEEEE10hipError_tPvRmT2_T3_mT4_P12ihipStream_tbEUlT_E_NS1_11comp_targetILNS1_3genE3ELNS1_11target_archE908ELNS1_3gpuE7ELNS1_3repE0EEENS1_30default_config_static_selectorELNS0_4arch9wavefront6targetE1EEEvT1_, .Lfunc_end360-_ZN7rocprim17ROCPRIM_400000_NS6detail17trampoline_kernelINS0_14default_configENS1_35adjacent_difference_config_selectorILb1EtEEZNS1_24adjacent_difference_implIS3_Lb1ELb0EPtS7_N6thrust23THRUST_200600_302600_NS4plusItEEEE10hipError_tPvRmT2_T3_mT4_P12ihipStream_tbEUlT_E_NS1_11comp_targetILNS1_3genE3ELNS1_11target_archE908ELNS1_3gpuE7ELNS1_3repE0EEENS1_30default_config_static_selectorELNS0_4arch9wavefront6targetE1EEEvT1_
                                        ; -- End function
	.section	.AMDGPU.csdata,"",@progbits
; Kernel info:
; codeLenInByte = 0
; NumSgprs: 4
; NumVgprs: 0
; NumAgprs: 0
; TotalNumVgprs: 0
; ScratchSize: 0
; MemoryBound: 0
; FloatMode: 240
; IeeeMode: 1
; LDSByteSize: 0 bytes/workgroup (compile time only)
; SGPRBlocks: 0
; VGPRBlocks: 0
; NumSGPRsForWavesPerEU: 4
; NumVGPRsForWavesPerEU: 1
; AccumOffset: 4
; Occupancy: 8
; WaveLimiterHint : 0
; COMPUTE_PGM_RSRC2:SCRATCH_EN: 0
; COMPUTE_PGM_RSRC2:USER_SGPR: 6
; COMPUTE_PGM_RSRC2:TRAP_HANDLER: 0
; COMPUTE_PGM_RSRC2:TGID_X_EN: 1
; COMPUTE_PGM_RSRC2:TGID_Y_EN: 0
; COMPUTE_PGM_RSRC2:TGID_Z_EN: 0
; COMPUTE_PGM_RSRC2:TIDIG_COMP_CNT: 0
; COMPUTE_PGM_RSRC3_GFX90A:ACCUM_OFFSET: 0
; COMPUTE_PGM_RSRC3_GFX90A:TG_SPLIT: 0
	.section	.text._ZN7rocprim17ROCPRIM_400000_NS6detail17trampoline_kernelINS0_14default_configENS1_35adjacent_difference_config_selectorILb1EtEEZNS1_24adjacent_difference_implIS3_Lb1ELb0EPtS7_N6thrust23THRUST_200600_302600_NS4plusItEEEE10hipError_tPvRmT2_T3_mT4_P12ihipStream_tbEUlT_E_NS1_11comp_targetILNS1_3genE2ELNS1_11target_archE906ELNS1_3gpuE6ELNS1_3repE0EEENS1_30default_config_static_selectorELNS0_4arch9wavefront6targetE1EEEvT1_,"axG",@progbits,_ZN7rocprim17ROCPRIM_400000_NS6detail17trampoline_kernelINS0_14default_configENS1_35adjacent_difference_config_selectorILb1EtEEZNS1_24adjacent_difference_implIS3_Lb1ELb0EPtS7_N6thrust23THRUST_200600_302600_NS4plusItEEEE10hipError_tPvRmT2_T3_mT4_P12ihipStream_tbEUlT_E_NS1_11comp_targetILNS1_3genE2ELNS1_11target_archE906ELNS1_3gpuE6ELNS1_3repE0EEENS1_30default_config_static_selectorELNS0_4arch9wavefront6targetE1EEEvT1_,comdat
	.protected	_ZN7rocprim17ROCPRIM_400000_NS6detail17trampoline_kernelINS0_14default_configENS1_35adjacent_difference_config_selectorILb1EtEEZNS1_24adjacent_difference_implIS3_Lb1ELb0EPtS7_N6thrust23THRUST_200600_302600_NS4plusItEEEE10hipError_tPvRmT2_T3_mT4_P12ihipStream_tbEUlT_E_NS1_11comp_targetILNS1_3genE2ELNS1_11target_archE906ELNS1_3gpuE6ELNS1_3repE0EEENS1_30default_config_static_selectorELNS0_4arch9wavefront6targetE1EEEvT1_ ; -- Begin function _ZN7rocprim17ROCPRIM_400000_NS6detail17trampoline_kernelINS0_14default_configENS1_35adjacent_difference_config_selectorILb1EtEEZNS1_24adjacent_difference_implIS3_Lb1ELb0EPtS7_N6thrust23THRUST_200600_302600_NS4plusItEEEE10hipError_tPvRmT2_T3_mT4_P12ihipStream_tbEUlT_E_NS1_11comp_targetILNS1_3genE2ELNS1_11target_archE906ELNS1_3gpuE6ELNS1_3repE0EEENS1_30default_config_static_selectorELNS0_4arch9wavefront6targetE1EEEvT1_
	.globl	_ZN7rocprim17ROCPRIM_400000_NS6detail17trampoline_kernelINS0_14default_configENS1_35adjacent_difference_config_selectorILb1EtEEZNS1_24adjacent_difference_implIS3_Lb1ELb0EPtS7_N6thrust23THRUST_200600_302600_NS4plusItEEEE10hipError_tPvRmT2_T3_mT4_P12ihipStream_tbEUlT_E_NS1_11comp_targetILNS1_3genE2ELNS1_11target_archE906ELNS1_3gpuE6ELNS1_3repE0EEENS1_30default_config_static_selectorELNS0_4arch9wavefront6targetE1EEEvT1_
	.p2align	8
	.type	_ZN7rocprim17ROCPRIM_400000_NS6detail17trampoline_kernelINS0_14default_configENS1_35adjacent_difference_config_selectorILb1EtEEZNS1_24adjacent_difference_implIS3_Lb1ELb0EPtS7_N6thrust23THRUST_200600_302600_NS4plusItEEEE10hipError_tPvRmT2_T3_mT4_P12ihipStream_tbEUlT_E_NS1_11comp_targetILNS1_3genE2ELNS1_11target_archE906ELNS1_3gpuE6ELNS1_3repE0EEENS1_30default_config_static_selectorELNS0_4arch9wavefront6targetE1EEEvT1_,@function
_ZN7rocprim17ROCPRIM_400000_NS6detail17trampoline_kernelINS0_14default_configENS1_35adjacent_difference_config_selectorILb1EtEEZNS1_24adjacent_difference_implIS3_Lb1ELb0EPtS7_N6thrust23THRUST_200600_302600_NS4plusItEEEE10hipError_tPvRmT2_T3_mT4_P12ihipStream_tbEUlT_E_NS1_11comp_targetILNS1_3genE2ELNS1_11target_archE906ELNS1_3gpuE6ELNS1_3repE0EEENS1_30default_config_static_selectorELNS0_4arch9wavefront6targetE1EEEvT1_: ; @_ZN7rocprim17ROCPRIM_400000_NS6detail17trampoline_kernelINS0_14default_configENS1_35adjacent_difference_config_selectorILb1EtEEZNS1_24adjacent_difference_implIS3_Lb1ELb0EPtS7_N6thrust23THRUST_200600_302600_NS4plusItEEEE10hipError_tPvRmT2_T3_mT4_P12ihipStream_tbEUlT_E_NS1_11comp_targetILNS1_3genE2ELNS1_11target_archE906ELNS1_3gpuE6ELNS1_3repE0EEENS1_30default_config_static_selectorELNS0_4arch9wavefront6targetE1EEEvT1_
; %bb.0:
	.section	.rodata,"a",@progbits
	.p2align	6, 0x0
	.amdhsa_kernel _ZN7rocprim17ROCPRIM_400000_NS6detail17trampoline_kernelINS0_14default_configENS1_35adjacent_difference_config_selectorILb1EtEEZNS1_24adjacent_difference_implIS3_Lb1ELb0EPtS7_N6thrust23THRUST_200600_302600_NS4plusItEEEE10hipError_tPvRmT2_T3_mT4_P12ihipStream_tbEUlT_E_NS1_11comp_targetILNS1_3genE2ELNS1_11target_archE906ELNS1_3gpuE6ELNS1_3repE0EEENS1_30default_config_static_selectorELNS0_4arch9wavefront6targetE1EEEvT1_
		.amdhsa_group_segment_fixed_size 0
		.amdhsa_private_segment_fixed_size 0
		.amdhsa_kernarg_size 56
		.amdhsa_user_sgpr_count 6
		.amdhsa_user_sgpr_private_segment_buffer 1
		.amdhsa_user_sgpr_dispatch_ptr 0
		.amdhsa_user_sgpr_queue_ptr 0
		.amdhsa_user_sgpr_kernarg_segment_ptr 1
		.amdhsa_user_sgpr_dispatch_id 0
		.amdhsa_user_sgpr_flat_scratch_init 0
		.amdhsa_user_sgpr_kernarg_preload_length 0
		.amdhsa_user_sgpr_kernarg_preload_offset 0
		.amdhsa_user_sgpr_private_segment_size 0
		.amdhsa_uses_dynamic_stack 0
		.amdhsa_system_sgpr_private_segment_wavefront_offset 0
		.amdhsa_system_sgpr_workgroup_id_x 1
		.amdhsa_system_sgpr_workgroup_id_y 0
		.amdhsa_system_sgpr_workgroup_id_z 0
		.amdhsa_system_sgpr_workgroup_info 0
		.amdhsa_system_vgpr_workitem_id 0
		.amdhsa_next_free_vgpr 1
		.amdhsa_next_free_sgpr 0
		.amdhsa_accum_offset 4
		.amdhsa_reserve_vcc 0
		.amdhsa_reserve_flat_scratch 0
		.amdhsa_float_round_mode_32 0
		.amdhsa_float_round_mode_16_64 0
		.amdhsa_float_denorm_mode_32 3
		.amdhsa_float_denorm_mode_16_64 3
		.amdhsa_dx10_clamp 1
		.amdhsa_ieee_mode 1
		.amdhsa_fp16_overflow 0
		.amdhsa_tg_split 0
		.amdhsa_exception_fp_ieee_invalid_op 0
		.amdhsa_exception_fp_denorm_src 0
		.amdhsa_exception_fp_ieee_div_zero 0
		.amdhsa_exception_fp_ieee_overflow 0
		.amdhsa_exception_fp_ieee_underflow 0
		.amdhsa_exception_fp_ieee_inexact 0
		.amdhsa_exception_int_div_zero 0
	.end_amdhsa_kernel
	.section	.text._ZN7rocprim17ROCPRIM_400000_NS6detail17trampoline_kernelINS0_14default_configENS1_35adjacent_difference_config_selectorILb1EtEEZNS1_24adjacent_difference_implIS3_Lb1ELb0EPtS7_N6thrust23THRUST_200600_302600_NS4plusItEEEE10hipError_tPvRmT2_T3_mT4_P12ihipStream_tbEUlT_E_NS1_11comp_targetILNS1_3genE2ELNS1_11target_archE906ELNS1_3gpuE6ELNS1_3repE0EEENS1_30default_config_static_selectorELNS0_4arch9wavefront6targetE1EEEvT1_,"axG",@progbits,_ZN7rocprim17ROCPRIM_400000_NS6detail17trampoline_kernelINS0_14default_configENS1_35adjacent_difference_config_selectorILb1EtEEZNS1_24adjacent_difference_implIS3_Lb1ELb0EPtS7_N6thrust23THRUST_200600_302600_NS4plusItEEEE10hipError_tPvRmT2_T3_mT4_P12ihipStream_tbEUlT_E_NS1_11comp_targetILNS1_3genE2ELNS1_11target_archE906ELNS1_3gpuE6ELNS1_3repE0EEENS1_30default_config_static_selectorELNS0_4arch9wavefront6targetE1EEEvT1_,comdat
.Lfunc_end361:
	.size	_ZN7rocprim17ROCPRIM_400000_NS6detail17trampoline_kernelINS0_14default_configENS1_35adjacent_difference_config_selectorILb1EtEEZNS1_24adjacent_difference_implIS3_Lb1ELb0EPtS7_N6thrust23THRUST_200600_302600_NS4plusItEEEE10hipError_tPvRmT2_T3_mT4_P12ihipStream_tbEUlT_E_NS1_11comp_targetILNS1_3genE2ELNS1_11target_archE906ELNS1_3gpuE6ELNS1_3repE0EEENS1_30default_config_static_selectorELNS0_4arch9wavefront6targetE1EEEvT1_, .Lfunc_end361-_ZN7rocprim17ROCPRIM_400000_NS6detail17trampoline_kernelINS0_14default_configENS1_35adjacent_difference_config_selectorILb1EtEEZNS1_24adjacent_difference_implIS3_Lb1ELb0EPtS7_N6thrust23THRUST_200600_302600_NS4plusItEEEE10hipError_tPvRmT2_T3_mT4_P12ihipStream_tbEUlT_E_NS1_11comp_targetILNS1_3genE2ELNS1_11target_archE906ELNS1_3gpuE6ELNS1_3repE0EEENS1_30default_config_static_selectorELNS0_4arch9wavefront6targetE1EEEvT1_
                                        ; -- End function
	.section	.AMDGPU.csdata,"",@progbits
; Kernel info:
; codeLenInByte = 0
; NumSgprs: 4
; NumVgprs: 0
; NumAgprs: 0
; TotalNumVgprs: 0
; ScratchSize: 0
; MemoryBound: 0
; FloatMode: 240
; IeeeMode: 1
; LDSByteSize: 0 bytes/workgroup (compile time only)
; SGPRBlocks: 0
; VGPRBlocks: 0
; NumSGPRsForWavesPerEU: 4
; NumVGPRsForWavesPerEU: 1
; AccumOffset: 4
; Occupancy: 8
; WaveLimiterHint : 0
; COMPUTE_PGM_RSRC2:SCRATCH_EN: 0
; COMPUTE_PGM_RSRC2:USER_SGPR: 6
; COMPUTE_PGM_RSRC2:TRAP_HANDLER: 0
; COMPUTE_PGM_RSRC2:TGID_X_EN: 1
; COMPUTE_PGM_RSRC2:TGID_Y_EN: 0
; COMPUTE_PGM_RSRC2:TGID_Z_EN: 0
; COMPUTE_PGM_RSRC2:TIDIG_COMP_CNT: 0
; COMPUTE_PGM_RSRC3_GFX90A:ACCUM_OFFSET: 0
; COMPUTE_PGM_RSRC3_GFX90A:TG_SPLIT: 0
	.section	.text._ZN7rocprim17ROCPRIM_400000_NS6detail17trampoline_kernelINS0_14default_configENS1_35adjacent_difference_config_selectorILb1EtEEZNS1_24adjacent_difference_implIS3_Lb1ELb0EPtS7_N6thrust23THRUST_200600_302600_NS4plusItEEEE10hipError_tPvRmT2_T3_mT4_P12ihipStream_tbEUlT_E_NS1_11comp_targetILNS1_3genE9ELNS1_11target_archE1100ELNS1_3gpuE3ELNS1_3repE0EEENS1_30default_config_static_selectorELNS0_4arch9wavefront6targetE1EEEvT1_,"axG",@progbits,_ZN7rocprim17ROCPRIM_400000_NS6detail17trampoline_kernelINS0_14default_configENS1_35adjacent_difference_config_selectorILb1EtEEZNS1_24adjacent_difference_implIS3_Lb1ELb0EPtS7_N6thrust23THRUST_200600_302600_NS4plusItEEEE10hipError_tPvRmT2_T3_mT4_P12ihipStream_tbEUlT_E_NS1_11comp_targetILNS1_3genE9ELNS1_11target_archE1100ELNS1_3gpuE3ELNS1_3repE0EEENS1_30default_config_static_selectorELNS0_4arch9wavefront6targetE1EEEvT1_,comdat
	.protected	_ZN7rocprim17ROCPRIM_400000_NS6detail17trampoline_kernelINS0_14default_configENS1_35adjacent_difference_config_selectorILb1EtEEZNS1_24adjacent_difference_implIS3_Lb1ELb0EPtS7_N6thrust23THRUST_200600_302600_NS4plusItEEEE10hipError_tPvRmT2_T3_mT4_P12ihipStream_tbEUlT_E_NS1_11comp_targetILNS1_3genE9ELNS1_11target_archE1100ELNS1_3gpuE3ELNS1_3repE0EEENS1_30default_config_static_selectorELNS0_4arch9wavefront6targetE1EEEvT1_ ; -- Begin function _ZN7rocprim17ROCPRIM_400000_NS6detail17trampoline_kernelINS0_14default_configENS1_35adjacent_difference_config_selectorILb1EtEEZNS1_24adjacent_difference_implIS3_Lb1ELb0EPtS7_N6thrust23THRUST_200600_302600_NS4plusItEEEE10hipError_tPvRmT2_T3_mT4_P12ihipStream_tbEUlT_E_NS1_11comp_targetILNS1_3genE9ELNS1_11target_archE1100ELNS1_3gpuE3ELNS1_3repE0EEENS1_30default_config_static_selectorELNS0_4arch9wavefront6targetE1EEEvT1_
	.globl	_ZN7rocprim17ROCPRIM_400000_NS6detail17trampoline_kernelINS0_14default_configENS1_35adjacent_difference_config_selectorILb1EtEEZNS1_24adjacent_difference_implIS3_Lb1ELb0EPtS7_N6thrust23THRUST_200600_302600_NS4plusItEEEE10hipError_tPvRmT2_T3_mT4_P12ihipStream_tbEUlT_E_NS1_11comp_targetILNS1_3genE9ELNS1_11target_archE1100ELNS1_3gpuE3ELNS1_3repE0EEENS1_30default_config_static_selectorELNS0_4arch9wavefront6targetE1EEEvT1_
	.p2align	8
	.type	_ZN7rocprim17ROCPRIM_400000_NS6detail17trampoline_kernelINS0_14default_configENS1_35adjacent_difference_config_selectorILb1EtEEZNS1_24adjacent_difference_implIS3_Lb1ELb0EPtS7_N6thrust23THRUST_200600_302600_NS4plusItEEEE10hipError_tPvRmT2_T3_mT4_P12ihipStream_tbEUlT_E_NS1_11comp_targetILNS1_3genE9ELNS1_11target_archE1100ELNS1_3gpuE3ELNS1_3repE0EEENS1_30default_config_static_selectorELNS0_4arch9wavefront6targetE1EEEvT1_,@function
_ZN7rocprim17ROCPRIM_400000_NS6detail17trampoline_kernelINS0_14default_configENS1_35adjacent_difference_config_selectorILb1EtEEZNS1_24adjacent_difference_implIS3_Lb1ELb0EPtS7_N6thrust23THRUST_200600_302600_NS4plusItEEEE10hipError_tPvRmT2_T3_mT4_P12ihipStream_tbEUlT_E_NS1_11comp_targetILNS1_3genE9ELNS1_11target_archE1100ELNS1_3gpuE3ELNS1_3repE0EEENS1_30default_config_static_selectorELNS0_4arch9wavefront6targetE1EEEvT1_: ; @_ZN7rocprim17ROCPRIM_400000_NS6detail17trampoline_kernelINS0_14default_configENS1_35adjacent_difference_config_selectorILb1EtEEZNS1_24adjacent_difference_implIS3_Lb1ELb0EPtS7_N6thrust23THRUST_200600_302600_NS4plusItEEEE10hipError_tPvRmT2_T3_mT4_P12ihipStream_tbEUlT_E_NS1_11comp_targetILNS1_3genE9ELNS1_11target_archE1100ELNS1_3gpuE3ELNS1_3repE0EEENS1_30default_config_static_selectorELNS0_4arch9wavefront6targetE1EEEvT1_
; %bb.0:
	.section	.rodata,"a",@progbits
	.p2align	6, 0x0
	.amdhsa_kernel _ZN7rocprim17ROCPRIM_400000_NS6detail17trampoline_kernelINS0_14default_configENS1_35adjacent_difference_config_selectorILb1EtEEZNS1_24adjacent_difference_implIS3_Lb1ELb0EPtS7_N6thrust23THRUST_200600_302600_NS4plusItEEEE10hipError_tPvRmT2_T3_mT4_P12ihipStream_tbEUlT_E_NS1_11comp_targetILNS1_3genE9ELNS1_11target_archE1100ELNS1_3gpuE3ELNS1_3repE0EEENS1_30default_config_static_selectorELNS0_4arch9wavefront6targetE1EEEvT1_
		.amdhsa_group_segment_fixed_size 0
		.amdhsa_private_segment_fixed_size 0
		.amdhsa_kernarg_size 56
		.amdhsa_user_sgpr_count 6
		.amdhsa_user_sgpr_private_segment_buffer 1
		.amdhsa_user_sgpr_dispatch_ptr 0
		.amdhsa_user_sgpr_queue_ptr 0
		.amdhsa_user_sgpr_kernarg_segment_ptr 1
		.amdhsa_user_sgpr_dispatch_id 0
		.amdhsa_user_sgpr_flat_scratch_init 0
		.amdhsa_user_sgpr_kernarg_preload_length 0
		.amdhsa_user_sgpr_kernarg_preload_offset 0
		.amdhsa_user_sgpr_private_segment_size 0
		.amdhsa_uses_dynamic_stack 0
		.amdhsa_system_sgpr_private_segment_wavefront_offset 0
		.amdhsa_system_sgpr_workgroup_id_x 1
		.amdhsa_system_sgpr_workgroup_id_y 0
		.amdhsa_system_sgpr_workgroup_id_z 0
		.amdhsa_system_sgpr_workgroup_info 0
		.amdhsa_system_vgpr_workitem_id 0
		.amdhsa_next_free_vgpr 1
		.amdhsa_next_free_sgpr 0
		.amdhsa_accum_offset 4
		.amdhsa_reserve_vcc 0
		.amdhsa_reserve_flat_scratch 0
		.amdhsa_float_round_mode_32 0
		.amdhsa_float_round_mode_16_64 0
		.amdhsa_float_denorm_mode_32 3
		.amdhsa_float_denorm_mode_16_64 3
		.amdhsa_dx10_clamp 1
		.amdhsa_ieee_mode 1
		.amdhsa_fp16_overflow 0
		.amdhsa_tg_split 0
		.amdhsa_exception_fp_ieee_invalid_op 0
		.amdhsa_exception_fp_denorm_src 0
		.amdhsa_exception_fp_ieee_div_zero 0
		.amdhsa_exception_fp_ieee_overflow 0
		.amdhsa_exception_fp_ieee_underflow 0
		.amdhsa_exception_fp_ieee_inexact 0
		.amdhsa_exception_int_div_zero 0
	.end_amdhsa_kernel
	.section	.text._ZN7rocprim17ROCPRIM_400000_NS6detail17trampoline_kernelINS0_14default_configENS1_35adjacent_difference_config_selectorILb1EtEEZNS1_24adjacent_difference_implIS3_Lb1ELb0EPtS7_N6thrust23THRUST_200600_302600_NS4plusItEEEE10hipError_tPvRmT2_T3_mT4_P12ihipStream_tbEUlT_E_NS1_11comp_targetILNS1_3genE9ELNS1_11target_archE1100ELNS1_3gpuE3ELNS1_3repE0EEENS1_30default_config_static_selectorELNS0_4arch9wavefront6targetE1EEEvT1_,"axG",@progbits,_ZN7rocprim17ROCPRIM_400000_NS6detail17trampoline_kernelINS0_14default_configENS1_35adjacent_difference_config_selectorILb1EtEEZNS1_24adjacent_difference_implIS3_Lb1ELb0EPtS7_N6thrust23THRUST_200600_302600_NS4plusItEEEE10hipError_tPvRmT2_T3_mT4_P12ihipStream_tbEUlT_E_NS1_11comp_targetILNS1_3genE9ELNS1_11target_archE1100ELNS1_3gpuE3ELNS1_3repE0EEENS1_30default_config_static_selectorELNS0_4arch9wavefront6targetE1EEEvT1_,comdat
.Lfunc_end362:
	.size	_ZN7rocprim17ROCPRIM_400000_NS6detail17trampoline_kernelINS0_14default_configENS1_35adjacent_difference_config_selectorILb1EtEEZNS1_24adjacent_difference_implIS3_Lb1ELb0EPtS7_N6thrust23THRUST_200600_302600_NS4plusItEEEE10hipError_tPvRmT2_T3_mT4_P12ihipStream_tbEUlT_E_NS1_11comp_targetILNS1_3genE9ELNS1_11target_archE1100ELNS1_3gpuE3ELNS1_3repE0EEENS1_30default_config_static_selectorELNS0_4arch9wavefront6targetE1EEEvT1_, .Lfunc_end362-_ZN7rocprim17ROCPRIM_400000_NS6detail17trampoline_kernelINS0_14default_configENS1_35adjacent_difference_config_selectorILb1EtEEZNS1_24adjacent_difference_implIS3_Lb1ELb0EPtS7_N6thrust23THRUST_200600_302600_NS4plusItEEEE10hipError_tPvRmT2_T3_mT4_P12ihipStream_tbEUlT_E_NS1_11comp_targetILNS1_3genE9ELNS1_11target_archE1100ELNS1_3gpuE3ELNS1_3repE0EEENS1_30default_config_static_selectorELNS0_4arch9wavefront6targetE1EEEvT1_
                                        ; -- End function
	.section	.AMDGPU.csdata,"",@progbits
; Kernel info:
; codeLenInByte = 0
; NumSgprs: 4
; NumVgprs: 0
; NumAgprs: 0
; TotalNumVgprs: 0
; ScratchSize: 0
; MemoryBound: 0
; FloatMode: 240
; IeeeMode: 1
; LDSByteSize: 0 bytes/workgroup (compile time only)
; SGPRBlocks: 0
; VGPRBlocks: 0
; NumSGPRsForWavesPerEU: 4
; NumVGPRsForWavesPerEU: 1
; AccumOffset: 4
; Occupancy: 8
; WaveLimiterHint : 0
; COMPUTE_PGM_RSRC2:SCRATCH_EN: 0
; COMPUTE_PGM_RSRC2:USER_SGPR: 6
; COMPUTE_PGM_RSRC2:TRAP_HANDLER: 0
; COMPUTE_PGM_RSRC2:TGID_X_EN: 1
; COMPUTE_PGM_RSRC2:TGID_Y_EN: 0
; COMPUTE_PGM_RSRC2:TGID_Z_EN: 0
; COMPUTE_PGM_RSRC2:TIDIG_COMP_CNT: 0
; COMPUTE_PGM_RSRC3_GFX90A:ACCUM_OFFSET: 0
; COMPUTE_PGM_RSRC3_GFX90A:TG_SPLIT: 0
	.section	.text._ZN7rocprim17ROCPRIM_400000_NS6detail17trampoline_kernelINS0_14default_configENS1_35adjacent_difference_config_selectorILb1EtEEZNS1_24adjacent_difference_implIS3_Lb1ELb0EPtS7_N6thrust23THRUST_200600_302600_NS4plusItEEEE10hipError_tPvRmT2_T3_mT4_P12ihipStream_tbEUlT_E_NS1_11comp_targetILNS1_3genE8ELNS1_11target_archE1030ELNS1_3gpuE2ELNS1_3repE0EEENS1_30default_config_static_selectorELNS0_4arch9wavefront6targetE1EEEvT1_,"axG",@progbits,_ZN7rocprim17ROCPRIM_400000_NS6detail17trampoline_kernelINS0_14default_configENS1_35adjacent_difference_config_selectorILb1EtEEZNS1_24adjacent_difference_implIS3_Lb1ELb0EPtS7_N6thrust23THRUST_200600_302600_NS4plusItEEEE10hipError_tPvRmT2_T3_mT4_P12ihipStream_tbEUlT_E_NS1_11comp_targetILNS1_3genE8ELNS1_11target_archE1030ELNS1_3gpuE2ELNS1_3repE0EEENS1_30default_config_static_selectorELNS0_4arch9wavefront6targetE1EEEvT1_,comdat
	.protected	_ZN7rocprim17ROCPRIM_400000_NS6detail17trampoline_kernelINS0_14default_configENS1_35adjacent_difference_config_selectorILb1EtEEZNS1_24adjacent_difference_implIS3_Lb1ELb0EPtS7_N6thrust23THRUST_200600_302600_NS4plusItEEEE10hipError_tPvRmT2_T3_mT4_P12ihipStream_tbEUlT_E_NS1_11comp_targetILNS1_3genE8ELNS1_11target_archE1030ELNS1_3gpuE2ELNS1_3repE0EEENS1_30default_config_static_selectorELNS0_4arch9wavefront6targetE1EEEvT1_ ; -- Begin function _ZN7rocprim17ROCPRIM_400000_NS6detail17trampoline_kernelINS0_14default_configENS1_35adjacent_difference_config_selectorILb1EtEEZNS1_24adjacent_difference_implIS3_Lb1ELb0EPtS7_N6thrust23THRUST_200600_302600_NS4plusItEEEE10hipError_tPvRmT2_T3_mT4_P12ihipStream_tbEUlT_E_NS1_11comp_targetILNS1_3genE8ELNS1_11target_archE1030ELNS1_3gpuE2ELNS1_3repE0EEENS1_30default_config_static_selectorELNS0_4arch9wavefront6targetE1EEEvT1_
	.globl	_ZN7rocprim17ROCPRIM_400000_NS6detail17trampoline_kernelINS0_14default_configENS1_35adjacent_difference_config_selectorILb1EtEEZNS1_24adjacent_difference_implIS3_Lb1ELb0EPtS7_N6thrust23THRUST_200600_302600_NS4plusItEEEE10hipError_tPvRmT2_T3_mT4_P12ihipStream_tbEUlT_E_NS1_11comp_targetILNS1_3genE8ELNS1_11target_archE1030ELNS1_3gpuE2ELNS1_3repE0EEENS1_30default_config_static_selectorELNS0_4arch9wavefront6targetE1EEEvT1_
	.p2align	8
	.type	_ZN7rocprim17ROCPRIM_400000_NS6detail17trampoline_kernelINS0_14default_configENS1_35adjacent_difference_config_selectorILb1EtEEZNS1_24adjacent_difference_implIS3_Lb1ELb0EPtS7_N6thrust23THRUST_200600_302600_NS4plusItEEEE10hipError_tPvRmT2_T3_mT4_P12ihipStream_tbEUlT_E_NS1_11comp_targetILNS1_3genE8ELNS1_11target_archE1030ELNS1_3gpuE2ELNS1_3repE0EEENS1_30default_config_static_selectorELNS0_4arch9wavefront6targetE1EEEvT1_,@function
_ZN7rocprim17ROCPRIM_400000_NS6detail17trampoline_kernelINS0_14default_configENS1_35adjacent_difference_config_selectorILb1EtEEZNS1_24adjacent_difference_implIS3_Lb1ELb0EPtS7_N6thrust23THRUST_200600_302600_NS4plusItEEEE10hipError_tPvRmT2_T3_mT4_P12ihipStream_tbEUlT_E_NS1_11comp_targetILNS1_3genE8ELNS1_11target_archE1030ELNS1_3gpuE2ELNS1_3repE0EEENS1_30default_config_static_selectorELNS0_4arch9wavefront6targetE1EEEvT1_: ; @_ZN7rocprim17ROCPRIM_400000_NS6detail17trampoline_kernelINS0_14default_configENS1_35adjacent_difference_config_selectorILb1EtEEZNS1_24adjacent_difference_implIS3_Lb1ELb0EPtS7_N6thrust23THRUST_200600_302600_NS4plusItEEEE10hipError_tPvRmT2_T3_mT4_P12ihipStream_tbEUlT_E_NS1_11comp_targetILNS1_3genE8ELNS1_11target_archE1030ELNS1_3gpuE2ELNS1_3repE0EEENS1_30default_config_static_selectorELNS0_4arch9wavefront6targetE1EEEvT1_
; %bb.0:
	.section	.rodata,"a",@progbits
	.p2align	6, 0x0
	.amdhsa_kernel _ZN7rocprim17ROCPRIM_400000_NS6detail17trampoline_kernelINS0_14default_configENS1_35adjacent_difference_config_selectorILb1EtEEZNS1_24adjacent_difference_implIS3_Lb1ELb0EPtS7_N6thrust23THRUST_200600_302600_NS4plusItEEEE10hipError_tPvRmT2_T3_mT4_P12ihipStream_tbEUlT_E_NS1_11comp_targetILNS1_3genE8ELNS1_11target_archE1030ELNS1_3gpuE2ELNS1_3repE0EEENS1_30default_config_static_selectorELNS0_4arch9wavefront6targetE1EEEvT1_
		.amdhsa_group_segment_fixed_size 0
		.amdhsa_private_segment_fixed_size 0
		.amdhsa_kernarg_size 56
		.amdhsa_user_sgpr_count 6
		.amdhsa_user_sgpr_private_segment_buffer 1
		.amdhsa_user_sgpr_dispatch_ptr 0
		.amdhsa_user_sgpr_queue_ptr 0
		.amdhsa_user_sgpr_kernarg_segment_ptr 1
		.amdhsa_user_sgpr_dispatch_id 0
		.amdhsa_user_sgpr_flat_scratch_init 0
		.amdhsa_user_sgpr_kernarg_preload_length 0
		.amdhsa_user_sgpr_kernarg_preload_offset 0
		.amdhsa_user_sgpr_private_segment_size 0
		.amdhsa_uses_dynamic_stack 0
		.amdhsa_system_sgpr_private_segment_wavefront_offset 0
		.amdhsa_system_sgpr_workgroup_id_x 1
		.amdhsa_system_sgpr_workgroup_id_y 0
		.amdhsa_system_sgpr_workgroup_id_z 0
		.amdhsa_system_sgpr_workgroup_info 0
		.amdhsa_system_vgpr_workitem_id 0
		.amdhsa_next_free_vgpr 1
		.amdhsa_next_free_sgpr 0
		.amdhsa_accum_offset 4
		.amdhsa_reserve_vcc 0
		.amdhsa_reserve_flat_scratch 0
		.amdhsa_float_round_mode_32 0
		.amdhsa_float_round_mode_16_64 0
		.amdhsa_float_denorm_mode_32 3
		.amdhsa_float_denorm_mode_16_64 3
		.amdhsa_dx10_clamp 1
		.amdhsa_ieee_mode 1
		.amdhsa_fp16_overflow 0
		.amdhsa_tg_split 0
		.amdhsa_exception_fp_ieee_invalid_op 0
		.amdhsa_exception_fp_denorm_src 0
		.amdhsa_exception_fp_ieee_div_zero 0
		.amdhsa_exception_fp_ieee_overflow 0
		.amdhsa_exception_fp_ieee_underflow 0
		.amdhsa_exception_fp_ieee_inexact 0
		.amdhsa_exception_int_div_zero 0
	.end_amdhsa_kernel
	.section	.text._ZN7rocprim17ROCPRIM_400000_NS6detail17trampoline_kernelINS0_14default_configENS1_35adjacent_difference_config_selectorILb1EtEEZNS1_24adjacent_difference_implIS3_Lb1ELb0EPtS7_N6thrust23THRUST_200600_302600_NS4plusItEEEE10hipError_tPvRmT2_T3_mT4_P12ihipStream_tbEUlT_E_NS1_11comp_targetILNS1_3genE8ELNS1_11target_archE1030ELNS1_3gpuE2ELNS1_3repE0EEENS1_30default_config_static_selectorELNS0_4arch9wavefront6targetE1EEEvT1_,"axG",@progbits,_ZN7rocprim17ROCPRIM_400000_NS6detail17trampoline_kernelINS0_14default_configENS1_35adjacent_difference_config_selectorILb1EtEEZNS1_24adjacent_difference_implIS3_Lb1ELb0EPtS7_N6thrust23THRUST_200600_302600_NS4plusItEEEE10hipError_tPvRmT2_T3_mT4_P12ihipStream_tbEUlT_E_NS1_11comp_targetILNS1_3genE8ELNS1_11target_archE1030ELNS1_3gpuE2ELNS1_3repE0EEENS1_30default_config_static_selectorELNS0_4arch9wavefront6targetE1EEEvT1_,comdat
.Lfunc_end363:
	.size	_ZN7rocprim17ROCPRIM_400000_NS6detail17trampoline_kernelINS0_14default_configENS1_35adjacent_difference_config_selectorILb1EtEEZNS1_24adjacent_difference_implIS3_Lb1ELb0EPtS7_N6thrust23THRUST_200600_302600_NS4plusItEEEE10hipError_tPvRmT2_T3_mT4_P12ihipStream_tbEUlT_E_NS1_11comp_targetILNS1_3genE8ELNS1_11target_archE1030ELNS1_3gpuE2ELNS1_3repE0EEENS1_30default_config_static_selectorELNS0_4arch9wavefront6targetE1EEEvT1_, .Lfunc_end363-_ZN7rocprim17ROCPRIM_400000_NS6detail17trampoline_kernelINS0_14default_configENS1_35adjacent_difference_config_selectorILb1EtEEZNS1_24adjacent_difference_implIS3_Lb1ELb0EPtS7_N6thrust23THRUST_200600_302600_NS4plusItEEEE10hipError_tPvRmT2_T3_mT4_P12ihipStream_tbEUlT_E_NS1_11comp_targetILNS1_3genE8ELNS1_11target_archE1030ELNS1_3gpuE2ELNS1_3repE0EEENS1_30default_config_static_selectorELNS0_4arch9wavefront6targetE1EEEvT1_
                                        ; -- End function
	.section	.AMDGPU.csdata,"",@progbits
; Kernel info:
; codeLenInByte = 0
; NumSgprs: 4
; NumVgprs: 0
; NumAgprs: 0
; TotalNumVgprs: 0
; ScratchSize: 0
; MemoryBound: 0
; FloatMode: 240
; IeeeMode: 1
; LDSByteSize: 0 bytes/workgroup (compile time only)
; SGPRBlocks: 0
; VGPRBlocks: 0
; NumSGPRsForWavesPerEU: 4
; NumVGPRsForWavesPerEU: 1
; AccumOffset: 4
; Occupancy: 8
; WaveLimiterHint : 0
; COMPUTE_PGM_RSRC2:SCRATCH_EN: 0
; COMPUTE_PGM_RSRC2:USER_SGPR: 6
; COMPUTE_PGM_RSRC2:TRAP_HANDLER: 0
; COMPUTE_PGM_RSRC2:TGID_X_EN: 1
; COMPUTE_PGM_RSRC2:TGID_Y_EN: 0
; COMPUTE_PGM_RSRC2:TGID_Z_EN: 0
; COMPUTE_PGM_RSRC2:TIDIG_COMP_CNT: 0
; COMPUTE_PGM_RSRC3_GFX90A:ACCUM_OFFSET: 0
; COMPUTE_PGM_RSRC3_GFX90A:TG_SPLIT: 0
	.section	.text._ZN6thrust23THRUST_200600_302600_NS11hip_rocprim14__parallel_for6kernelILj256ENS1_20__uninitialized_fill7functorINS0_10device_ptrIjEEjEEmLj1EEEvT0_T1_SA_,"axG",@progbits,_ZN6thrust23THRUST_200600_302600_NS11hip_rocprim14__parallel_for6kernelILj256ENS1_20__uninitialized_fill7functorINS0_10device_ptrIjEEjEEmLj1EEEvT0_T1_SA_,comdat
	.protected	_ZN6thrust23THRUST_200600_302600_NS11hip_rocprim14__parallel_for6kernelILj256ENS1_20__uninitialized_fill7functorINS0_10device_ptrIjEEjEEmLj1EEEvT0_T1_SA_ ; -- Begin function _ZN6thrust23THRUST_200600_302600_NS11hip_rocprim14__parallel_for6kernelILj256ENS1_20__uninitialized_fill7functorINS0_10device_ptrIjEEjEEmLj1EEEvT0_T1_SA_
	.globl	_ZN6thrust23THRUST_200600_302600_NS11hip_rocprim14__parallel_for6kernelILj256ENS1_20__uninitialized_fill7functorINS0_10device_ptrIjEEjEEmLj1EEEvT0_T1_SA_
	.p2align	8
	.type	_ZN6thrust23THRUST_200600_302600_NS11hip_rocprim14__parallel_for6kernelILj256ENS1_20__uninitialized_fill7functorINS0_10device_ptrIjEEjEEmLj1EEEvT0_T1_SA_,@function
_ZN6thrust23THRUST_200600_302600_NS11hip_rocprim14__parallel_for6kernelILj256ENS1_20__uninitialized_fill7functorINS0_10device_ptrIjEEjEEmLj1EEEvT0_T1_SA_: ; @_ZN6thrust23THRUST_200600_302600_NS11hip_rocprim14__parallel_for6kernelILj256ENS1_20__uninitialized_fill7functorINS0_10device_ptrIjEEjEEmLj1EEEvT0_T1_SA_
; %bb.0:
	s_load_dwordx4 s[8:11], s[4:5], 0x10
	s_lshl_b32 s0, s6, 8
	v_mov_b32_e32 v2, 0x100
	v_mov_b32_e32 v3, 0
	s_waitcnt lgkmcnt(0)
	s_add_u32 s0, s0, s10
	s_addc_u32 s1, 0, s11
	s_sub_u32 s2, s8, s0
	s_subb_u32 s3, s9, s1
	v_cmp_lt_u64_e32 vcc, s[2:3], v[2:3]
	s_cbranch_vccz .LBB364_2
; %bb.1:
	v_cmp_gt_u32_e32 vcc, s2, v0
	s_and_b64 s[2:3], vcc, exec
	s_cbranch_execz .LBB364_3
	s_branch .LBB364_4
.LBB364_2:
	s_mov_b64 s[2:3], 0
.LBB364_3:
	s_or_b64 s[2:3], s[2:3], exec
.LBB364_4:
	s_and_saveexec_b64 s[6:7], s[2:3]
	s_cbranch_execnz .LBB364_6
; %bb.5:
	s_endpgm
.LBB364_6:
	s_load_dwordx2 s[2:3], s[4:5], 0x0
	s_load_dword s6, s[4:5], 0x8
	s_lshl_b64 s[0:1], s[0:1], 2
	v_mov_b32_e32 v1, 0
	v_lshlrev_b64 v[0:1], 2, v[0:1]
	s_waitcnt lgkmcnt(0)
	s_add_u32 s0, s2, s0
	s_addc_u32 s1, s3, s1
	v_mov_b32_e32 v2, s1
	v_add_co_u32_e32 v0, vcc, s0, v0
	v_addc_co_u32_e32 v1, vcc, v2, v1, vcc
	v_mov_b32_e32 v2, s6
	flat_store_dword v[0:1], v2
	s_endpgm
	.section	.rodata,"a",@progbits
	.p2align	6, 0x0
	.amdhsa_kernel _ZN6thrust23THRUST_200600_302600_NS11hip_rocprim14__parallel_for6kernelILj256ENS1_20__uninitialized_fill7functorINS0_10device_ptrIjEEjEEmLj1EEEvT0_T1_SA_
		.amdhsa_group_segment_fixed_size 0
		.amdhsa_private_segment_fixed_size 0
		.amdhsa_kernarg_size 32
		.amdhsa_user_sgpr_count 6
		.amdhsa_user_sgpr_private_segment_buffer 1
		.amdhsa_user_sgpr_dispatch_ptr 0
		.amdhsa_user_sgpr_queue_ptr 0
		.amdhsa_user_sgpr_kernarg_segment_ptr 1
		.amdhsa_user_sgpr_dispatch_id 0
		.amdhsa_user_sgpr_flat_scratch_init 0
		.amdhsa_user_sgpr_kernarg_preload_length 0
		.amdhsa_user_sgpr_kernarg_preload_offset 0
		.amdhsa_user_sgpr_private_segment_size 0
		.amdhsa_uses_dynamic_stack 0
		.amdhsa_system_sgpr_private_segment_wavefront_offset 0
		.amdhsa_system_sgpr_workgroup_id_x 1
		.amdhsa_system_sgpr_workgroup_id_y 0
		.amdhsa_system_sgpr_workgroup_id_z 0
		.amdhsa_system_sgpr_workgroup_info 0
		.amdhsa_system_vgpr_workitem_id 0
		.amdhsa_next_free_vgpr 4
		.amdhsa_next_free_sgpr 12
		.amdhsa_accum_offset 4
		.amdhsa_reserve_vcc 1
		.amdhsa_reserve_flat_scratch 0
		.amdhsa_float_round_mode_32 0
		.amdhsa_float_round_mode_16_64 0
		.amdhsa_float_denorm_mode_32 3
		.amdhsa_float_denorm_mode_16_64 3
		.amdhsa_dx10_clamp 1
		.amdhsa_ieee_mode 1
		.amdhsa_fp16_overflow 0
		.amdhsa_tg_split 0
		.amdhsa_exception_fp_ieee_invalid_op 0
		.amdhsa_exception_fp_denorm_src 0
		.amdhsa_exception_fp_ieee_div_zero 0
		.amdhsa_exception_fp_ieee_overflow 0
		.amdhsa_exception_fp_ieee_underflow 0
		.amdhsa_exception_fp_ieee_inexact 0
		.amdhsa_exception_int_div_zero 0
	.end_amdhsa_kernel
	.section	.text._ZN6thrust23THRUST_200600_302600_NS11hip_rocprim14__parallel_for6kernelILj256ENS1_20__uninitialized_fill7functorINS0_10device_ptrIjEEjEEmLj1EEEvT0_T1_SA_,"axG",@progbits,_ZN6thrust23THRUST_200600_302600_NS11hip_rocprim14__parallel_for6kernelILj256ENS1_20__uninitialized_fill7functorINS0_10device_ptrIjEEjEEmLj1EEEvT0_T1_SA_,comdat
.Lfunc_end364:
	.size	_ZN6thrust23THRUST_200600_302600_NS11hip_rocprim14__parallel_for6kernelILj256ENS1_20__uninitialized_fill7functorINS0_10device_ptrIjEEjEEmLj1EEEvT0_T1_SA_, .Lfunc_end364-_ZN6thrust23THRUST_200600_302600_NS11hip_rocprim14__parallel_for6kernelILj256ENS1_20__uninitialized_fill7functorINS0_10device_ptrIjEEjEEmLj1EEEvT0_T1_SA_
                                        ; -- End function
	.section	.AMDGPU.csdata,"",@progbits
; Kernel info:
; codeLenInByte = 160
; NumSgprs: 16
; NumVgprs: 4
; NumAgprs: 0
; TotalNumVgprs: 4
; ScratchSize: 0
; MemoryBound: 0
; FloatMode: 240
; IeeeMode: 1
; LDSByteSize: 0 bytes/workgroup (compile time only)
; SGPRBlocks: 1
; VGPRBlocks: 0
; NumSGPRsForWavesPerEU: 16
; NumVGPRsForWavesPerEU: 4
; AccumOffset: 4
; Occupancy: 8
; WaveLimiterHint : 0
; COMPUTE_PGM_RSRC2:SCRATCH_EN: 0
; COMPUTE_PGM_RSRC2:USER_SGPR: 6
; COMPUTE_PGM_RSRC2:TRAP_HANDLER: 0
; COMPUTE_PGM_RSRC2:TGID_X_EN: 1
; COMPUTE_PGM_RSRC2:TGID_Y_EN: 0
; COMPUTE_PGM_RSRC2:TGID_Z_EN: 0
; COMPUTE_PGM_RSRC2:TIDIG_COMP_CNT: 0
; COMPUTE_PGM_RSRC3_GFX90A:ACCUM_OFFSET: 0
; COMPUTE_PGM_RSRC3_GFX90A:TG_SPLIT: 0
	.section	.text._ZN7rocprim17ROCPRIM_400000_NS6detail17trampoline_kernelINS0_14default_configENS1_35adjacent_difference_config_selectorILb0EjEEZNS1_24adjacent_difference_implIS3_Lb0ELb0EPjS7_N6thrust23THRUST_200600_302600_NS5minusIjEEEE10hipError_tPvRmT2_T3_mT4_P12ihipStream_tbEUlT_E_NS1_11comp_targetILNS1_3genE0ELNS1_11target_archE4294967295ELNS1_3gpuE0ELNS1_3repE0EEENS1_30default_config_static_selectorELNS0_4arch9wavefront6targetE1EEEvT1_,"axG",@progbits,_ZN7rocprim17ROCPRIM_400000_NS6detail17trampoline_kernelINS0_14default_configENS1_35adjacent_difference_config_selectorILb0EjEEZNS1_24adjacent_difference_implIS3_Lb0ELb0EPjS7_N6thrust23THRUST_200600_302600_NS5minusIjEEEE10hipError_tPvRmT2_T3_mT4_P12ihipStream_tbEUlT_E_NS1_11comp_targetILNS1_3genE0ELNS1_11target_archE4294967295ELNS1_3gpuE0ELNS1_3repE0EEENS1_30default_config_static_selectorELNS0_4arch9wavefront6targetE1EEEvT1_,comdat
	.protected	_ZN7rocprim17ROCPRIM_400000_NS6detail17trampoline_kernelINS0_14default_configENS1_35adjacent_difference_config_selectorILb0EjEEZNS1_24adjacent_difference_implIS3_Lb0ELb0EPjS7_N6thrust23THRUST_200600_302600_NS5minusIjEEEE10hipError_tPvRmT2_T3_mT4_P12ihipStream_tbEUlT_E_NS1_11comp_targetILNS1_3genE0ELNS1_11target_archE4294967295ELNS1_3gpuE0ELNS1_3repE0EEENS1_30default_config_static_selectorELNS0_4arch9wavefront6targetE1EEEvT1_ ; -- Begin function _ZN7rocprim17ROCPRIM_400000_NS6detail17trampoline_kernelINS0_14default_configENS1_35adjacent_difference_config_selectorILb0EjEEZNS1_24adjacent_difference_implIS3_Lb0ELb0EPjS7_N6thrust23THRUST_200600_302600_NS5minusIjEEEE10hipError_tPvRmT2_T3_mT4_P12ihipStream_tbEUlT_E_NS1_11comp_targetILNS1_3genE0ELNS1_11target_archE4294967295ELNS1_3gpuE0ELNS1_3repE0EEENS1_30default_config_static_selectorELNS0_4arch9wavefront6targetE1EEEvT1_
	.globl	_ZN7rocprim17ROCPRIM_400000_NS6detail17trampoline_kernelINS0_14default_configENS1_35adjacent_difference_config_selectorILb0EjEEZNS1_24adjacent_difference_implIS3_Lb0ELb0EPjS7_N6thrust23THRUST_200600_302600_NS5minusIjEEEE10hipError_tPvRmT2_T3_mT4_P12ihipStream_tbEUlT_E_NS1_11comp_targetILNS1_3genE0ELNS1_11target_archE4294967295ELNS1_3gpuE0ELNS1_3repE0EEENS1_30default_config_static_selectorELNS0_4arch9wavefront6targetE1EEEvT1_
	.p2align	8
	.type	_ZN7rocprim17ROCPRIM_400000_NS6detail17trampoline_kernelINS0_14default_configENS1_35adjacent_difference_config_selectorILb0EjEEZNS1_24adjacent_difference_implIS3_Lb0ELb0EPjS7_N6thrust23THRUST_200600_302600_NS5minusIjEEEE10hipError_tPvRmT2_T3_mT4_P12ihipStream_tbEUlT_E_NS1_11comp_targetILNS1_3genE0ELNS1_11target_archE4294967295ELNS1_3gpuE0ELNS1_3repE0EEENS1_30default_config_static_selectorELNS0_4arch9wavefront6targetE1EEEvT1_,@function
_ZN7rocprim17ROCPRIM_400000_NS6detail17trampoline_kernelINS0_14default_configENS1_35adjacent_difference_config_selectorILb0EjEEZNS1_24adjacent_difference_implIS3_Lb0ELb0EPjS7_N6thrust23THRUST_200600_302600_NS5minusIjEEEE10hipError_tPvRmT2_T3_mT4_P12ihipStream_tbEUlT_E_NS1_11comp_targetILNS1_3genE0ELNS1_11target_archE4294967295ELNS1_3gpuE0ELNS1_3repE0EEENS1_30default_config_static_selectorELNS0_4arch9wavefront6targetE1EEEvT1_: ; @_ZN7rocprim17ROCPRIM_400000_NS6detail17trampoline_kernelINS0_14default_configENS1_35adjacent_difference_config_selectorILb0EjEEZNS1_24adjacent_difference_implIS3_Lb0ELb0EPjS7_N6thrust23THRUST_200600_302600_NS5minusIjEEEE10hipError_tPvRmT2_T3_mT4_P12ihipStream_tbEUlT_E_NS1_11comp_targetILNS1_3genE0ELNS1_11target_archE4294967295ELNS1_3gpuE0ELNS1_3repE0EEENS1_30default_config_static_selectorELNS0_4arch9wavefront6targetE1EEEvT1_
; %bb.0:
	.section	.rodata,"a",@progbits
	.p2align	6, 0x0
	.amdhsa_kernel _ZN7rocprim17ROCPRIM_400000_NS6detail17trampoline_kernelINS0_14default_configENS1_35adjacent_difference_config_selectorILb0EjEEZNS1_24adjacent_difference_implIS3_Lb0ELb0EPjS7_N6thrust23THRUST_200600_302600_NS5minusIjEEEE10hipError_tPvRmT2_T3_mT4_P12ihipStream_tbEUlT_E_NS1_11comp_targetILNS1_3genE0ELNS1_11target_archE4294967295ELNS1_3gpuE0ELNS1_3repE0EEENS1_30default_config_static_selectorELNS0_4arch9wavefront6targetE1EEEvT1_
		.amdhsa_group_segment_fixed_size 0
		.amdhsa_private_segment_fixed_size 0
		.amdhsa_kernarg_size 56
		.amdhsa_user_sgpr_count 6
		.amdhsa_user_sgpr_private_segment_buffer 1
		.amdhsa_user_sgpr_dispatch_ptr 0
		.amdhsa_user_sgpr_queue_ptr 0
		.amdhsa_user_sgpr_kernarg_segment_ptr 1
		.amdhsa_user_sgpr_dispatch_id 0
		.amdhsa_user_sgpr_flat_scratch_init 0
		.amdhsa_user_sgpr_kernarg_preload_length 0
		.amdhsa_user_sgpr_kernarg_preload_offset 0
		.amdhsa_user_sgpr_private_segment_size 0
		.amdhsa_uses_dynamic_stack 0
		.amdhsa_system_sgpr_private_segment_wavefront_offset 0
		.amdhsa_system_sgpr_workgroup_id_x 1
		.amdhsa_system_sgpr_workgroup_id_y 0
		.amdhsa_system_sgpr_workgroup_id_z 0
		.amdhsa_system_sgpr_workgroup_info 0
		.amdhsa_system_vgpr_workitem_id 0
		.amdhsa_next_free_vgpr 1
		.amdhsa_next_free_sgpr 0
		.amdhsa_accum_offset 4
		.amdhsa_reserve_vcc 0
		.amdhsa_reserve_flat_scratch 0
		.amdhsa_float_round_mode_32 0
		.amdhsa_float_round_mode_16_64 0
		.amdhsa_float_denorm_mode_32 3
		.amdhsa_float_denorm_mode_16_64 3
		.amdhsa_dx10_clamp 1
		.amdhsa_ieee_mode 1
		.amdhsa_fp16_overflow 0
		.amdhsa_tg_split 0
		.amdhsa_exception_fp_ieee_invalid_op 0
		.amdhsa_exception_fp_denorm_src 0
		.amdhsa_exception_fp_ieee_div_zero 0
		.amdhsa_exception_fp_ieee_overflow 0
		.amdhsa_exception_fp_ieee_underflow 0
		.amdhsa_exception_fp_ieee_inexact 0
		.amdhsa_exception_int_div_zero 0
	.end_amdhsa_kernel
	.section	.text._ZN7rocprim17ROCPRIM_400000_NS6detail17trampoline_kernelINS0_14default_configENS1_35adjacent_difference_config_selectorILb0EjEEZNS1_24adjacent_difference_implIS3_Lb0ELb0EPjS7_N6thrust23THRUST_200600_302600_NS5minusIjEEEE10hipError_tPvRmT2_T3_mT4_P12ihipStream_tbEUlT_E_NS1_11comp_targetILNS1_3genE0ELNS1_11target_archE4294967295ELNS1_3gpuE0ELNS1_3repE0EEENS1_30default_config_static_selectorELNS0_4arch9wavefront6targetE1EEEvT1_,"axG",@progbits,_ZN7rocprim17ROCPRIM_400000_NS6detail17trampoline_kernelINS0_14default_configENS1_35adjacent_difference_config_selectorILb0EjEEZNS1_24adjacent_difference_implIS3_Lb0ELb0EPjS7_N6thrust23THRUST_200600_302600_NS5minusIjEEEE10hipError_tPvRmT2_T3_mT4_P12ihipStream_tbEUlT_E_NS1_11comp_targetILNS1_3genE0ELNS1_11target_archE4294967295ELNS1_3gpuE0ELNS1_3repE0EEENS1_30default_config_static_selectorELNS0_4arch9wavefront6targetE1EEEvT1_,comdat
.Lfunc_end365:
	.size	_ZN7rocprim17ROCPRIM_400000_NS6detail17trampoline_kernelINS0_14default_configENS1_35adjacent_difference_config_selectorILb0EjEEZNS1_24adjacent_difference_implIS3_Lb0ELb0EPjS7_N6thrust23THRUST_200600_302600_NS5minusIjEEEE10hipError_tPvRmT2_T3_mT4_P12ihipStream_tbEUlT_E_NS1_11comp_targetILNS1_3genE0ELNS1_11target_archE4294967295ELNS1_3gpuE0ELNS1_3repE0EEENS1_30default_config_static_selectorELNS0_4arch9wavefront6targetE1EEEvT1_, .Lfunc_end365-_ZN7rocprim17ROCPRIM_400000_NS6detail17trampoline_kernelINS0_14default_configENS1_35adjacent_difference_config_selectorILb0EjEEZNS1_24adjacent_difference_implIS3_Lb0ELb0EPjS7_N6thrust23THRUST_200600_302600_NS5minusIjEEEE10hipError_tPvRmT2_T3_mT4_P12ihipStream_tbEUlT_E_NS1_11comp_targetILNS1_3genE0ELNS1_11target_archE4294967295ELNS1_3gpuE0ELNS1_3repE0EEENS1_30default_config_static_selectorELNS0_4arch9wavefront6targetE1EEEvT1_
                                        ; -- End function
	.section	.AMDGPU.csdata,"",@progbits
; Kernel info:
; codeLenInByte = 0
; NumSgprs: 4
; NumVgprs: 0
; NumAgprs: 0
; TotalNumVgprs: 0
; ScratchSize: 0
; MemoryBound: 0
; FloatMode: 240
; IeeeMode: 1
; LDSByteSize: 0 bytes/workgroup (compile time only)
; SGPRBlocks: 0
; VGPRBlocks: 0
; NumSGPRsForWavesPerEU: 4
; NumVGPRsForWavesPerEU: 1
; AccumOffset: 4
; Occupancy: 8
; WaveLimiterHint : 0
; COMPUTE_PGM_RSRC2:SCRATCH_EN: 0
; COMPUTE_PGM_RSRC2:USER_SGPR: 6
; COMPUTE_PGM_RSRC2:TRAP_HANDLER: 0
; COMPUTE_PGM_RSRC2:TGID_X_EN: 1
; COMPUTE_PGM_RSRC2:TGID_Y_EN: 0
; COMPUTE_PGM_RSRC2:TGID_Z_EN: 0
; COMPUTE_PGM_RSRC2:TIDIG_COMP_CNT: 0
; COMPUTE_PGM_RSRC3_GFX90A:ACCUM_OFFSET: 0
; COMPUTE_PGM_RSRC3_GFX90A:TG_SPLIT: 0
	.section	.text._ZN7rocprim17ROCPRIM_400000_NS6detail17trampoline_kernelINS0_14default_configENS1_35adjacent_difference_config_selectorILb0EjEEZNS1_24adjacent_difference_implIS3_Lb0ELb0EPjS7_N6thrust23THRUST_200600_302600_NS5minusIjEEEE10hipError_tPvRmT2_T3_mT4_P12ihipStream_tbEUlT_E_NS1_11comp_targetILNS1_3genE10ELNS1_11target_archE1201ELNS1_3gpuE5ELNS1_3repE0EEENS1_30default_config_static_selectorELNS0_4arch9wavefront6targetE1EEEvT1_,"axG",@progbits,_ZN7rocprim17ROCPRIM_400000_NS6detail17trampoline_kernelINS0_14default_configENS1_35adjacent_difference_config_selectorILb0EjEEZNS1_24adjacent_difference_implIS3_Lb0ELb0EPjS7_N6thrust23THRUST_200600_302600_NS5minusIjEEEE10hipError_tPvRmT2_T3_mT4_P12ihipStream_tbEUlT_E_NS1_11comp_targetILNS1_3genE10ELNS1_11target_archE1201ELNS1_3gpuE5ELNS1_3repE0EEENS1_30default_config_static_selectorELNS0_4arch9wavefront6targetE1EEEvT1_,comdat
	.protected	_ZN7rocprim17ROCPRIM_400000_NS6detail17trampoline_kernelINS0_14default_configENS1_35adjacent_difference_config_selectorILb0EjEEZNS1_24adjacent_difference_implIS3_Lb0ELb0EPjS7_N6thrust23THRUST_200600_302600_NS5minusIjEEEE10hipError_tPvRmT2_T3_mT4_P12ihipStream_tbEUlT_E_NS1_11comp_targetILNS1_3genE10ELNS1_11target_archE1201ELNS1_3gpuE5ELNS1_3repE0EEENS1_30default_config_static_selectorELNS0_4arch9wavefront6targetE1EEEvT1_ ; -- Begin function _ZN7rocprim17ROCPRIM_400000_NS6detail17trampoline_kernelINS0_14default_configENS1_35adjacent_difference_config_selectorILb0EjEEZNS1_24adjacent_difference_implIS3_Lb0ELb0EPjS7_N6thrust23THRUST_200600_302600_NS5minusIjEEEE10hipError_tPvRmT2_T3_mT4_P12ihipStream_tbEUlT_E_NS1_11comp_targetILNS1_3genE10ELNS1_11target_archE1201ELNS1_3gpuE5ELNS1_3repE0EEENS1_30default_config_static_selectorELNS0_4arch9wavefront6targetE1EEEvT1_
	.globl	_ZN7rocprim17ROCPRIM_400000_NS6detail17trampoline_kernelINS0_14default_configENS1_35adjacent_difference_config_selectorILb0EjEEZNS1_24adjacent_difference_implIS3_Lb0ELb0EPjS7_N6thrust23THRUST_200600_302600_NS5minusIjEEEE10hipError_tPvRmT2_T3_mT4_P12ihipStream_tbEUlT_E_NS1_11comp_targetILNS1_3genE10ELNS1_11target_archE1201ELNS1_3gpuE5ELNS1_3repE0EEENS1_30default_config_static_selectorELNS0_4arch9wavefront6targetE1EEEvT1_
	.p2align	8
	.type	_ZN7rocprim17ROCPRIM_400000_NS6detail17trampoline_kernelINS0_14default_configENS1_35adjacent_difference_config_selectorILb0EjEEZNS1_24adjacent_difference_implIS3_Lb0ELb0EPjS7_N6thrust23THRUST_200600_302600_NS5minusIjEEEE10hipError_tPvRmT2_T3_mT4_P12ihipStream_tbEUlT_E_NS1_11comp_targetILNS1_3genE10ELNS1_11target_archE1201ELNS1_3gpuE5ELNS1_3repE0EEENS1_30default_config_static_selectorELNS0_4arch9wavefront6targetE1EEEvT1_,@function
_ZN7rocprim17ROCPRIM_400000_NS6detail17trampoline_kernelINS0_14default_configENS1_35adjacent_difference_config_selectorILb0EjEEZNS1_24adjacent_difference_implIS3_Lb0ELb0EPjS7_N6thrust23THRUST_200600_302600_NS5minusIjEEEE10hipError_tPvRmT2_T3_mT4_P12ihipStream_tbEUlT_E_NS1_11comp_targetILNS1_3genE10ELNS1_11target_archE1201ELNS1_3gpuE5ELNS1_3repE0EEENS1_30default_config_static_selectorELNS0_4arch9wavefront6targetE1EEEvT1_: ; @_ZN7rocprim17ROCPRIM_400000_NS6detail17trampoline_kernelINS0_14default_configENS1_35adjacent_difference_config_selectorILb0EjEEZNS1_24adjacent_difference_implIS3_Lb0ELb0EPjS7_N6thrust23THRUST_200600_302600_NS5minusIjEEEE10hipError_tPvRmT2_T3_mT4_P12ihipStream_tbEUlT_E_NS1_11comp_targetILNS1_3genE10ELNS1_11target_archE1201ELNS1_3gpuE5ELNS1_3repE0EEENS1_30default_config_static_selectorELNS0_4arch9wavefront6targetE1EEEvT1_
; %bb.0:
	.section	.rodata,"a",@progbits
	.p2align	6, 0x0
	.amdhsa_kernel _ZN7rocprim17ROCPRIM_400000_NS6detail17trampoline_kernelINS0_14default_configENS1_35adjacent_difference_config_selectorILb0EjEEZNS1_24adjacent_difference_implIS3_Lb0ELb0EPjS7_N6thrust23THRUST_200600_302600_NS5minusIjEEEE10hipError_tPvRmT2_T3_mT4_P12ihipStream_tbEUlT_E_NS1_11comp_targetILNS1_3genE10ELNS1_11target_archE1201ELNS1_3gpuE5ELNS1_3repE0EEENS1_30default_config_static_selectorELNS0_4arch9wavefront6targetE1EEEvT1_
		.amdhsa_group_segment_fixed_size 0
		.amdhsa_private_segment_fixed_size 0
		.amdhsa_kernarg_size 56
		.amdhsa_user_sgpr_count 6
		.amdhsa_user_sgpr_private_segment_buffer 1
		.amdhsa_user_sgpr_dispatch_ptr 0
		.amdhsa_user_sgpr_queue_ptr 0
		.amdhsa_user_sgpr_kernarg_segment_ptr 1
		.amdhsa_user_sgpr_dispatch_id 0
		.amdhsa_user_sgpr_flat_scratch_init 0
		.amdhsa_user_sgpr_kernarg_preload_length 0
		.amdhsa_user_sgpr_kernarg_preload_offset 0
		.amdhsa_user_sgpr_private_segment_size 0
		.amdhsa_uses_dynamic_stack 0
		.amdhsa_system_sgpr_private_segment_wavefront_offset 0
		.amdhsa_system_sgpr_workgroup_id_x 1
		.amdhsa_system_sgpr_workgroup_id_y 0
		.amdhsa_system_sgpr_workgroup_id_z 0
		.amdhsa_system_sgpr_workgroup_info 0
		.amdhsa_system_vgpr_workitem_id 0
		.amdhsa_next_free_vgpr 1
		.amdhsa_next_free_sgpr 0
		.amdhsa_accum_offset 4
		.amdhsa_reserve_vcc 0
		.amdhsa_reserve_flat_scratch 0
		.amdhsa_float_round_mode_32 0
		.amdhsa_float_round_mode_16_64 0
		.amdhsa_float_denorm_mode_32 3
		.amdhsa_float_denorm_mode_16_64 3
		.amdhsa_dx10_clamp 1
		.amdhsa_ieee_mode 1
		.amdhsa_fp16_overflow 0
		.amdhsa_tg_split 0
		.amdhsa_exception_fp_ieee_invalid_op 0
		.amdhsa_exception_fp_denorm_src 0
		.amdhsa_exception_fp_ieee_div_zero 0
		.amdhsa_exception_fp_ieee_overflow 0
		.amdhsa_exception_fp_ieee_underflow 0
		.amdhsa_exception_fp_ieee_inexact 0
		.amdhsa_exception_int_div_zero 0
	.end_amdhsa_kernel
	.section	.text._ZN7rocprim17ROCPRIM_400000_NS6detail17trampoline_kernelINS0_14default_configENS1_35adjacent_difference_config_selectorILb0EjEEZNS1_24adjacent_difference_implIS3_Lb0ELb0EPjS7_N6thrust23THRUST_200600_302600_NS5minusIjEEEE10hipError_tPvRmT2_T3_mT4_P12ihipStream_tbEUlT_E_NS1_11comp_targetILNS1_3genE10ELNS1_11target_archE1201ELNS1_3gpuE5ELNS1_3repE0EEENS1_30default_config_static_selectorELNS0_4arch9wavefront6targetE1EEEvT1_,"axG",@progbits,_ZN7rocprim17ROCPRIM_400000_NS6detail17trampoline_kernelINS0_14default_configENS1_35adjacent_difference_config_selectorILb0EjEEZNS1_24adjacent_difference_implIS3_Lb0ELb0EPjS7_N6thrust23THRUST_200600_302600_NS5minusIjEEEE10hipError_tPvRmT2_T3_mT4_P12ihipStream_tbEUlT_E_NS1_11comp_targetILNS1_3genE10ELNS1_11target_archE1201ELNS1_3gpuE5ELNS1_3repE0EEENS1_30default_config_static_selectorELNS0_4arch9wavefront6targetE1EEEvT1_,comdat
.Lfunc_end366:
	.size	_ZN7rocprim17ROCPRIM_400000_NS6detail17trampoline_kernelINS0_14default_configENS1_35adjacent_difference_config_selectorILb0EjEEZNS1_24adjacent_difference_implIS3_Lb0ELb0EPjS7_N6thrust23THRUST_200600_302600_NS5minusIjEEEE10hipError_tPvRmT2_T3_mT4_P12ihipStream_tbEUlT_E_NS1_11comp_targetILNS1_3genE10ELNS1_11target_archE1201ELNS1_3gpuE5ELNS1_3repE0EEENS1_30default_config_static_selectorELNS0_4arch9wavefront6targetE1EEEvT1_, .Lfunc_end366-_ZN7rocprim17ROCPRIM_400000_NS6detail17trampoline_kernelINS0_14default_configENS1_35adjacent_difference_config_selectorILb0EjEEZNS1_24adjacent_difference_implIS3_Lb0ELb0EPjS7_N6thrust23THRUST_200600_302600_NS5minusIjEEEE10hipError_tPvRmT2_T3_mT4_P12ihipStream_tbEUlT_E_NS1_11comp_targetILNS1_3genE10ELNS1_11target_archE1201ELNS1_3gpuE5ELNS1_3repE0EEENS1_30default_config_static_selectorELNS0_4arch9wavefront6targetE1EEEvT1_
                                        ; -- End function
	.section	.AMDGPU.csdata,"",@progbits
; Kernel info:
; codeLenInByte = 0
; NumSgprs: 4
; NumVgprs: 0
; NumAgprs: 0
; TotalNumVgprs: 0
; ScratchSize: 0
; MemoryBound: 0
; FloatMode: 240
; IeeeMode: 1
; LDSByteSize: 0 bytes/workgroup (compile time only)
; SGPRBlocks: 0
; VGPRBlocks: 0
; NumSGPRsForWavesPerEU: 4
; NumVGPRsForWavesPerEU: 1
; AccumOffset: 4
; Occupancy: 8
; WaveLimiterHint : 0
; COMPUTE_PGM_RSRC2:SCRATCH_EN: 0
; COMPUTE_PGM_RSRC2:USER_SGPR: 6
; COMPUTE_PGM_RSRC2:TRAP_HANDLER: 0
; COMPUTE_PGM_RSRC2:TGID_X_EN: 1
; COMPUTE_PGM_RSRC2:TGID_Y_EN: 0
; COMPUTE_PGM_RSRC2:TGID_Z_EN: 0
; COMPUTE_PGM_RSRC2:TIDIG_COMP_CNT: 0
; COMPUTE_PGM_RSRC3_GFX90A:ACCUM_OFFSET: 0
; COMPUTE_PGM_RSRC3_GFX90A:TG_SPLIT: 0
	.section	.text._ZN7rocprim17ROCPRIM_400000_NS6detail17trampoline_kernelINS0_14default_configENS1_35adjacent_difference_config_selectorILb0EjEEZNS1_24adjacent_difference_implIS3_Lb0ELb0EPjS7_N6thrust23THRUST_200600_302600_NS5minusIjEEEE10hipError_tPvRmT2_T3_mT4_P12ihipStream_tbEUlT_E_NS1_11comp_targetILNS1_3genE5ELNS1_11target_archE942ELNS1_3gpuE9ELNS1_3repE0EEENS1_30default_config_static_selectorELNS0_4arch9wavefront6targetE1EEEvT1_,"axG",@progbits,_ZN7rocprim17ROCPRIM_400000_NS6detail17trampoline_kernelINS0_14default_configENS1_35adjacent_difference_config_selectorILb0EjEEZNS1_24adjacent_difference_implIS3_Lb0ELb0EPjS7_N6thrust23THRUST_200600_302600_NS5minusIjEEEE10hipError_tPvRmT2_T3_mT4_P12ihipStream_tbEUlT_E_NS1_11comp_targetILNS1_3genE5ELNS1_11target_archE942ELNS1_3gpuE9ELNS1_3repE0EEENS1_30default_config_static_selectorELNS0_4arch9wavefront6targetE1EEEvT1_,comdat
	.protected	_ZN7rocprim17ROCPRIM_400000_NS6detail17trampoline_kernelINS0_14default_configENS1_35adjacent_difference_config_selectorILb0EjEEZNS1_24adjacent_difference_implIS3_Lb0ELb0EPjS7_N6thrust23THRUST_200600_302600_NS5minusIjEEEE10hipError_tPvRmT2_T3_mT4_P12ihipStream_tbEUlT_E_NS1_11comp_targetILNS1_3genE5ELNS1_11target_archE942ELNS1_3gpuE9ELNS1_3repE0EEENS1_30default_config_static_selectorELNS0_4arch9wavefront6targetE1EEEvT1_ ; -- Begin function _ZN7rocprim17ROCPRIM_400000_NS6detail17trampoline_kernelINS0_14default_configENS1_35adjacent_difference_config_selectorILb0EjEEZNS1_24adjacent_difference_implIS3_Lb0ELb0EPjS7_N6thrust23THRUST_200600_302600_NS5minusIjEEEE10hipError_tPvRmT2_T3_mT4_P12ihipStream_tbEUlT_E_NS1_11comp_targetILNS1_3genE5ELNS1_11target_archE942ELNS1_3gpuE9ELNS1_3repE0EEENS1_30default_config_static_selectorELNS0_4arch9wavefront6targetE1EEEvT1_
	.globl	_ZN7rocprim17ROCPRIM_400000_NS6detail17trampoline_kernelINS0_14default_configENS1_35adjacent_difference_config_selectorILb0EjEEZNS1_24adjacent_difference_implIS3_Lb0ELb0EPjS7_N6thrust23THRUST_200600_302600_NS5minusIjEEEE10hipError_tPvRmT2_T3_mT4_P12ihipStream_tbEUlT_E_NS1_11comp_targetILNS1_3genE5ELNS1_11target_archE942ELNS1_3gpuE9ELNS1_3repE0EEENS1_30default_config_static_selectorELNS0_4arch9wavefront6targetE1EEEvT1_
	.p2align	8
	.type	_ZN7rocprim17ROCPRIM_400000_NS6detail17trampoline_kernelINS0_14default_configENS1_35adjacent_difference_config_selectorILb0EjEEZNS1_24adjacent_difference_implIS3_Lb0ELb0EPjS7_N6thrust23THRUST_200600_302600_NS5minusIjEEEE10hipError_tPvRmT2_T3_mT4_P12ihipStream_tbEUlT_E_NS1_11comp_targetILNS1_3genE5ELNS1_11target_archE942ELNS1_3gpuE9ELNS1_3repE0EEENS1_30default_config_static_selectorELNS0_4arch9wavefront6targetE1EEEvT1_,@function
_ZN7rocprim17ROCPRIM_400000_NS6detail17trampoline_kernelINS0_14default_configENS1_35adjacent_difference_config_selectorILb0EjEEZNS1_24adjacent_difference_implIS3_Lb0ELb0EPjS7_N6thrust23THRUST_200600_302600_NS5minusIjEEEE10hipError_tPvRmT2_T3_mT4_P12ihipStream_tbEUlT_E_NS1_11comp_targetILNS1_3genE5ELNS1_11target_archE942ELNS1_3gpuE9ELNS1_3repE0EEENS1_30default_config_static_selectorELNS0_4arch9wavefront6targetE1EEEvT1_: ; @_ZN7rocprim17ROCPRIM_400000_NS6detail17trampoline_kernelINS0_14default_configENS1_35adjacent_difference_config_selectorILb0EjEEZNS1_24adjacent_difference_implIS3_Lb0ELb0EPjS7_N6thrust23THRUST_200600_302600_NS5minusIjEEEE10hipError_tPvRmT2_T3_mT4_P12ihipStream_tbEUlT_E_NS1_11comp_targetILNS1_3genE5ELNS1_11target_archE942ELNS1_3gpuE9ELNS1_3repE0EEENS1_30default_config_static_selectorELNS0_4arch9wavefront6targetE1EEEvT1_
; %bb.0:
	.section	.rodata,"a",@progbits
	.p2align	6, 0x0
	.amdhsa_kernel _ZN7rocprim17ROCPRIM_400000_NS6detail17trampoline_kernelINS0_14default_configENS1_35adjacent_difference_config_selectorILb0EjEEZNS1_24adjacent_difference_implIS3_Lb0ELb0EPjS7_N6thrust23THRUST_200600_302600_NS5minusIjEEEE10hipError_tPvRmT2_T3_mT4_P12ihipStream_tbEUlT_E_NS1_11comp_targetILNS1_3genE5ELNS1_11target_archE942ELNS1_3gpuE9ELNS1_3repE0EEENS1_30default_config_static_selectorELNS0_4arch9wavefront6targetE1EEEvT1_
		.amdhsa_group_segment_fixed_size 0
		.amdhsa_private_segment_fixed_size 0
		.amdhsa_kernarg_size 56
		.amdhsa_user_sgpr_count 6
		.amdhsa_user_sgpr_private_segment_buffer 1
		.amdhsa_user_sgpr_dispatch_ptr 0
		.amdhsa_user_sgpr_queue_ptr 0
		.amdhsa_user_sgpr_kernarg_segment_ptr 1
		.amdhsa_user_sgpr_dispatch_id 0
		.amdhsa_user_sgpr_flat_scratch_init 0
		.amdhsa_user_sgpr_kernarg_preload_length 0
		.amdhsa_user_sgpr_kernarg_preload_offset 0
		.amdhsa_user_sgpr_private_segment_size 0
		.amdhsa_uses_dynamic_stack 0
		.amdhsa_system_sgpr_private_segment_wavefront_offset 0
		.amdhsa_system_sgpr_workgroup_id_x 1
		.amdhsa_system_sgpr_workgroup_id_y 0
		.amdhsa_system_sgpr_workgroup_id_z 0
		.amdhsa_system_sgpr_workgroup_info 0
		.amdhsa_system_vgpr_workitem_id 0
		.amdhsa_next_free_vgpr 1
		.amdhsa_next_free_sgpr 0
		.amdhsa_accum_offset 4
		.amdhsa_reserve_vcc 0
		.amdhsa_reserve_flat_scratch 0
		.amdhsa_float_round_mode_32 0
		.amdhsa_float_round_mode_16_64 0
		.amdhsa_float_denorm_mode_32 3
		.amdhsa_float_denorm_mode_16_64 3
		.amdhsa_dx10_clamp 1
		.amdhsa_ieee_mode 1
		.amdhsa_fp16_overflow 0
		.amdhsa_tg_split 0
		.amdhsa_exception_fp_ieee_invalid_op 0
		.amdhsa_exception_fp_denorm_src 0
		.amdhsa_exception_fp_ieee_div_zero 0
		.amdhsa_exception_fp_ieee_overflow 0
		.amdhsa_exception_fp_ieee_underflow 0
		.amdhsa_exception_fp_ieee_inexact 0
		.amdhsa_exception_int_div_zero 0
	.end_amdhsa_kernel
	.section	.text._ZN7rocprim17ROCPRIM_400000_NS6detail17trampoline_kernelINS0_14default_configENS1_35adjacent_difference_config_selectorILb0EjEEZNS1_24adjacent_difference_implIS3_Lb0ELb0EPjS7_N6thrust23THRUST_200600_302600_NS5minusIjEEEE10hipError_tPvRmT2_T3_mT4_P12ihipStream_tbEUlT_E_NS1_11comp_targetILNS1_3genE5ELNS1_11target_archE942ELNS1_3gpuE9ELNS1_3repE0EEENS1_30default_config_static_selectorELNS0_4arch9wavefront6targetE1EEEvT1_,"axG",@progbits,_ZN7rocprim17ROCPRIM_400000_NS6detail17trampoline_kernelINS0_14default_configENS1_35adjacent_difference_config_selectorILb0EjEEZNS1_24adjacent_difference_implIS3_Lb0ELb0EPjS7_N6thrust23THRUST_200600_302600_NS5minusIjEEEE10hipError_tPvRmT2_T3_mT4_P12ihipStream_tbEUlT_E_NS1_11comp_targetILNS1_3genE5ELNS1_11target_archE942ELNS1_3gpuE9ELNS1_3repE0EEENS1_30default_config_static_selectorELNS0_4arch9wavefront6targetE1EEEvT1_,comdat
.Lfunc_end367:
	.size	_ZN7rocprim17ROCPRIM_400000_NS6detail17trampoline_kernelINS0_14default_configENS1_35adjacent_difference_config_selectorILb0EjEEZNS1_24adjacent_difference_implIS3_Lb0ELb0EPjS7_N6thrust23THRUST_200600_302600_NS5minusIjEEEE10hipError_tPvRmT2_T3_mT4_P12ihipStream_tbEUlT_E_NS1_11comp_targetILNS1_3genE5ELNS1_11target_archE942ELNS1_3gpuE9ELNS1_3repE0EEENS1_30default_config_static_selectorELNS0_4arch9wavefront6targetE1EEEvT1_, .Lfunc_end367-_ZN7rocprim17ROCPRIM_400000_NS6detail17trampoline_kernelINS0_14default_configENS1_35adjacent_difference_config_selectorILb0EjEEZNS1_24adjacent_difference_implIS3_Lb0ELb0EPjS7_N6thrust23THRUST_200600_302600_NS5minusIjEEEE10hipError_tPvRmT2_T3_mT4_P12ihipStream_tbEUlT_E_NS1_11comp_targetILNS1_3genE5ELNS1_11target_archE942ELNS1_3gpuE9ELNS1_3repE0EEENS1_30default_config_static_selectorELNS0_4arch9wavefront6targetE1EEEvT1_
                                        ; -- End function
	.section	.AMDGPU.csdata,"",@progbits
; Kernel info:
; codeLenInByte = 0
; NumSgprs: 4
; NumVgprs: 0
; NumAgprs: 0
; TotalNumVgprs: 0
; ScratchSize: 0
; MemoryBound: 0
; FloatMode: 240
; IeeeMode: 1
; LDSByteSize: 0 bytes/workgroup (compile time only)
; SGPRBlocks: 0
; VGPRBlocks: 0
; NumSGPRsForWavesPerEU: 4
; NumVGPRsForWavesPerEU: 1
; AccumOffset: 4
; Occupancy: 8
; WaveLimiterHint : 0
; COMPUTE_PGM_RSRC2:SCRATCH_EN: 0
; COMPUTE_PGM_RSRC2:USER_SGPR: 6
; COMPUTE_PGM_RSRC2:TRAP_HANDLER: 0
; COMPUTE_PGM_RSRC2:TGID_X_EN: 1
; COMPUTE_PGM_RSRC2:TGID_Y_EN: 0
; COMPUTE_PGM_RSRC2:TGID_Z_EN: 0
; COMPUTE_PGM_RSRC2:TIDIG_COMP_CNT: 0
; COMPUTE_PGM_RSRC3_GFX90A:ACCUM_OFFSET: 0
; COMPUTE_PGM_RSRC3_GFX90A:TG_SPLIT: 0
	.section	.text._ZN7rocprim17ROCPRIM_400000_NS6detail17trampoline_kernelINS0_14default_configENS1_35adjacent_difference_config_selectorILb0EjEEZNS1_24adjacent_difference_implIS3_Lb0ELb0EPjS7_N6thrust23THRUST_200600_302600_NS5minusIjEEEE10hipError_tPvRmT2_T3_mT4_P12ihipStream_tbEUlT_E_NS1_11comp_targetILNS1_3genE4ELNS1_11target_archE910ELNS1_3gpuE8ELNS1_3repE0EEENS1_30default_config_static_selectorELNS0_4arch9wavefront6targetE1EEEvT1_,"axG",@progbits,_ZN7rocprim17ROCPRIM_400000_NS6detail17trampoline_kernelINS0_14default_configENS1_35adjacent_difference_config_selectorILb0EjEEZNS1_24adjacent_difference_implIS3_Lb0ELb0EPjS7_N6thrust23THRUST_200600_302600_NS5minusIjEEEE10hipError_tPvRmT2_T3_mT4_P12ihipStream_tbEUlT_E_NS1_11comp_targetILNS1_3genE4ELNS1_11target_archE910ELNS1_3gpuE8ELNS1_3repE0EEENS1_30default_config_static_selectorELNS0_4arch9wavefront6targetE1EEEvT1_,comdat
	.protected	_ZN7rocprim17ROCPRIM_400000_NS6detail17trampoline_kernelINS0_14default_configENS1_35adjacent_difference_config_selectorILb0EjEEZNS1_24adjacent_difference_implIS3_Lb0ELb0EPjS7_N6thrust23THRUST_200600_302600_NS5minusIjEEEE10hipError_tPvRmT2_T3_mT4_P12ihipStream_tbEUlT_E_NS1_11comp_targetILNS1_3genE4ELNS1_11target_archE910ELNS1_3gpuE8ELNS1_3repE0EEENS1_30default_config_static_selectorELNS0_4arch9wavefront6targetE1EEEvT1_ ; -- Begin function _ZN7rocprim17ROCPRIM_400000_NS6detail17trampoline_kernelINS0_14default_configENS1_35adjacent_difference_config_selectorILb0EjEEZNS1_24adjacent_difference_implIS3_Lb0ELb0EPjS7_N6thrust23THRUST_200600_302600_NS5minusIjEEEE10hipError_tPvRmT2_T3_mT4_P12ihipStream_tbEUlT_E_NS1_11comp_targetILNS1_3genE4ELNS1_11target_archE910ELNS1_3gpuE8ELNS1_3repE0EEENS1_30default_config_static_selectorELNS0_4arch9wavefront6targetE1EEEvT1_
	.globl	_ZN7rocprim17ROCPRIM_400000_NS6detail17trampoline_kernelINS0_14default_configENS1_35adjacent_difference_config_selectorILb0EjEEZNS1_24adjacent_difference_implIS3_Lb0ELb0EPjS7_N6thrust23THRUST_200600_302600_NS5minusIjEEEE10hipError_tPvRmT2_T3_mT4_P12ihipStream_tbEUlT_E_NS1_11comp_targetILNS1_3genE4ELNS1_11target_archE910ELNS1_3gpuE8ELNS1_3repE0EEENS1_30default_config_static_selectorELNS0_4arch9wavefront6targetE1EEEvT1_
	.p2align	8
	.type	_ZN7rocprim17ROCPRIM_400000_NS6detail17trampoline_kernelINS0_14default_configENS1_35adjacent_difference_config_selectorILb0EjEEZNS1_24adjacent_difference_implIS3_Lb0ELb0EPjS7_N6thrust23THRUST_200600_302600_NS5minusIjEEEE10hipError_tPvRmT2_T3_mT4_P12ihipStream_tbEUlT_E_NS1_11comp_targetILNS1_3genE4ELNS1_11target_archE910ELNS1_3gpuE8ELNS1_3repE0EEENS1_30default_config_static_selectorELNS0_4arch9wavefront6targetE1EEEvT1_,@function
_ZN7rocprim17ROCPRIM_400000_NS6detail17trampoline_kernelINS0_14default_configENS1_35adjacent_difference_config_selectorILb0EjEEZNS1_24adjacent_difference_implIS3_Lb0ELb0EPjS7_N6thrust23THRUST_200600_302600_NS5minusIjEEEE10hipError_tPvRmT2_T3_mT4_P12ihipStream_tbEUlT_E_NS1_11comp_targetILNS1_3genE4ELNS1_11target_archE910ELNS1_3gpuE8ELNS1_3repE0EEENS1_30default_config_static_selectorELNS0_4arch9wavefront6targetE1EEEvT1_: ; @_ZN7rocprim17ROCPRIM_400000_NS6detail17trampoline_kernelINS0_14default_configENS1_35adjacent_difference_config_selectorILb0EjEEZNS1_24adjacent_difference_implIS3_Lb0ELb0EPjS7_N6thrust23THRUST_200600_302600_NS5minusIjEEEE10hipError_tPvRmT2_T3_mT4_P12ihipStream_tbEUlT_E_NS1_11comp_targetILNS1_3genE4ELNS1_11target_archE910ELNS1_3gpuE8ELNS1_3repE0EEENS1_30default_config_static_selectorELNS0_4arch9wavefront6targetE1EEEvT1_
; %bb.0:
	s_load_dwordx8 s[8:15], s[4:5], 0x0
	s_mov_b32 s2, 0x59999780
	s_movk_i32 s7, 0xa00
	s_load_dwordx2 s[0:1], s[4:5], 0x30
	s_mul_i32 s4, s6, 0xa00
	s_waitcnt lgkmcnt(0)
	s_lshl_b64 s[10:11], s[10:11], 2
	s_add_u32 s20, s8, s10
	s_addc_u32 s21, s9, s11
	s_add_u32 s2, 0xe0, s2
	s_addc_u32 s8, 0, 0
	v_add_co_u32_e64 v1, s[2:3], s2, 2.0
	s_cmp_lg_u64 s[2:3], 0
	s_addc_u32 s2, s8, 0x199999
	v_readfirstlane_b32 s8, v1
	s_mul_hi_u32 s9, s8, 0xfffff600
	s_mul_i32 s3, s2, 0xfffff600
	s_sub_i32 s9, s9, s8
	s_add_i32 s9, s9, s3
	s_mul_i32 s17, s8, 0xfffff600
	s_mul_hi_u32 s3, s8, s9
	s_mul_i32 s16, s8, s9
	s_mul_hi_u32 s8, s8, s17
	s_add_u32 s8, s8, s16
	s_addc_u32 s3, 0, s3
	s_mul_hi_u32 s18, s2, s17
	s_mul_i32 s17, s2, s17
	s_add_u32 s8, s8, s17
	s_mul_hi_u32 s16, s2, s9
	s_addc_u32 s3, s3, s18
	s_addc_u32 s8, s16, 0
	s_mul_i32 s9, s2, s9
	s_add_u32 s3, s3, s9
	s_addc_u32 s8, 0, s8
	v_add_co_u32_e32 v1, vcc, s3, v1
	s_cmp_lg_u64 vcc, 0
	s_addc_u32 s2, s2, s8
	v_readfirstlane_b32 s9, v1
	s_mul_i32 s8, s14, s2
	s_mul_hi_u32 s16, s14, s9
	s_mul_hi_u32 s3, s14, s2
	s_add_u32 s8, s16, s8
	s_addc_u32 s3, 0, s3
	s_mul_hi_u32 s17, s15, s9
	s_mul_i32 s9, s15, s9
	s_add_u32 s8, s8, s9
	s_mul_hi_u32 s16, s15, s2
	s_addc_u32 s3, s3, s17
	s_addc_u32 s8, s16, 0
	s_mul_i32 s2, s15, s2
	s_add_u32 s2, s3, s2
	s_addc_u32 s3, 0, s8
	s_add_u32 s8, s2, 1
	s_addc_u32 s9, s3, 0
	s_add_u32 s16, s2, 2
	s_mul_i32 s18, s3, 0xa00
	s_mul_hi_u32 s19, s2, 0xa00
	s_addc_u32 s17, s3, 0
	s_add_i32 s19, s19, s18
	s_mul_i32 s18, s2, 0xa00
	v_mov_b32_e32 v1, s18
	v_sub_co_u32_e32 v1, vcc, s14, v1
	s_cmp_lg_u64 vcc, 0
	s_subb_u32 s18, s15, s19
	v_subrev_co_u32_e32 v2, vcc, s7, v1
	s_cmp_lg_u64 vcc, 0
	s_subb_u32 s7, s18, 0
	v_readfirstlane_b32 s19, v2
	s_cmpk_gt_u32 s19, 0x9ff
	s_cselect_b32 s19, -1, 0
	s_cmp_eq_u32 s7, 0
	s_cselect_b32 s7, s19, -1
	s_cmp_lg_u32 s7, 0
	s_cselect_b32 s7, s16, s8
	s_cselect_b32 s8, s17, s9
	v_readfirstlane_b32 s9, v1
	s_cmpk_gt_u32 s9, 0x9ff
	s_cselect_b32 s9, -1, 0
	s_cmp_eq_u32 s18, 0
	s_cselect_b32 s9, s9, -1
	s_cmp_lg_u32 s9, 0
	s_cselect_b32 s8, s8, s3
	s_cselect_b32 s7, s7, s2
	s_mul_i32 s2, s8, 0xa00
	s_mul_hi_u32 s3, s7, 0xa00
	s_add_i32 s3, s3, s2
	s_mul_i32 s2, s7, 0xa00
	s_sub_u32 s2, s14, s2
	s_subb_u32 s3, s15, s3
	s_cmp_lg_u64 s[2:3], 0
	s_cselect_b64 s[2:3], -1, 0
	v_cndmask_b32_e64 v1, 0, 1, s[2:3]
	v_readfirstlane_b32 s2, v1
	s_add_u32 s2, s7, s2
	s_addc_u32 s3, s8, 0
	s_add_u32 s6, s0, s6
	s_addc_u32 s7, s1, 0
	s_add_u32 s8, s2, -1
	s_addc_u32 s9, s3, -1
	v_pk_mov_b32 v[2:3], s[8:9], s[8:9] op_sel:[0,1]
	v_cmp_ge_u64_e64 s[0:1], s[6:7], v[2:3]
	s_mov_b32 s5, 0
	s_mov_b64 s[16:17], -1
	s_and_b64 vcc, exec, s[0:1]
	s_mul_i32 s15, s8, 0xfffff600
	s_cbranch_vccz .LBB368_12
; %bb.1:
	s_add_i32 s22, s15, s14
	s_lshl_b64 s[16:17], s[4:5], 2
	s_add_u32 s16, s20, s16
	s_addc_u32 s17, s21, s17
	v_cmp_gt_u32_e32 vcc, s22, v0
                                        ; implicit-def: $vgpr2_vgpr3_vgpr4_vgpr5_vgpr6
	s_and_saveexec_b64 s[18:19], vcc
	s_cbranch_execz .LBB368_3
; %bb.2:
	v_lshlrev_b32_e32 v1, 2, v0
	global_load_dword v2, v1, s[16:17]
.LBB368_3:
	s_or_b64 exec, exec, s[18:19]
	v_or_b32_e32 v1, 0x200, v0
	v_cmp_gt_u32_e32 vcc, s22, v1
	s_and_saveexec_b64 s[18:19], vcc
	s_cbranch_execz .LBB368_5
; %bb.4:
	v_lshlrev_b32_e32 v1, 2, v0
	global_load_dword v3, v1, s[16:17] offset:2048
.LBB368_5:
	s_or_b64 exec, exec, s[18:19]
	v_or_b32_e32 v1, 0x400, v0
	v_cmp_gt_u32_e32 vcc, s22, v1
	s_and_saveexec_b64 s[18:19], vcc
	s_cbranch_execz .LBB368_7
; %bb.6:
	v_lshlrev_b32_e32 v1, 2, v1
	global_load_dword v4, v1, s[16:17]
.LBB368_7:
	s_or_b64 exec, exec, s[18:19]
	v_or_b32_e32 v1, 0x600, v0
	v_cmp_gt_u32_e32 vcc, s22, v1
	s_and_saveexec_b64 s[18:19], vcc
	s_cbranch_execz .LBB368_9
; %bb.8:
	v_lshlrev_b32_e32 v1, 2, v1
	global_load_dword v5, v1, s[16:17]
.LBB368_9:
	;; [unrolled: 9-line block ×3, first 2 shown]
	s_or_b64 exec, exec, s[18:19]
	v_lshlrev_b32_e32 v1, 2, v0
	s_mov_b64 s[16:17], 0
	s_waitcnt vmcnt(0)
	ds_write2st64_b32 v1, v2, v3 offset1:8
	ds_write2st64_b32 v1, v4, v5 offset0:16 offset1:24
	ds_write_b32 v1, v6 offset:8192
	s_waitcnt lgkmcnt(0)
	s_barrier
.LBB368_12:
	s_and_b64 vcc, exec, s[16:17]
	v_lshlrev_b32_e32 v1, 2, v0
	s_cbranch_vccz .LBB368_14
; %bb.13:
	s_lshl_b64 s[16:17], s[4:5], 2
	s_add_u32 s16, s20, s16
	s_addc_u32 s17, s21, s17
	v_mov_b32_e32 v2, s17
	v_add_co_u32_e32 v4, vcc, s16, v1
	v_addc_co_u32_e32 v5, vcc, 0, v2, vcc
	v_add_co_u32_e32 v2, vcc, 0x1000, v4
	v_addc_co_u32_e32 v3, vcc, 0, v5, vcc
	global_load_dword v6, v1, s[16:17]
	global_load_dword v7, v1, s[16:17] offset:2048
	global_load_dword v8, v[2:3], off
	global_load_dword v9, v[2:3], off offset:2048
	v_add_co_u32_e32 v2, vcc, 0x2000, v4
	v_addc_co_u32_e32 v3, vcc, 0, v5, vcc
	global_load_dword v2, v[2:3], off
	s_waitcnt vmcnt(3)
	ds_write2st64_b32 v1, v6, v7 offset1:8
	s_waitcnt vmcnt(1)
	ds_write2st64_b32 v1, v8, v9 offset0:16 offset1:24
	s_waitcnt vmcnt(0)
	ds_write_b32 v1, v2 offset:8192
	s_waitcnt lgkmcnt(0)
	s_barrier
.LBB368_14:
	v_mul_u32_u24_e32 v2, 5, v0
	v_lshlrev_b32_e32 v3, 2, v2
	ds_read_b32 v2, v3
	ds_read2_b32 v[20:21], v3 offset0:1 offset1:2
	ds_read2_b32 v[22:23], v3 offset0:3 offset1:4
	s_cmp_eq_u64 s[6:7], 0
	s_waitcnt lgkmcnt(0)
	s_barrier
	s_cbranch_scc1 .LBB368_19
; %bb.15:
	s_lshl_b64 s[16:17], s[4:5], 2
	s_add_u32 s5, s20, s16
	s_addc_u32 s17, s21, s17
	s_add_u32 s16, s5, -4
	s_addc_u32 s17, s17, -1
	s_load_dword s5, s[16:17], 0x0
	s_cmp_eq_u64 s[6:7], s[8:9]
	s_cbranch_scc1 .LBB368_20
; %bb.16:
	v_cmp_ne_u32_e32 vcc, 0, v0
	s_waitcnt lgkmcnt(0)
	v_mov_b32_e32 v3, s5
	ds_write_b32 v1, v23
	s_waitcnt lgkmcnt(0)
	s_barrier
	s_and_saveexec_b64 s[8:9], vcc
	s_cbranch_execz .LBB368_18
; %bb.17:
	v_add_u32_e32 v3, -4, v1
	ds_read_b32 v3, v3
.LBB368_18:
	s_or_b64 exec, exec, s[8:9]
	v_sub_u32_e32 v8, v23, v22
	v_sub_u32_e32 v9, v22, v21
	;; [unrolled: 1-line block ×4, first 2 shown]
	s_cbranch_execz .LBB368_21
	s_branch .LBB368_24
.LBB368_19:
                                        ; implicit-def: $vgpr14_vgpr15_vgpr16_vgpr17_vgpr18
                                        ; implicit-def: $vgpr10_vgpr11_vgpr12_vgpr13_vgpr14
	s_mov_b64 s[6:7], 0
                                        ; implicit-def: $vgpr6_vgpr7_vgpr8_vgpr9_vgpr10
                                        ; implicit-def: $vgpr3
                                        ; implicit-def: $vgpr4_vgpr5_vgpr6_vgpr7_vgpr8
	s_branch .LBB368_25
.LBB368_20:
                                        ; implicit-def: $vgpr14_vgpr15_vgpr16_vgpr17_vgpr18
                                        ; implicit-def: $vgpr10_vgpr11_vgpr12_vgpr13_vgpr14
                                        ; implicit-def: $vgpr3
                                        ; implicit-def: $vgpr6_vgpr7_vgpr8_vgpr9_vgpr10
                                        ; implicit-def: $vgpr4_vgpr5_vgpr6_vgpr7_vgpr8
.LBB368_21:
	s_waitcnt lgkmcnt(0)
	v_mul_u32_u24_e32 v3, 5, v0
	v_cmp_ne_u32_e32 vcc, 0, v0
	v_mov_b32_e32 v4, s5
	ds_write_b32 v1, v23
	s_waitcnt lgkmcnt(0)
	s_barrier
	s_and_saveexec_b64 s[8:9], vcc
	s_cbranch_execz .LBB368_23
; %bb.22:
	v_add_u32_e32 v4, -4, v1
	ds_read_b32 v4, v4
.LBB368_23:
	s_or_b64 exec, exec, s[8:9]
	s_mul_i32 s5, s6, 0xfffff600
	s_add_i32 s5, s5, s14
	v_add_u32_e32 v5, 4, v3
	v_sub_u32_e32 v6, v23, v22
	v_cmp_gt_u32_e32 vcc, s5, v5
	v_add_u32_e32 v5, 3, v3
	v_cndmask_b32_e32 v8, v23, v6, vcc
	v_sub_u32_e32 v6, v22, v21
	v_cmp_gt_u32_e32 vcc, s5, v5
	v_add_u32_e32 v5, 2, v3
	v_cndmask_b32_e32 v9, v22, v6, vcc
	;; [unrolled: 4-line block ×3, first 2 shown]
	v_sub_u32_e32 v6, v20, v2
	v_cmp_gt_u32_e32 vcc, s5, v5
	v_cndmask_b32_e32 v15, v20, v6, vcc
	v_cmp_gt_u32_e32 vcc, s5, v3
	s_waitcnt lgkmcnt(0)
	v_cndmask_b32_e32 v3, 0, v4, vcc
.LBB368_24:
	s_mov_b64 s[6:7], -1
	s_cbranch_execnz .LBB368_33
.LBB368_25:
	s_cmp_lg_u64 s[2:3], 1
	v_sub_u32_e32 v9, v22, v21
	v_sub_u32_e32 v8, v23, v22
	;; [unrolled: 1-line block ×4, first 2 shown]
	v_cmp_ne_u32_e32 vcc, 0, v0
	s_cbranch_scc0 .LBB368_29
; %bb.26:
	ds_write_b32 v1, v23
	s_waitcnt lgkmcnt(0)
	s_barrier
	s_waitcnt lgkmcnt(0)
                                        ; implicit-def: $vgpr3
	s_and_saveexec_b64 s[2:3], vcc
	s_cbranch_execz .LBB368_28
; %bb.27:
	v_add_u32_e32 v3, -4, v1
	ds_read_b32 v3, v3
	s_or_b64 s[6:7], s[6:7], exec
.LBB368_28:
	s_or_b64 exec, exec, s[2:3]
	s_branch .LBB368_33
.LBB368_29:
                                        ; implicit-def: $vgpr3
	s_cbranch_execz .LBB368_33
; %bb.30:
	v_mad_u32_u24 v4, v0, 5, 4
	v_cmp_gt_u32_e32 vcc, s14, v4
	v_mad_u32_u24 v4, v0, 5, 3
	v_cndmask_b32_e32 v8, v23, v8, vcc
	v_cmp_gt_u32_e32 vcc, s14, v4
	v_mad_u32_u24 v4, v0, 5, 2
	v_cndmask_b32_e32 v9, v22, v9, vcc
	v_cmp_gt_u32_e32 vcc, s14, v4
	v_mad_u32_u24 v4, v0, 5, 1
	s_waitcnt lgkmcnt(0)
	v_mul_u32_u24_e32 v3, 5, v0
	v_cndmask_b32_e32 v12, v21, v12, vcc
	v_cmp_gt_u32_e32 vcc, s14, v4
	v_cndmask_b32_e32 v15, v20, v15, vcc
	v_cmp_ne_u32_e32 vcc, 0, v0
	v_cmp_gt_u32_e64 s[2:3], s14, v3
	s_and_b64 s[8:9], vcc, s[2:3]
	ds_write_b32 v1, v23
	s_waitcnt lgkmcnt(0)
	s_barrier
	s_waitcnt lgkmcnt(0)
                                        ; implicit-def: $vgpr3
	s_and_saveexec_b64 s[2:3], s[8:9]
	s_cbranch_execz .LBB368_32
; %bb.31:
	v_add_u32_e32 v3, -4, v1
	ds_read_b32 v3, v3
	s_or_b64 s[6:7], s[6:7], exec
.LBB368_32:
	s_or_b64 exec, exec, s[2:3]
.LBB368_33:
	s_and_saveexec_b64 s[2:3], s[6:7]
	s_cbranch_execz .LBB368_35
; %bb.34:
	s_waitcnt lgkmcnt(0)
	v_sub_u32_e32 v2, v2, v3
.LBB368_35:
	s_or_b64 exec, exec, s[2:3]
	s_add_u32 s6, s12, s10
	s_addc_u32 s7, s13, s11
	s_and_b64 vcc, exec, s[0:1]
	s_waitcnt lgkmcnt(0)
	v_mul_u32_u24_e32 v3, 20, v0
	v_lshlrev_b32_e32 v13, 4, v0
	s_barrier
	s_cbranch_vccz .LBB368_45
; %bb.36:
	s_mov_b32 s5, 0
	s_add_i32 s15, s15, s14
	s_lshl_b64 s[0:1], s[4:5], 2
	v_sub_u32_e32 v4, v3, v13
	s_add_u32 s0, s6, s0
	ds_write2_b32 v3, v2, v15 offset1:1
	ds_write2_b32 v3, v12, v9 offset0:2 offset1:3
	ds_write_b32 v3, v8 offset:16
	s_waitcnt lgkmcnt(0)
	s_barrier
	ds_read2st64_b32 v[10:11], v4 offset0:8 offset1:16
	ds_read2st64_b32 v[4:5], v4 offset0:24 offset1:32
	s_addc_u32 s1, s7, s1
	v_mov_b32_e32 v7, s1
	v_add_co_u32_e32 v6, vcc, s0, v1
	v_addc_co_u32_e32 v7, vcc, 0, v7, vcc
	v_cmp_gt_u32_e32 vcc, s15, v0
	s_and_saveexec_b64 s[0:1], vcc
	s_cbranch_execz .LBB368_38
; %bb.37:
	v_sub_u32_e32 v14, 0, v13
	v_add_u32_e32 v14, v3, v14
	ds_read_b32 v14, v14
	s_waitcnt lgkmcnt(0)
	global_store_dword v[6:7], v14, off
.LBB368_38:
	s_or_b64 exec, exec, s[0:1]
	v_or_b32_e32 v14, 0x200, v0
	v_cmp_gt_u32_e32 vcc, s15, v14
	s_and_saveexec_b64 s[0:1], vcc
	s_cbranch_execz .LBB368_40
; %bb.39:
	s_waitcnt lgkmcnt(1)
	global_store_dword v[6:7], v10, off offset:2048
.LBB368_40:
	s_or_b64 exec, exec, s[0:1]
	s_waitcnt lgkmcnt(1)
	v_or_b32_e32 v10, 0x400, v0
	v_cmp_gt_u32_e32 vcc, s15, v10
	s_and_saveexec_b64 s[0:1], vcc
	s_cbranch_execz .LBB368_42
; %bb.41:
	v_add_co_u32_e32 v16, vcc, 0x1000, v6
	v_addc_co_u32_e32 v17, vcc, 0, v7, vcc
	global_store_dword v[16:17], v11, off
.LBB368_42:
	s_or_b64 exec, exec, s[0:1]
	v_or_b32_e32 v10, 0x600, v0
	v_cmp_gt_u32_e32 vcc, s15, v10
	s_and_saveexec_b64 s[0:1], vcc
	s_cbranch_execz .LBB368_44
; %bb.43:
	v_add_co_u32_e32 v10, vcc, 0x1000, v6
	v_addc_co_u32_e32 v11, vcc, 0, v7, vcc
	s_waitcnt lgkmcnt(0)
	global_store_dword v[10:11], v4, off offset:2048
.LBB368_44:
	s_or_b64 exec, exec, s[0:1]
	v_or_b32_e32 v0, 0x800, v0
	v_cmp_gt_u32_e64 s[0:1], s15, v0
	s_branch .LBB368_47
.LBB368_45:
	s_mov_b64 s[0:1], 0
                                        ; implicit-def: $vgpr5
                                        ; implicit-def: $vgpr6_vgpr7
	s_cbranch_execz .LBB368_47
; %bb.46:
	s_mov_b32 s5, 0
	s_lshl_b64 s[2:3], s[4:5], 2
	s_add_u32 s2, s6, s2
	s_addc_u32 s3, s7, s3
	v_sub_u32_e32 v0, v3, v13
	ds_write2_b32 v3, v2, v15 offset1:1
	ds_write2_b32 v3, v12, v9 offset0:2 offset1:3
	ds_write_b32 v3, v8 offset:16
	s_waitcnt lgkmcnt(0)
	s_barrier
	ds_read2st64_b32 v[2:3], v0 offset1:8
	ds_read2st64_b32 v[8:9], v0 offset0:16 offset1:24
	ds_read_b32 v5, v0 offset:8192
	v_mov_b32_e32 v0, s3
	v_add_co_u32_e32 v6, vcc, s2, v1
	v_addc_co_u32_e32 v7, vcc, 0, v0, vcc
	v_add_co_u32_e32 v0, vcc, 0x1000, v6
	s_waitcnt lgkmcnt(2)
	global_store_dword v1, v2, s[2:3]
	global_store_dword v1, v3, s[2:3] offset:2048
	v_addc_co_u32_e32 v1, vcc, 0, v7, vcc
	s_or_b64 s[0:1], s[0:1], exec
	s_waitcnt lgkmcnt(1)
	global_store_dword v[0:1], v8, off
	global_store_dword v[0:1], v9, off offset:2048
.LBB368_47:
	s_and_saveexec_b64 s[2:3], s[0:1]
	s_cbranch_execnz .LBB368_49
; %bb.48:
	s_endpgm
.LBB368_49:
	v_add_co_u32_e32 v0, vcc, 0x2000, v6
	v_addc_co_u32_e32 v1, vcc, 0, v7, vcc
	s_waitcnt lgkmcnt(0)
	global_store_dword v[0:1], v5, off
	s_endpgm
	.section	.rodata,"a",@progbits
	.p2align	6, 0x0
	.amdhsa_kernel _ZN7rocprim17ROCPRIM_400000_NS6detail17trampoline_kernelINS0_14default_configENS1_35adjacent_difference_config_selectorILb0EjEEZNS1_24adjacent_difference_implIS3_Lb0ELb0EPjS7_N6thrust23THRUST_200600_302600_NS5minusIjEEEE10hipError_tPvRmT2_T3_mT4_P12ihipStream_tbEUlT_E_NS1_11comp_targetILNS1_3genE4ELNS1_11target_archE910ELNS1_3gpuE8ELNS1_3repE0EEENS1_30default_config_static_selectorELNS0_4arch9wavefront6targetE1EEEvT1_
		.amdhsa_group_segment_fixed_size 10240
		.amdhsa_private_segment_fixed_size 0
		.amdhsa_kernarg_size 56
		.amdhsa_user_sgpr_count 6
		.amdhsa_user_sgpr_private_segment_buffer 1
		.amdhsa_user_sgpr_dispatch_ptr 0
		.amdhsa_user_sgpr_queue_ptr 0
		.amdhsa_user_sgpr_kernarg_segment_ptr 1
		.amdhsa_user_sgpr_dispatch_id 0
		.amdhsa_user_sgpr_flat_scratch_init 0
		.amdhsa_user_sgpr_kernarg_preload_length 0
		.amdhsa_user_sgpr_kernarg_preload_offset 0
		.amdhsa_user_sgpr_private_segment_size 0
		.amdhsa_uses_dynamic_stack 0
		.amdhsa_system_sgpr_private_segment_wavefront_offset 0
		.amdhsa_system_sgpr_workgroup_id_x 1
		.amdhsa_system_sgpr_workgroup_id_y 0
		.amdhsa_system_sgpr_workgroup_id_z 0
		.amdhsa_system_sgpr_workgroup_info 0
		.amdhsa_system_vgpr_workitem_id 0
		.amdhsa_next_free_vgpr 24
		.amdhsa_next_free_sgpr 23
		.amdhsa_accum_offset 24
		.amdhsa_reserve_vcc 1
		.amdhsa_reserve_flat_scratch 0
		.amdhsa_float_round_mode_32 0
		.amdhsa_float_round_mode_16_64 0
		.amdhsa_float_denorm_mode_32 3
		.amdhsa_float_denorm_mode_16_64 3
		.amdhsa_dx10_clamp 1
		.amdhsa_ieee_mode 1
		.amdhsa_fp16_overflow 0
		.amdhsa_tg_split 0
		.amdhsa_exception_fp_ieee_invalid_op 0
		.amdhsa_exception_fp_denorm_src 0
		.amdhsa_exception_fp_ieee_div_zero 0
		.amdhsa_exception_fp_ieee_overflow 0
		.amdhsa_exception_fp_ieee_underflow 0
		.amdhsa_exception_fp_ieee_inexact 0
		.amdhsa_exception_int_div_zero 0
	.end_amdhsa_kernel
	.section	.text._ZN7rocprim17ROCPRIM_400000_NS6detail17trampoline_kernelINS0_14default_configENS1_35adjacent_difference_config_selectorILb0EjEEZNS1_24adjacent_difference_implIS3_Lb0ELb0EPjS7_N6thrust23THRUST_200600_302600_NS5minusIjEEEE10hipError_tPvRmT2_T3_mT4_P12ihipStream_tbEUlT_E_NS1_11comp_targetILNS1_3genE4ELNS1_11target_archE910ELNS1_3gpuE8ELNS1_3repE0EEENS1_30default_config_static_selectorELNS0_4arch9wavefront6targetE1EEEvT1_,"axG",@progbits,_ZN7rocprim17ROCPRIM_400000_NS6detail17trampoline_kernelINS0_14default_configENS1_35adjacent_difference_config_selectorILb0EjEEZNS1_24adjacent_difference_implIS3_Lb0ELb0EPjS7_N6thrust23THRUST_200600_302600_NS5minusIjEEEE10hipError_tPvRmT2_T3_mT4_P12ihipStream_tbEUlT_E_NS1_11comp_targetILNS1_3genE4ELNS1_11target_archE910ELNS1_3gpuE8ELNS1_3repE0EEENS1_30default_config_static_selectorELNS0_4arch9wavefront6targetE1EEEvT1_,comdat
.Lfunc_end368:
	.size	_ZN7rocprim17ROCPRIM_400000_NS6detail17trampoline_kernelINS0_14default_configENS1_35adjacent_difference_config_selectorILb0EjEEZNS1_24adjacent_difference_implIS3_Lb0ELb0EPjS7_N6thrust23THRUST_200600_302600_NS5minusIjEEEE10hipError_tPvRmT2_T3_mT4_P12ihipStream_tbEUlT_E_NS1_11comp_targetILNS1_3genE4ELNS1_11target_archE910ELNS1_3gpuE8ELNS1_3repE0EEENS1_30default_config_static_selectorELNS0_4arch9wavefront6targetE1EEEvT1_, .Lfunc_end368-_ZN7rocprim17ROCPRIM_400000_NS6detail17trampoline_kernelINS0_14default_configENS1_35adjacent_difference_config_selectorILb0EjEEZNS1_24adjacent_difference_implIS3_Lb0ELb0EPjS7_N6thrust23THRUST_200600_302600_NS5minusIjEEEE10hipError_tPvRmT2_T3_mT4_P12ihipStream_tbEUlT_E_NS1_11comp_targetILNS1_3genE4ELNS1_11target_archE910ELNS1_3gpuE8ELNS1_3repE0EEENS1_30default_config_static_selectorELNS0_4arch9wavefront6targetE1EEEvT1_
                                        ; -- End function
	.section	.AMDGPU.csdata,"",@progbits
; Kernel info:
; codeLenInByte = 1944
; NumSgprs: 27
; NumVgprs: 24
; NumAgprs: 0
; TotalNumVgprs: 24
; ScratchSize: 0
; MemoryBound: 0
; FloatMode: 240
; IeeeMode: 1
; LDSByteSize: 10240 bytes/workgroup (compile time only)
; SGPRBlocks: 3
; VGPRBlocks: 2
; NumSGPRsForWavesPerEU: 27
; NumVGPRsForWavesPerEU: 24
; AccumOffset: 24
; Occupancy: 8
; WaveLimiterHint : 1
; COMPUTE_PGM_RSRC2:SCRATCH_EN: 0
; COMPUTE_PGM_RSRC2:USER_SGPR: 6
; COMPUTE_PGM_RSRC2:TRAP_HANDLER: 0
; COMPUTE_PGM_RSRC2:TGID_X_EN: 1
; COMPUTE_PGM_RSRC2:TGID_Y_EN: 0
; COMPUTE_PGM_RSRC2:TGID_Z_EN: 0
; COMPUTE_PGM_RSRC2:TIDIG_COMP_CNT: 0
; COMPUTE_PGM_RSRC3_GFX90A:ACCUM_OFFSET: 5
; COMPUTE_PGM_RSRC3_GFX90A:TG_SPLIT: 0
	.section	.text._ZN7rocprim17ROCPRIM_400000_NS6detail17trampoline_kernelINS0_14default_configENS1_35adjacent_difference_config_selectorILb0EjEEZNS1_24adjacent_difference_implIS3_Lb0ELb0EPjS7_N6thrust23THRUST_200600_302600_NS5minusIjEEEE10hipError_tPvRmT2_T3_mT4_P12ihipStream_tbEUlT_E_NS1_11comp_targetILNS1_3genE3ELNS1_11target_archE908ELNS1_3gpuE7ELNS1_3repE0EEENS1_30default_config_static_selectorELNS0_4arch9wavefront6targetE1EEEvT1_,"axG",@progbits,_ZN7rocprim17ROCPRIM_400000_NS6detail17trampoline_kernelINS0_14default_configENS1_35adjacent_difference_config_selectorILb0EjEEZNS1_24adjacent_difference_implIS3_Lb0ELb0EPjS7_N6thrust23THRUST_200600_302600_NS5minusIjEEEE10hipError_tPvRmT2_T3_mT4_P12ihipStream_tbEUlT_E_NS1_11comp_targetILNS1_3genE3ELNS1_11target_archE908ELNS1_3gpuE7ELNS1_3repE0EEENS1_30default_config_static_selectorELNS0_4arch9wavefront6targetE1EEEvT1_,comdat
	.protected	_ZN7rocprim17ROCPRIM_400000_NS6detail17trampoline_kernelINS0_14default_configENS1_35adjacent_difference_config_selectorILb0EjEEZNS1_24adjacent_difference_implIS3_Lb0ELb0EPjS7_N6thrust23THRUST_200600_302600_NS5minusIjEEEE10hipError_tPvRmT2_T3_mT4_P12ihipStream_tbEUlT_E_NS1_11comp_targetILNS1_3genE3ELNS1_11target_archE908ELNS1_3gpuE7ELNS1_3repE0EEENS1_30default_config_static_selectorELNS0_4arch9wavefront6targetE1EEEvT1_ ; -- Begin function _ZN7rocprim17ROCPRIM_400000_NS6detail17trampoline_kernelINS0_14default_configENS1_35adjacent_difference_config_selectorILb0EjEEZNS1_24adjacent_difference_implIS3_Lb0ELb0EPjS7_N6thrust23THRUST_200600_302600_NS5minusIjEEEE10hipError_tPvRmT2_T3_mT4_P12ihipStream_tbEUlT_E_NS1_11comp_targetILNS1_3genE3ELNS1_11target_archE908ELNS1_3gpuE7ELNS1_3repE0EEENS1_30default_config_static_selectorELNS0_4arch9wavefront6targetE1EEEvT1_
	.globl	_ZN7rocprim17ROCPRIM_400000_NS6detail17trampoline_kernelINS0_14default_configENS1_35adjacent_difference_config_selectorILb0EjEEZNS1_24adjacent_difference_implIS3_Lb0ELb0EPjS7_N6thrust23THRUST_200600_302600_NS5minusIjEEEE10hipError_tPvRmT2_T3_mT4_P12ihipStream_tbEUlT_E_NS1_11comp_targetILNS1_3genE3ELNS1_11target_archE908ELNS1_3gpuE7ELNS1_3repE0EEENS1_30default_config_static_selectorELNS0_4arch9wavefront6targetE1EEEvT1_
	.p2align	8
	.type	_ZN7rocprim17ROCPRIM_400000_NS6detail17trampoline_kernelINS0_14default_configENS1_35adjacent_difference_config_selectorILb0EjEEZNS1_24adjacent_difference_implIS3_Lb0ELb0EPjS7_N6thrust23THRUST_200600_302600_NS5minusIjEEEE10hipError_tPvRmT2_T3_mT4_P12ihipStream_tbEUlT_E_NS1_11comp_targetILNS1_3genE3ELNS1_11target_archE908ELNS1_3gpuE7ELNS1_3repE0EEENS1_30default_config_static_selectorELNS0_4arch9wavefront6targetE1EEEvT1_,@function
_ZN7rocprim17ROCPRIM_400000_NS6detail17trampoline_kernelINS0_14default_configENS1_35adjacent_difference_config_selectorILb0EjEEZNS1_24adjacent_difference_implIS3_Lb0ELb0EPjS7_N6thrust23THRUST_200600_302600_NS5minusIjEEEE10hipError_tPvRmT2_T3_mT4_P12ihipStream_tbEUlT_E_NS1_11comp_targetILNS1_3genE3ELNS1_11target_archE908ELNS1_3gpuE7ELNS1_3repE0EEENS1_30default_config_static_selectorELNS0_4arch9wavefront6targetE1EEEvT1_: ; @_ZN7rocprim17ROCPRIM_400000_NS6detail17trampoline_kernelINS0_14default_configENS1_35adjacent_difference_config_selectorILb0EjEEZNS1_24adjacent_difference_implIS3_Lb0ELb0EPjS7_N6thrust23THRUST_200600_302600_NS5minusIjEEEE10hipError_tPvRmT2_T3_mT4_P12ihipStream_tbEUlT_E_NS1_11comp_targetILNS1_3genE3ELNS1_11target_archE908ELNS1_3gpuE7ELNS1_3repE0EEENS1_30default_config_static_selectorELNS0_4arch9wavefront6targetE1EEEvT1_
; %bb.0:
	.section	.rodata,"a",@progbits
	.p2align	6, 0x0
	.amdhsa_kernel _ZN7rocprim17ROCPRIM_400000_NS6detail17trampoline_kernelINS0_14default_configENS1_35adjacent_difference_config_selectorILb0EjEEZNS1_24adjacent_difference_implIS3_Lb0ELb0EPjS7_N6thrust23THRUST_200600_302600_NS5minusIjEEEE10hipError_tPvRmT2_T3_mT4_P12ihipStream_tbEUlT_E_NS1_11comp_targetILNS1_3genE3ELNS1_11target_archE908ELNS1_3gpuE7ELNS1_3repE0EEENS1_30default_config_static_selectorELNS0_4arch9wavefront6targetE1EEEvT1_
		.amdhsa_group_segment_fixed_size 0
		.amdhsa_private_segment_fixed_size 0
		.amdhsa_kernarg_size 56
		.amdhsa_user_sgpr_count 6
		.amdhsa_user_sgpr_private_segment_buffer 1
		.amdhsa_user_sgpr_dispatch_ptr 0
		.amdhsa_user_sgpr_queue_ptr 0
		.amdhsa_user_sgpr_kernarg_segment_ptr 1
		.amdhsa_user_sgpr_dispatch_id 0
		.amdhsa_user_sgpr_flat_scratch_init 0
		.amdhsa_user_sgpr_kernarg_preload_length 0
		.amdhsa_user_sgpr_kernarg_preload_offset 0
		.amdhsa_user_sgpr_private_segment_size 0
		.amdhsa_uses_dynamic_stack 0
		.amdhsa_system_sgpr_private_segment_wavefront_offset 0
		.amdhsa_system_sgpr_workgroup_id_x 1
		.amdhsa_system_sgpr_workgroup_id_y 0
		.amdhsa_system_sgpr_workgroup_id_z 0
		.amdhsa_system_sgpr_workgroup_info 0
		.amdhsa_system_vgpr_workitem_id 0
		.amdhsa_next_free_vgpr 1
		.amdhsa_next_free_sgpr 0
		.amdhsa_accum_offset 4
		.amdhsa_reserve_vcc 0
		.amdhsa_reserve_flat_scratch 0
		.amdhsa_float_round_mode_32 0
		.amdhsa_float_round_mode_16_64 0
		.amdhsa_float_denorm_mode_32 3
		.amdhsa_float_denorm_mode_16_64 3
		.amdhsa_dx10_clamp 1
		.amdhsa_ieee_mode 1
		.amdhsa_fp16_overflow 0
		.amdhsa_tg_split 0
		.amdhsa_exception_fp_ieee_invalid_op 0
		.amdhsa_exception_fp_denorm_src 0
		.amdhsa_exception_fp_ieee_div_zero 0
		.amdhsa_exception_fp_ieee_overflow 0
		.amdhsa_exception_fp_ieee_underflow 0
		.amdhsa_exception_fp_ieee_inexact 0
		.amdhsa_exception_int_div_zero 0
	.end_amdhsa_kernel
	.section	.text._ZN7rocprim17ROCPRIM_400000_NS6detail17trampoline_kernelINS0_14default_configENS1_35adjacent_difference_config_selectorILb0EjEEZNS1_24adjacent_difference_implIS3_Lb0ELb0EPjS7_N6thrust23THRUST_200600_302600_NS5minusIjEEEE10hipError_tPvRmT2_T3_mT4_P12ihipStream_tbEUlT_E_NS1_11comp_targetILNS1_3genE3ELNS1_11target_archE908ELNS1_3gpuE7ELNS1_3repE0EEENS1_30default_config_static_selectorELNS0_4arch9wavefront6targetE1EEEvT1_,"axG",@progbits,_ZN7rocprim17ROCPRIM_400000_NS6detail17trampoline_kernelINS0_14default_configENS1_35adjacent_difference_config_selectorILb0EjEEZNS1_24adjacent_difference_implIS3_Lb0ELb0EPjS7_N6thrust23THRUST_200600_302600_NS5minusIjEEEE10hipError_tPvRmT2_T3_mT4_P12ihipStream_tbEUlT_E_NS1_11comp_targetILNS1_3genE3ELNS1_11target_archE908ELNS1_3gpuE7ELNS1_3repE0EEENS1_30default_config_static_selectorELNS0_4arch9wavefront6targetE1EEEvT1_,comdat
.Lfunc_end369:
	.size	_ZN7rocprim17ROCPRIM_400000_NS6detail17trampoline_kernelINS0_14default_configENS1_35adjacent_difference_config_selectorILb0EjEEZNS1_24adjacent_difference_implIS3_Lb0ELb0EPjS7_N6thrust23THRUST_200600_302600_NS5minusIjEEEE10hipError_tPvRmT2_T3_mT4_P12ihipStream_tbEUlT_E_NS1_11comp_targetILNS1_3genE3ELNS1_11target_archE908ELNS1_3gpuE7ELNS1_3repE0EEENS1_30default_config_static_selectorELNS0_4arch9wavefront6targetE1EEEvT1_, .Lfunc_end369-_ZN7rocprim17ROCPRIM_400000_NS6detail17trampoline_kernelINS0_14default_configENS1_35adjacent_difference_config_selectorILb0EjEEZNS1_24adjacent_difference_implIS3_Lb0ELb0EPjS7_N6thrust23THRUST_200600_302600_NS5minusIjEEEE10hipError_tPvRmT2_T3_mT4_P12ihipStream_tbEUlT_E_NS1_11comp_targetILNS1_3genE3ELNS1_11target_archE908ELNS1_3gpuE7ELNS1_3repE0EEENS1_30default_config_static_selectorELNS0_4arch9wavefront6targetE1EEEvT1_
                                        ; -- End function
	.section	.AMDGPU.csdata,"",@progbits
; Kernel info:
; codeLenInByte = 0
; NumSgprs: 4
; NumVgprs: 0
; NumAgprs: 0
; TotalNumVgprs: 0
; ScratchSize: 0
; MemoryBound: 0
; FloatMode: 240
; IeeeMode: 1
; LDSByteSize: 0 bytes/workgroup (compile time only)
; SGPRBlocks: 0
; VGPRBlocks: 0
; NumSGPRsForWavesPerEU: 4
; NumVGPRsForWavesPerEU: 1
; AccumOffset: 4
; Occupancy: 8
; WaveLimiterHint : 0
; COMPUTE_PGM_RSRC2:SCRATCH_EN: 0
; COMPUTE_PGM_RSRC2:USER_SGPR: 6
; COMPUTE_PGM_RSRC2:TRAP_HANDLER: 0
; COMPUTE_PGM_RSRC2:TGID_X_EN: 1
; COMPUTE_PGM_RSRC2:TGID_Y_EN: 0
; COMPUTE_PGM_RSRC2:TGID_Z_EN: 0
; COMPUTE_PGM_RSRC2:TIDIG_COMP_CNT: 0
; COMPUTE_PGM_RSRC3_GFX90A:ACCUM_OFFSET: 0
; COMPUTE_PGM_RSRC3_GFX90A:TG_SPLIT: 0
	.section	.text._ZN7rocprim17ROCPRIM_400000_NS6detail17trampoline_kernelINS0_14default_configENS1_35adjacent_difference_config_selectorILb0EjEEZNS1_24adjacent_difference_implIS3_Lb0ELb0EPjS7_N6thrust23THRUST_200600_302600_NS5minusIjEEEE10hipError_tPvRmT2_T3_mT4_P12ihipStream_tbEUlT_E_NS1_11comp_targetILNS1_3genE2ELNS1_11target_archE906ELNS1_3gpuE6ELNS1_3repE0EEENS1_30default_config_static_selectorELNS0_4arch9wavefront6targetE1EEEvT1_,"axG",@progbits,_ZN7rocprim17ROCPRIM_400000_NS6detail17trampoline_kernelINS0_14default_configENS1_35adjacent_difference_config_selectorILb0EjEEZNS1_24adjacent_difference_implIS3_Lb0ELb0EPjS7_N6thrust23THRUST_200600_302600_NS5minusIjEEEE10hipError_tPvRmT2_T3_mT4_P12ihipStream_tbEUlT_E_NS1_11comp_targetILNS1_3genE2ELNS1_11target_archE906ELNS1_3gpuE6ELNS1_3repE0EEENS1_30default_config_static_selectorELNS0_4arch9wavefront6targetE1EEEvT1_,comdat
	.protected	_ZN7rocprim17ROCPRIM_400000_NS6detail17trampoline_kernelINS0_14default_configENS1_35adjacent_difference_config_selectorILb0EjEEZNS1_24adjacent_difference_implIS3_Lb0ELb0EPjS7_N6thrust23THRUST_200600_302600_NS5minusIjEEEE10hipError_tPvRmT2_T3_mT4_P12ihipStream_tbEUlT_E_NS1_11comp_targetILNS1_3genE2ELNS1_11target_archE906ELNS1_3gpuE6ELNS1_3repE0EEENS1_30default_config_static_selectorELNS0_4arch9wavefront6targetE1EEEvT1_ ; -- Begin function _ZN7rocprim17ROCPRIM_400000_NS6detail17trampoline_kernelINS0_14default_configENS1_35adjacent_difference_config_selectorILb0EjEEZNS1_24adjacent_difference_implIS3_Lb0ELb0EPjS7_N6thrust23THRUST_200600_302600_NS5minusIjEEEE10hipError_tPvRmT2_T3_mT4_P12ihipStream_tbEUlT_E_NS1_11comp_targetILNS1_3genE2ELNS1_11target_archE906ELNS1_3gpuE6ELNS1_3repE0EEENS1_30default_config_static_selectorELNS0_4arch9wavefront6targetE1EEEvT1_
	.globl	_ZN7rocprim17ROCPRIM_400000_NS6detail17trampoline_kernelINS0_14default_configENS1_35adjacent_difference_config_selectorILb0EjEEZNS1_24adjacent_difference_implIS3_Lb0ELb0EPjS7_N6thrust23THRUST_200600_302600_NS5minusIjEEEE10hipError_tPvRmT2_T3_mT4_P12ihipStream_tbEUlT_E_NS1_11comp_targetILNS1_3genE2ELNS1_11target_archE906ELNS1_3gpuE6ELNS1_3repE0EEENS1_30default_config_static_selectorELNS0_4arch9wavefront6targetE1EEEvT1_
	.p2align	8
	.type	_ZN7rocprim17ROCPRIM_400000_NS6detail17trampoline_kernelINS0_14default_configENS1_35adjacent_difference_config_selectorILb0EjEEZNS1_24adjacent_difference_implIS3_Lb0ELb0EPjS7_N6thrust23THRUST_200600_302600_NS5minusIjEEEE10hipError_tPvRmT2_T3_mT4_P12ihipStream_tbEUlT_E_NS1_11comp_targetILNS1_3genE2ELNS1_11target_archE906ELNS1_3gpuE6ELNS1_3repE0EEENS1_30default_config_static_selectorELNS0_4arch9wavefront6targetE1EEEvT1_,@function
_ZN7rocprim17ROCPRIM_400000_NS6detail17trampoline_kernelINS0_14default_configENS1_35adjacent_difference_config_selectorILb0EjEEZNS1_24adjacent_difference_implIS3_Lb0ELb0EPjS7_N6thrust23THRUST_200600_302600_NS5minusIjEEEE10hipError_tPvRmT2_T3_mT4_P12ihipStream_tbEUlT_E_NS1_11comp_targetILNS1_3genE2ELNS1_11target_archE906ELNS1_3gpuE6ELNS1_3repE0EEENS1_30default_config_static_selectorELNS0_4arch9wavefront6targetE1EEEvT1_: ; @_ZN7rocprim17ROCPRIM_400000_NS6detail17trampoline_kernelINS0_14default_configENS1_35adjacent_difference_config_selectorILb0EjEEZNS1_24adjacent_difference_implIS3_Lb0ELb0EPjS7_N6thrust23THRUST_200600_302600_NS5minusIjEEEE10hipError_tPvRmT2_T3_mT4_P12ihipStream_tbEUlT_E_NS1_11comp_targetILNS1_3genE2ELNS1_11target_archE906ELNS1_3gpuE6ELNS1_3repE0EEENS1_30default_config_static_selectorELNS0_4arch9wavefront6targetE1EEEvT1_
; %bb.0:
	.section	.rodata,"a",@progbits
	.p2align	6, 0x0
	.amdhsa_kernel _ZN7rocprim17ROCPRIM_400000_NS6detail17trampoline_kernelINS0_14default_configENS1_35adjacent_difference_config_selectorILb0EjEEZNS1_24adjacent_difference_implIS3_Lb0ELb0EPjS7_N6thrust23THRUST_200600_302600_NS5minusIjEEEE10hipError_tPvRmT2_T3_mT4_P12ihipStream_tbEUlT_E_NS1_11comp_targetILNS1_3genE2ELNS1_11target_archE906ELNS1_3gpuE6ELNS1_3repE0EEENS1_30default_config_static_selectorELNS0_4arch9wavefront6targetE1EEEvT1_
		.amdhsa_group_segment_fixed_size 0
		.amdhsa_private_segment_fixed_size 0
		.amdhsa_kernarg_size 56
		.amdhsa_user_sgpr_count 6
		.amdhsa_user_sgpr_private_segment_buffer 1
		.amdhsa_user_sgpr_dispatch_ptr 0
		.amdhsa_user_sgpr_queue_ptr 0
		.amdhsa_user_sgpr_kernarg_segment_ptr 1
		.amdhsa_user_sgpr_dispatch_id 0
		.amdhsa_user_sgpr_flat_scratch_init 0
		.amdhsa_user_sgpr_kernarg_preload_length 0
		.amdhsa_user_sgpr_kernarg_preload_offset 0
		.amdhsa_user_sgpr_private_segment_size 0
		.amdhsa_uses_dynamic_stack 0
		.amdhsa_system_sgpr_private_segment_wavefront_offset 0
		.amdhsa_system_sgpr_workgroup_id_x 1
		.amdhsa_system_sgpr_workgroup_id_y 0
		.amdhsa_system_sgpr_workgroup_id_z 0
		.amdhsa_system_sgpr_workgroup_info 0
		.amdhsa_system_vgpr_workitem_id 0
		.amdhsa_next_free_vgpr 1
		.amdhsa_next_free_sgpr 0
		.amdhsa_accum_offset 4
		.amdhsa_reserve_vcc 0
		.amdhsa_reserve_flat_scratch 0
		.amdhsa_float_round_mode_32 0
		.amdhsa_float_round_mode_16_64 0
		.amdhsa_float_denorm_mode_32 3
		.amdhsa_float_denorm_mode_16_64 3
		.amdhsa_dx10_clamp 1
		.amdhsa_ieee_mode 1
		.amdhsa_fp16_overflow 0
		.amdhsa_tg_split 0
		.amdhsa_exception_fp_ieee_invalid_op 0
		.amdhsa_exception_fp_denorm_src 0
		.amdhsa_exception_fp_ieee_div_zero 0
		.amdhsa_exception_fp_ieee_overflow 0
		.amdhsa_exception_fp_ieee_underflow 0
		.amdhsa_exception_fp_ieee_inexact 0
		.amdhsa_exception_int_div_zero 0
	.end_amdhsa_kernel
	.section	.text._ZN7rocprim17ROCPRIM_400000_NS6detail17trampoline_kernelINS0_14default_configENS1_35adjacent_difference_config_selectorILb0EjEEZNS1_24adjacent_difference_implIS3_Lb0ELb0EPjS7_N6thrust23THRUST_200600_302600_NS5minusIjEEEE10hipError_tPvRmT2_T3_mT4_P12ihipStream_tbEUlT_E_NS1_11comp_targetILNS1_3genE2ELNS1_11target_archE906ELNS1_3gpuE6ELNS1_3repE0EEENS1_30default_config_static_selectorELNS0_4arch9wavefront6targetE1EEEvT1_,"axG",@progbits,_ZN7rocprim17ROCPRIM_400000_NS6detail17trampoline_kernelINS0_14default_configENS1_35adjacent_difference_config_selectorILb0EjEEZNS1_24adjacent_difference_implIS3_Lb0ELb0EPjS7_N6thrust23THRUST_200600_302600_NS5minusIjEEEE10hipError_tPvRmT2_T3_mT4_P12ihipStream_tbEUlT_E_NS1_11comp_targetILNS1_3genE2ELNS1_11target_archE906ELNS1_3gpuE6ELNS1_3repE0EEENS1_30default_config_static_selectorELNS0_4arch9wavefront6targetE1EEEvT1_,comdat
.Lfunc_end370:
	.size	_ZN7rocprim17ROCPRIM_400000_NS6detail17trampoline_kernelINS0_14default_configENS1_35adjacent_difference_config_selectorILb0EjEEZNS1_24adjacent_difference_implIS3_Lb0ELb0EPjS7_N6thrust23THRUST_200600_302600_NS5minusIjEEEE10hipError_tPvRmT2_T3_mT4_P12ihipStream_tbEUlT_E_NS1_11comp_targetILNS1_3genE2ELNS1_11target_archE906ELNS1_3gpuE6ELNS1_3repE0EEENS1_30default_config_static_selectorELNS0_4arch9wavefront6targetE1EEEvT1_, .Lfunc_end370-_ZN7rocprim17ROCPRIM_400000_NS6detail17trampoline_kernelINS0_14default_configENS1_35adjacent_difference_config_selectorILb0EjEEZNS1_24adjacent_difference_implIS3_Lb0ELb0EPjS7_N6thrust23THRUST_200600_302600_NS5minusIjEEEE10hipError_tPvRmT2_T3_mT4_P12ihipStream_tbEUlT_E_NS1_11comp_targetILNS1_3genE2ELNS1_11target_archE906ELNS1_3gpuE6ELNS1_3repE0EEENS1_30default_config_static_selectorELNS0_4arch9wavefront6targetE1EEEvT1_
                                        ; -- End function
	.section	.AMDGPU.csdata,"",@progbits
; Kernel info:
; codeLenInByte = 0
; NumSgprs: 4
; NumVgprs: 0
; NumAgprs: 0
; TotalNumVgprs: 0
; ScratchSize: 0
; MemoryBound: 0
; FloatMode: 240
; IeeeMode: 1
; LDSByteSize: 0 bytes/workgroup (compile time only)
; SGPRBlocks: 0
; VGPRBlocks: 0
; NumSGPRsForWavesPerEU: 4
; NumVGPRsForWavesPerEU: 1
; AccumOffset: 4
; Occupancy: 8
; WaveLimiterHint : 0
; COMPUTE_PGM_RSRC2:SCRATCH_EN: 0
; COMPUTE_PGM_RSRC2:USER_SGPR: 6
; COMPUTE_PGM_RSRC2:TRAP_HANDLER: 0
; COMPUTE_PGM_RSRC2:TGID_X_EN: 1
; COMPUTE_PGM_RSRC2:TGID_Y_EN: 0
; COMPUTE_PGM_RSRC2:TGID_Z_EN: 0
; COMPUTE_PGM_RSRC2:TIDIG_COMP_CNT: 0
; COMPUTE_PGM_RSRC3_GFX90A:ACCUM_OFFSET: 0
; COMPUTE_PGM_RSRC3_GFX90A:TG_SPLIT: 0
	.section	.text._ZN7rocprim17ROCPRIM_400000_NS6detail17trampoline_kernelINS0_14default_configENS1_35adjacent_difference_config_selectorILb0EjEEZNS1_24adjacent_difference_implIS3_Lb0ELb0EPjS7_N6thrust23THRUST_200600_302600_NS5minusIjEEEE10hipError_tPvRmT2_T3_mT4_P12ihipStream_tbEUlT_E_NS1_11comp_targetILNS1_3genE9ELNS1_11target_archE1100ELNS1_3gpuE3ELNS1_3repE0EEENS1_30default_config_static_selectorELNS0_4arch9wavefront6targetE1EEEvT1_,"axG",@progbits,_ZN7rocprim17ROCPRIM_400000_NS6detail17trampoline_kernelINS0_14default_configENS1_35adjacent_difference_config_selectorILb0EjEEZNS1_24adjacent_difference_implIS3_Lb0ELb0EPjS7_N6thrust23THRUST_200600_302600_NS5minusIjEEEE10hipError_tPvRmT2_T3_mT4_P12ihipStream_tbEUlT_E_NS1_11comp_targetILNS1_3genE9ELNS1_11target_archE1100ELNS1_3gpuE3ELNS1_3repE0EEENS1_30default_config_static_selectorELNS0_4arch9wavefront6targetE1EEEvT1_,comdat
	.protected	_ZN7rocprim17ROCPRIM_400000_NS6detail17trampoline_kernelINS0_14default_configENS1_35adjacent_difference_config_selectorILb0EjEEZNS1_24adjacent_difference_implIS3_Lb0ELb0EPjS7_N6thrust23THRUST_200600_302600_NS5minusIjEEEE10hipError_tPvRmT2_T3_mT4_P12ihipStream_tbEUlT_E_NS1_11comp_targetILNS1_3genE9ELNS1_11target_archE1100ELNS1_3gpuE3ELNS1_3repE0EEENS1_30default_config_static_selectorELNS0_4arch9wavefront6targetE1EEEvT1_ ; -- Begin function _ZN7rocprim17ROCPRIM_400000_NS6detail17trampoline_kernelINS0_14default_configENS1_35adjacent_difference_config_selectorILb0EjEEZNS1_24adjacent_difference_implIS3_Lb0ELb0EPjS7_N6thrust23THRUST_200600_302600_NS5minusIjEEEE10hipError_tPvRmT2_T3_mT4_P12ihipStream_tbEUlT_E_NS1_11comp_targetILNS1_3genE9ELNS1_11target_archE1100ELNS1_3gpuE3ELNS1_3repE0EEENS1_30default_config_static_selectorELNS0_4arch9wavefront6targetE1EEEvT1_
	.globl	_ZN7rocprim17ROCPRIM_400000_NS6detail17trampoline_kernelINS0_14default_configENS1_35adjacent_difference_config_selectorILb0EjEEZNS1_24adjacent_difference_implIS3_Lb0ELb0EPjS7_N6thrust23THRUST_200600_302600_NS5minusIjEEEE10hipError_tPvRmT2_T3_mT4_P12ihipStream_tbEUlT_E_NS1_11comp_targetILNS1_3genE9ELNS1_11target_archE1100ELNS1_3gpuE3ELNS1_3repE0EEENS1_30default_config_static_selectorELNS0_4arch9wavefront6targetE1EEEvT1_
	.p2align	8
	.type	_ZN7rocprim17ROCPRIM_400000_NS6detail17trampoline_kernelINS0_14default_configENS1_35adjacent_difference_config_selectorILb0EjEEZNS1_24adjacent_difference_implIS3_Lb0ELb0EPjS7_N6thrust23THRUST_200600_302600_NS5minusIjEEEE10hipError_tPvRmT2_T3_mT4_P12ihipStream_tbEUlT_E_NS1_11comp_targetILNS1_3genE9ELNS1_11target_archE1100ELNS1_3gpuE3ELNS1_3repE0EEENS1_30default_config_static_selectorELNS0_4arch9wavefront6targetE1EEEvT1_,@function
_ZN7rocprim17ROCPRIM_400000_NS6detail17trampoline_kernelINS0_14default_configENS1_35adjacent_difference_config_selectorILb0EjEEZNS1_24adjacent_difference_implIS3_Lb0ELb0EPjS7_N6thrust23THRUST_200600_302600_NS5minusIjEEEE10hipError_tPvRmT2_T3_mT4_P12ihipStream_tbEUlT_E_NS1_11comp_targetILNS1_3genE9ELNS1_11target_archE1100ELNS1_3gpuE3ELNS1_3repE0EEENS1_30default_config_static_selectorELNS0_4arch9wavefront6targetE1EEEvT1_: ; @_ZN7rocprim17ROCPRIM_400000_NS6detail17trampoline_kernelINS0_14default_configENS1_35adjacent_difference_config_selectorILb0EjEEZNS1_24adjacent_difference_implIS3_Lb0ELb0EPjS7_N6thrust23THRUST_200600_302600_NS5minusIjEEEE10hipError_tPvRmT2_T3_mT4_P12ihipStream_tbEUlT_E_NS1_11comp_targetILNS1_3genE9ELNS1_11target_archE1100ELNS1_3gpuE3ELNS1_3repE0EEENS1_30default_config_static_selectorELNS0_4arch9wavefront6targetE1EEEvT1_
; %bb.0:
	.section	.rodata,"a",@progbits
	.p2align	6, 0x0
	.amdhsa_kernel _ZN7rocprim17ROCPRIM_400000_NS6detail17trampoline_kernelINS0_14default_configENS1_35adjacent_difference_config_selectorILb0EjEEZNS1_24adjacent_difference_implIS3_Lb0ELb0EPjS7_N6thrust23THRUST_200600_302600_NS5minusIjEEEE10hipError_tPvRmT2_T3_mT4_P12ihipStream_tbEUlT_E_NS1_11comp_targetILNS1_3genE9ELNS1_11target_archE1100ELNS1_3gpuE3ELNS1_3repE0EEENS1_30default_config_static_selectorELNS0_4arch9wavefront6targetE1EEEvT1_
		.amdhsa_group_segment_fixed_size 0
		.amdhsa_private_segment_fixed_size 0
		.amdhsa_kernarg_size 56
		.amdhsa_user_sgpr_count 6
		.amdhsa_user_sgpr_private_segment_buffer 1
		.amdhsa_user_sgpr_dispatch_ptr 0
		.amdhsa_user_sgpr_queue_ptr 0
		.amdhsa_user_sgpr_kernarg_segment_ptr 1
		.amdhsa_user_sgpr_dispatch_id 0
		.amdhsa_user_sgpr_flat_scratch_init 0
		.amdhsa_user_sgpr_kernarg_preload_length 0
		.amdhsa_user_sgpr_kernarg_preload_offset 0
		.amdhsa_user_sgpr_private_segment_size 0
		.amdhsa_uses_dynamic_stack 0
		.amdhsa_system_sgpr_private_segment_wavefront_offset 0
		.amdhsa_system_sgpr_workgroup_id_x 1
		.amdhsa_system_sgpr_workgroup_id_y 0
		.amdhsa_system_sgpr_workgroup_id_z 0
		.amdhsa_system_sgpr_workgroup_info 0
		.amdhsa_system_vgpr_workitem_id 0
		.amdhsa_next_free_vgpr 1
		.amdhsa_next_free_sgpr 0
		.amdhsa_accum_offset 4
		.amdhsa_reserve_vcc 0
		.amdhsa_reserve_flat_scratch 0
		.amdhsa_float_round_mode_32 0
		.amdhsa_float_round_mode_16_64 0
		.amdhsa_float_denorm_mode_32 3
		.amdhsa_float_denorm_mode_16_64 3
		.amdhsa_dx10_clamp 1
		.amdhsa_ieee_mode 1
		.amdhsa_fp16_overflow 0
		.amdhsa_tg_split 0
		.amdhsa_exception_fp_ieee_invalid_op 0
		.amdhsa_exception_fp_denorm_src 0
		.amdhsa_exception_fp_ieee_div_zero 0
		.amdhsa_exception_fp_ieee_overflow 0
		.amdhsa_exception_fp_ieee_underflow 0
		.amdhsa_exception_fp_ieee_inexact 0
		.amdhsa_exception_int_div_zero 0
	.end_amdhsa_kernel
	.section	.text._ZN7rocprim17ROCPRIM_400000_NS6detail17trampoline_kernelINS0_14default_configENS1_35adjacent_difference_config_selectorILb0EjEEZNS1_24adjacent_difference_implIS3_Lb0ELb0EPjS7_N6thrust23THRUST_200600_302600_NS5minusIjEEEE10hipError_tPvRmT2_T3_mT4_P12ihipStream_tbEUlT_E_NS1_11comp_targetILNS1_3genE9ELNS1_11target_archE1100ELNS1_3gpuE3ELNS1_3repE0EEENS1_30default_config_static_selectorELNS0_4arch9wavefront6targetE1EEEvT1_,"axG",@progbits,_ZN7rocprim17ROCPRIM_400000_NS6detail17trampoline_kernelINS0_14default_configENS1_35adjacent_difference_config_selectorILb0EjEEZNS1_24adjacent_difference_implIS3_Lb0ELb0EPjS7_N6thrust23THRUST_200600_302600_NS5minusIjEEEE10hipError_tPvRmT2_T3_mT4_P12ihipStream_tbEUlT_E_NS1_11comp_targetILNS1_3genE9ELNS1_11target_archE1100ELNS1_3gpuE3ELNS1_3repE0EEENS1_30default_config_static_selectorELNS0_4arch9wavefront6targetE1EEEvT1_,comdat
.Lfunc_end371:
	.size	_ZN7rocprim17ROCPRIM_400000_NS6detail17trampoline_kernelINS0_14default_configENS1_35adjacent_difference_config_selectorILb0EjEEZNS1_24adjacent_difference_implIS3_Lb0ELb0EPjS7_N6thrust23THRUST_200600_302600_NS5minusIjEEEE10hipError_tPvRmT2_T3_mT4_P12ihipStream_tbEUlT_E_NS1_11comp_targetILNS1_3genE9ELNS1_11target_archE1100ELNS1_3gpuE3ELNS1_3repE0EEENS1_30default_config_static_selectorELNS0_4arch9wavefront6targetE1EEEvT1_, .Lfunc_end371-_ZN7rocprim17ROCPRIM_400000_NS6detail17trampoline_kernelINS0_14default_configENS1_35adjacent_difference_config_selectorILb0EjEEZNS1_24adjacent_difference_implIS3_Lb0ELb0EPjS7_N6thrust23THRUST_200600_302600_NS5minusIjEEEE10hipError_tPvRmT2_T3_mT4_P12ihipStream_tbEUlT_E_NS1_11comp_targetILNS1_3genE9ELNS1_11target_archE1100ELNS1_3gpuE3ELNS1_3repE0EEENS1_30default_config_static_selectorELNS0_4arch9wavefront6targetE1EEEvT1_
                                        ; -- End function
	.section	.AMDGPU.csdata,"",@progbits
; Kernel info:
; codeLenInByte = 0
; NumSgprs: 4
; NumVgprs: 0
; NumAgprs: 0
; TotalNumVgprs: 0
; ScratchSize: 0
; MemoryBound: 0
; FloatMode: 240
; IeeeMode: 1
; LDSByteSize: 0 bytes/workgroup (compile time only)
; SGPRBlocks: 0
; VGPRBlocks: 0
; NumSGPRsForWavesPerEU: 4
; NumVGPRsForWavesPerEU: 1
; AccumOffset: 4
; Occupancy: 8
; WaveLimiterHint : 0
; COMPUTE_PGM_RSRC2:SCRATCH_EN: 0
; COMPUTE_PGM_RSRC2:USER_SGPR: 6
; COMPUTE_PGM_RSRC2:TRAP_HANDLER: 0
; COMPUTE_PGM_RSRC2:TGID_X_EN: 1
; COMPUTE_PGM_RSRC2:TGID_Y_EN: 0
; COMPUTE_PGM_RSRC2:TGID_Z_EN: 0
; COMPUTE_PGM_RSRC2:TIDIG_COMP_CNT: 0
; COMPUTE_PGM_RSRC3_GFX90A:ACCUM_OFFSET: 0
; COMPUTE_PGM_RSRC3_GFX90A:TG_SPLIT: 0
	.section	.text._ZN7rocprim17ROCPRIM_400000_NS6detail17trampoline_kernelINS0_14default_configENS1_35adjacent_difference_config_selectorILb0EjEEZNS1_24adjacent_difference_implIS3_Lb0ELb0EPjS7_N6thrust23THRUST_200600_302600_NS5minusIjEEEE10hipError_tPvRmT2_T3_mT4_P12ihipStream_tbEUlT_E_NS1_11comp_targetILNS1_3genE8ELNS1_11target_archE1030ELNS1_3gpuE2ELNS1_3repE0EEENS1_30default_config_static_selectorELNS0_4arch9wavefront6targetE1EEEvT1_,"axG",@progbits,_ZN7rocprim17ROCPRIM_400000_NS6detail17trampoline_kernelINS0_14default_configENS1_35adjacent_difference_config_selectorILb0EjEEZNS1_24adjacent_difference_implIS3_Lb0ELb0EPjS7_N6thrust23THRUST_200600_302600_NS5minusIjEEEE10hipError_tPvRmT2_T3_mT4_P12ihipStream_tbEUlT_E_NS1_11comp_targetILNS1_3genE8ELNS1_11target_archE1030ELNS1_3gpuE2ELNS1_3repE0EEENS1_30default_config_static_selectorELNS0_4arch9wavefront6targetE1EEEvT1_,comdat
	.protected	_ZN7rocprim17ROCPRIM_400000_NS6detail17trampoline_kernelINS0_14default_configENS1_35adjacent_difference_config_selectorILb0EjEEZNS1_24adjacent_difference_implIS3_Lb0ELb0EPjS7_N6thrust23THRUST_200600_302600_NS5minusIjEEEE10hipError_tPvRmT2_T3_mT4_P12ihipStream_tbEUlT_E_NS1_11comp_targetILNS1_3genE8ELNS1_11target_archE1030ELNS1_3gpuE2ELNS1_3repE0EEENS1_30default_config_static_selectorELNS0_4arch9wavefront6targetE1EEEvT1_ ; -- Begin function _ZN7rocprim17ROCPRIM_400000_NS6detail17trampoline_kernelINS0_14default_configENS1_35adjacent_difference_config_selectorILb0EjEEZNS1_24adjacent_difference_implIS3_Lb0ELb0EPjS7_N6thrust23THRUST_200600_302600_NS5minusIjEEEE10hipError_tPvRmT2_T3_mT4_P12ihipStream_tbEUlT_E_NS1_11comp_targetILNS1_3genE8ELNS1_11target_archE1030ELNS1_3gpuE2ELNS1_3repE0EEENS1_30default_config_static_selectorELNS0_4arch9wavefront6targetE1EEEvT1_
	.globl	_ZN7rocprim17ROCPRIM_400000_NS6detail17trampoline_kernelINS0_14default_configENS1_35adjacent_difference_config_selectorILb0EjEEZNS1_24adjacent_difference_implIS3_Lb0ELb0EPjS7_N6thrust23THRUST_200600_302600_NS5minusIjEEEE10hipError_tPvRmT2_T3_mT4_P12ihipStream_tbEUlT_E_NS1_11comp_targetILNS1_3genE8ELNS1_11target_archE1030ELNS1_3gpuE2ELNS1_3repE0EEENS1_30default_config_static_selectorELNS0_4arch9wavefront6targetE1EEEvT1_
	.p2align	8
	.type	_ZN7rocprim17ROCPRIM_400000_NS6detail17trampoline_kernelINS0_14default_configENS1_35adjacent_difference_config_selectorILb0EjEEZNS1_24adjacent_difference_implIS3_Lb0ELb0EPjS7_N6thrust23THRUST_200600_302600_NS5minusIjEEEE10hipError_tPvRmT2_T3_mT4_P12ihipStream_tbEUlT_E_NS1_11comp_targetILNS1_3genE8ELNS1_11target_archE1030ELNS1_3gpuE2ELNS1_3repE0EEENS1_30default_config_static_selectorELNS0_4arch9wavefront6targetE1EEEvT1_,@function
_ZN7rocprim17ROCPRIM_400000_NS6detail17trampoline_kernelINS0_14default_configENS1_35adjacent_difference_config_selectorILb0EjEEZNS1_24adjacent_difference_implIS3_Lb0ELb0EPjS7_N6thrust23THRUST_200600_302600_NS5minusIjEEEE10hipError_tPvRmT2_T3_mT4_P12ihipStream_tbEUlT_E_NS1_11comp_targetILNS1_3genE8ELNS1_11target_archE1030ELNS1_3gpuE2ELNS1_3repE0EEENS1_30default_config_static_selectorELNS0_4arch9wavefront6targetE1EEEvT1_: ; @_ZN7rocprim17ROCPRIM_400000_NS6detail17trampoline_kernelINS0_14default_configENS1_35adjacent_difference_config_selectorILb0EjEEZNS1_24adjacent_difference_implIS3_Lb0ELb0EPjS7_N6thrust23THRUST_200600_302600_NS5minusIjEEEE10hipError_tPvRmT2_T3_mT4_P12ihipStream_tbEUlT_E_NS1_11comp_targetILNS1_3genE8ELNS1_11target_archE1030ELNS1_3gpuE2ELNS1_3repE0EEENS1_30default_config_static_selectorELNS0_4arch9wavefront6targetE1EEEvT1_
; %bb.0:
	.section	.rodata,"a",@progbits
	.p2align	6, 0x0
	.amdhsa_kernel _ZN7rocprim17ROCPRIM_400000_NS6detail17trampoline_kernelINS0_14default_configENS1_35adjacent_difference_config_selectorILb0EjEEZNS1_24adjacent_difference_implIS3_Lb0ELb0EPjS7_N6thrust23THRUST_200600_302600_NS5minusIjEEEE10hipError_tPvRmT2_T3_mT4_P12ihipStream_tbEUlT_E_NS1_11comp_targetILNS1_3genE8ELNS1_11target_archE1030ELNS1_3gpuE2ELNS1_3repE0EEENS1_30default_config_static_selectorELNS0_4arch9wavefront6targetE1EEEvT1_
		.amdhsa_group_segment_fixed_size 0
		.amdhsa_private_segment_fixed_size 0
		.amdhsa_kernarg_size 56
		.amdhsa_user_sgpr_count 6
		.amdhsa_user_sgpr_private_segment_buffer 1
		.amdhsa_user_sgpr_dispatch_ptr 0
		.amdhsa_user_sgpr_queue_ptr 0
		.amdhsa_user_sgpr_kernarg_segment_ptr 1
		.amdhsa_user_sgpr_dispatch_id 0
		.amdhsa_user_sgpr_flat_scratch_init 0
		.amdhsa_user_sgpr_kernarg_preload_length 0
		.amdhsa_user_sgpr_kernarg_preload_offset 0
		.amdhsa_user_sgpr_private_segment_size 0
		.amdhsa_uses_dynamic_stack 0
		.amdhsa_system_sgpr_private_segment_wavefront_offset 0
		.amdhsa_system_sgpr_workgroup_id_x 1
		.amdhsa_system_sgpr_workgroup_id_y 0
		.amdhsa_system_sgpr_workgroup_id_z 0
		.amdhsa_system_sgpr_workgroup_info 0
		.amdhsa_system_vgpr_workitem_id 0
		.amdhsa_next_free_vgpr 1
		.amdhsa_next_free_sgpr 0
		.amdhsa_accum_offset 4
		.amdhsa_reserve_vcc 0
		.amdhsa_reserve_flat_scratch 0
		.amdhsa_float_round_mode_32 0
		.amdhsa_float_round_mode_16_64 0
		.amdhsa_float_denorm_mode_32 3
		.amdhsa_float_denorm_mode_16_64 3
		.amdhsa_dx10_clamp 1
		.amdhsa_ieee_mode 1
		.amdhsa_fp16_overflow 0
		.amdhsa_tg_split 0
		.amdhsa_exception_fp_ieee_invalid_op 0
		.amdhsa_exception_fp_denorm_src 0
		.amdhsa_exception_fp_ieee_div_zero 0
		.amdhsa_exception_fp_ieee_overflow 0
		.amdhsa_exception_fp_ieee_underflow 0
		.amdhsa_exception_fp_ieee_inexact 0
		.amdhsa_exception_int_div_zero 0
	.end_amdhsa_kernel
	.section	.text._ZN7rocprim17ROCPRIM_400000_NS6detail17trampoline_kernelINS0_14default_configENS1_35adjacent_difference_config_selectorILb0EjEEZNS1_24adjacent_difference_implIS3_Lb0ELb0EPjS7_N6thrust23THRUST_200600_302600_NS5minusIjEEEE10hipError_tPvRmT2_T3_mT4_P12ihipStream_tbEUlT_E_NS1_11comp_targetILNS1_3genE8ELNS1_11target_archE1030ELNS1_3gpuE2ELNS1_3repE0EEENS1_30default_config_static_selectorELNS0_4arch9wavefront6targetE1EEEvT1_,"axG",@progbits,_ZN7rocprim17ROCPRIM_400000_NS6detail17trampoline_kernelINS0_14default_configENS1_35adjacent_difference_config_selectorILb0EjEEZNS1_24adjacent_difference_implIS3_Lb0ELb0EPjS7_N6thrust23THRUST_200600_302600_NS5minusIjEEEE10hipError_tPvRmT2_T3_mT4_P12ihipStream_tbEUlT_E_NS1_11comp_targetILNS1_3genE8ELNS1_11target_archE1030ELNS1_3gpuE2ELNS1_3repE0EEENS1_30default_config_static_selectorELNS0_4arch9wavefront6targetE1EEEvT1_,comdat
.Lfunc_end372:
	.size	_ZN7rocprim17ROCPRIM_400000_NS6detail17trampoline_kernelINS0_14default_configENS1_35adjacent_difference_config_selectorILb0EjEEZNS1_24adjacent_difference_implIS3_Lb0ELb0EPjS7_N6thrust23THRUST_200600_302600_NS5minusIjEEEE10hipError_tPvRmT2_T3_mT4_P12ihipStream_tbEUlT_E_NS1_11comp_targetILNS1_3genE8ELNS1_11target_archE1030ELNS1_3gpuE2ELNS1_3repE0EEENS1_30default_config_static_selectorELNS0_4arch9wavefront6targetE1EEEvT1_, .Lfunc_end372-_ZN7rocprim17ROCPRIM_400000_NS6detail17trampoline_kernelINS0_14default_configENS1_35adjacent_difference_config_selectorILb0EjEEZNS1_24adjacent_difference_implIS3_Lb0ELb0EPjS7_N6thrust23THRUST_200600_302600_NS5minusIjEEEE10hipError_tPvRmT2_T3_mT4_P12ihipStream_tbEUlT_E_NS1_11comp_targetILNS1_3genE8ELNS1_11target_archE1030ELNS1_3gpuE2ELNS1_3repE0EEENS1_30default_config_static_selectorELNS0_4arch9wavefront6targetE1EEEvT1_
                                        ; -- End function
	.section	.AMDGPU.csdata,"",@progbits
; Kernel info:
; codeLenInByte = 0
; NumSgprs: 4
; NumVgprs: 0
; NumAgprs: 0
; TotalNumVgprs: 0
; ScratchSize: 0
; MemoryBound: 0
; FloatMode: 240
; IeeeMode: 1
; LDSByteSize: 0 bytes/workgroup (compile time only)
; SGPRBlocks: 0
; VGPRBlocks: 0
; NumSGPRsForWavesPerEU: 4
; NumVGPRsForWavesPerEU: 1
; AccumOffset: 4
; Occupancy: 8
; WaveLimiterHint : 0
; COMPUTE_PGM_RSRC2:SCRATCH_EN: 0
; COMPUTE_PGM_RSRC2:USER_SGPR: 6
; COMPUTE_PGM_RSRC2:TRAP_HANDLER: 0
; COMPUTE_PGM_RSRC2:TGID_X_EN: 1
; COMPUTE_PGM_RSRC2:TGID_Y_EN: 0
; COMPUTE_PGM_RSRC2:TGID_Z_EN: 0
; COMPUTE_PGM_RSRC2:TIDIG_COMP_CNT: 0
; COMPUTE_PGM_RSRC3_GFX90A:ACCUM_OFFSET: 0
; COMPUTE_PGM_RSRC3_GFX90A:TG_SPLIT: 0
	.section	.text._ZN7rocprim17ROCPRIM_400000_NS6detail17trampoline_kernelINS0_14default_configENS1_25transform_config_selectorIjLb0EEEZNS1_14transform_implILb0ES3_S5_NS0_18transform_iteratorINS0_17counting_iteratorImlEEZNS1_24adjacent_difference_implIS3_Lb1ELb0EPjSB_N6thrust23THRUST_200600_302600_NS5minusIjEEEE10hipError_tPvRmT2_T3_mT4_P12ihipStream_tbEUlmE_jEESB_NS0_8identityIvEEEESG_SJ_SK_mSL_SN_bEUlT_E_NS1_11comp_targetILNS1_3genE0ELNS1_11target_archE4294967295ELNS1_3gpuE0ELNS1_3repE0EEENS1_30default_config_static_selectorELNS0_4arch9wavefront6targetE1EEEvT1_,"axG",@progbits,_ZN7rocprim17ROCPRIM_400000_NS6detail17trampoline_kernelINS0_14default_configENS1_25transform_config_selectorIjLb0EEEZNS1_14transform_implILb0ES3_S5_NS0_18transform_iteratorINS0_17counting_iteratorImlEEZNS1_24adjacent_difference_implIS3_Lb1ELb0EPjSB_N6thrust23THRUST_200600_302600_NS5minusIjEEEE10hipError_tPvRmT2_T3_mT4_P12ihipStream_tbEUlmE_jEESB_NS0_8identityIvEEEESG_SJ_SK_mSL_SN_bEUlT_E_NS1_11comp_targetILNS1_3genE0ELNS1_11target_archE4294967295ELNS1_3gpuE0ELNS1_3repE0EEENS1_30default_config_static_selectorELNS0_4arch9wavefront6targetE1EEEvT1_,comdat
	.protected	_ZN7rocprim17ROCPRIM_400000_NS6detail17trampoline_kernelINS0_14default_configENS1_25transform_config_selectorIjLb0EEEZNS1_14transform_implILb0ES3_S5_NS0_18transform_iteratorINS0_17counting_iteratorImlEEZNS1_24adjacent_difference_implIS3_Lb1ELb0EPjSB_N6thrust23THRUST_200600_302600_NS5minusIjEEEE10hipError_tPvRmT2_T3_mT4_P12ihipStream_tbEUlmE_jEESB_NS0_8identityIvEEEESG_SJ_SK_mSL_SN_bEUlT_E_NS1_11comp_targetILNS1_3genE0ELNS1_11target_archE4294967295ELNS1_3gpuE0ELNS1_3repE0EEENS1_30default_config_static_selectorELNS0_4arch9wavefront6targetE1EEEvT1_ ; -- Begin function _ZN7rocprim17ROCPRIM_400000_NS6detail17trampoline_kernelINS0_14default_configENS1_25transform_config_selectorIjLb0EEEZNS1_14transform_implILb0ES3_S5_NS0_18transform_iteratorINS0_17counting_iteratorImlEEZNS1_24adjacent_difference_implIS3_Lb1ELb0EPjSB_N6thrust23THRUST_200600_302600_NS5minusIjEEEE10hipError_tPvRmT2_T3_mT4_P12ihipStream_tbEUlmE_jEESB_NS0_8identityIvEEEESG_SJ_SK_mSL_SN_bEUlT_E_NS1_11comp_targetILNS1_3genE0ELNS1_11target_archE4294967295ELNS1_3gpuE0ELNS1_3repE0EEENS1_30default_config_static_selectorELNS0_4arch9wavefront6targetE1EEEvT1_
	.globl	_ZN7rocprim17ROCPRIM_400000_NS6detail17trampoline_kernelINS0_14default_configENS1_25transform_config_selectorIjLb0EEEZNS1_14transform_implILb0ES3_S5_NS0_18transform_iteratorINS0_17counting_iteratorImlEEZNS1_24adjacent_difference_implIS3_Lb1ELb0EPjSB_N6thrust23THRUST_200600_302600_NS5minusIjEEEE10hipError_tPvRmT2_T3_mT4_P12ihipStream_tbEUlmE_jEESB_NS0_8identityIvEEEESG_SJ_SK_mSL_SN_bEUlT_E_NS1_11comp_targetILNS1_3genE0ELNS1_11target_archE4294967295ELNS1_3gpuE0ELNS1_3repE0EEENS1_30default_config_static_selectorELNS0_4arch9wavefront6targetE1EEEvT1_
	.p2align	8
	.type	_ZN7rocprim17ROCPRIM_400000_NS6detail17trampoline_kernelINS0_14default_configENS1_25transform_config_selectorIjLb0EEEZNS1_14transform_implILb0ES3_S5_NS0_18transform_iteratorINS0_17counting_iteratorImlEEZNS1_24adjacent_difference_implIS3_Lb1ELb0EPjSB_N6thrust23THRUST_200600_302600_NS5minusIjEEEE10hipError_tPvRmT2_T3_mT4_P12ihipStream_tbEUlmE_jEESB_NS0_8identityIvEEEESG_SJ_SK_mSL_SN_bEUlT_E_NS1_11comp_targetILNS1_3genE0ELNS1_11target_archE4294967295ELNS1_3gpuE0ELNS1_3repE0EEENS1_30default_config_static_selectorELNS0_4arch9wavefront6targetE1EEEvT1_,@function
_ZN7rocprim17ROCPRIM_400000_NS6detail17trampoline_kernelINS0_14default_configENS1_25transform_config_selectorIjLb0EEEZNS1_14transform_implILb0ES3_S5_NS0_18transform_iteratorINS0_17counting_iteratorImlEEZNS1_24adjacent_difference_implIS3_Lb1ELb0EPjSB_N6thrust23THRUST_200600_302600_NS5minusIjEEEE10hipError_tPvRmT2_T3_mT4_P12ihipStream_tbEUlmE_jEESB_NS0_8identityIvEEEESG_SJ_SK_mSL_SN_bEUlT_E_NS1_11comp_targetILNS1_3genE0ELNS1_11target_archE4294967295ELNS1_3gpuE0ELNS1_3repE0EEENS1_30default_config_static_selectorELNS0_4arch9wavefront6targetE1EEEvT1_: ; @_ZN7rocprim17ROCPRIM_400000_NS6detail17trampoline_kernelINS0_14default_configENS1_25transform_config_selectorIjLb0EEEZNS1_14transform_implILb0ES3_S5_NS0_18transform_iteratorINS0_17counting_iteratorImlEEZNS1_24adjacent_difference_implIS3_Lb1ELb0EPjSB_N6thrust23THRUST_200600_302600_NS5minusIjEEEE10hipError_tPvRmT2_T3_mT4_P12ihipStream_tbEUlmE_jEESB_NS0_8identityIvEEEESG_SJ_SK_mSL_SN_bEUlT_E_NS1_11comp_targetILNS1_3genE0ELNS1_11target_archE4294967295ELNS1_3gpuE0ELNS1_3repE0EEENS1_30default_config_static_selectorELNS0_4arch9wavefront6targetE1EEEvT1_
; %bb.0:
	.section	.rodata,"a",@progbits
	.p2align	6, 0x0
	.amdhsa_kernel _ZN7rocprim17ROCPRIM_400000_NS6detail17trampoline_kernelINS0_14default_configENS1_25transform_config_selectorIjLb0EEEZNS1_14transform_implILb0ES3_S5_NS0_18transform_iteratorINS0_17counting_iteratorImlEEZNS1_24adjacent_difference_implIS3_Lb1ELb0EPjSB_N6thrust23THRUST_200600_302600_NS5minusIjEEEE10hipError_tPvRmT2_T3_mT4_P12ihipStream_tbEUlmE_jEESB_NS0_8identityIvEEEESG_SJ_SK_mSL_SN_bEUlT_E_NS1_11comp_targetILNS1_3genE0ELNS1_11target_archE4294967295ELNS1_3gpuE0ELNS1_3repE0EEENS1_30default_config_static_selectorELNS0_4arch9wavefront6targetE1EEEvT1_
		.amdhsa_group_segment_fixed_size 0
		.amdhsa_private_segment_fixed_size 0
		.amdhsa_kernarg_size 56
		.amdhsa_user_sgpr_count 6
		.amdhsa_user_sgpr_private_segment_buffer 1
		.amdhsa_user_sgpr_dispatch_ptr 0
		.amdhsa_user_sgpr_queue_ptr 0
		.amdhsa_user_sgpr_kernarg_segment_ptr 1
		.amdhsa_user_sgpr_dispatch_id 0
		.amdhsa_user_sgpr_flat_scratch_init 0
		.amdhsa_user_sgpr_kernarg_preload_length 0
		.amdhsa_user_sgpr_kernarg_preload_offset 0
		.amdhsa_user_sgpr_private_segment_size 0
		.amdhsa_uses_dynamic_stack 0
		.amdhsa_system_sgpr_private_segment_wavefront_offset 0
		.amdhsa_system_sgpr_workgroup_id_x 1
		.amdhsa_system_sgpr_workgroup_id_y 0
		.amdhsa_system_sgpr_workgroup_id_z 0
		.amdhsa_system_sgpr_workgroup_info 0
		.amdhsa_system_vgpr_workitem_id 0
		.amdhsa_next_free_vgpr 1
		.amdhsa_next_free_sgpr 0
		.amdhsa_accum_offset 4
		.amdhsa_reserve_vcc 0
		.amdhsa_reserve_flat_scratch 0
		.amdhsa_float_round_mode_32 0
		.amdhsa_float_round_mode_16_64 0
		.amdhsa_float_denorm_mode_32 3
		.amdhsa_float_denorm_mode_16_64 3
		.amdhsa_dx10_clamp 1
		.amdhsa_ieee_mode 1
		.amdhsa_fp16_overflow 0
		.amdhsa_tg_split 0
		.amdhsa_exception_fp_ieee_invalid_op 0
		.amdhsa_exception_fp_denorm_src 0
		.amdhsa_exception_fp_ieee_div_zero 0
		.amdhsa_exception_fp_ieee_overflow 0
		.amdhsa_exception_fp_ieee_underflow 0
		.amdhsa_exception_fp_ieee_inexact 0
		.amdhsa_exception_int_div_zero 0
	.end_amdhsa_kernel
	.section	.text._ZN7rocprim17ROCPRIM_400000_NS6detail17trampoline_kernelINS0_14default_configENS1_25transform_config_selectorIjLb0EEEZNS1_14transform_implILb0ES3_S5_NS0_18transform_iteratorINS0_17counting_iteratorImlEEZNS1_24adjacent_difference_implIS3_Lb1ELb0EPjSB_N6thrust23THRUST_200600_302600_NS5minusIjEEEE10hipError_tPvRmT2_T3_mT4_P12ihipStream_tbEUlmE_jEESB_NS0_8identityIvEEEESG_SJ_SK_mSL_SN_bEUlT_E_NS1_11comp_targetILNS1_3genE0ELNS1_11target_archE4294967295ELNS1_3gpuE0ELNS1_3repE0EEENS1_30default_config_static_selectorELNS0_4arch9wavefront6targetE1EEEvT1_,"axG",@progbits,_ZN7rocprim17ROCPRIM_400000_NS6detail17trampoline_kernelINS0_14default_configENS1_25transform_config_selectorIjLb0EEEZNS1_14transform_implILb0ES3_S5_NS0_18transform_iteratorINS0_17counting_iteratorImlEEZNS1_24adjacent_difference_implIS3_Lb1ELb0EPjSB_N6thrust23THRUST_200600_302600_NS5minusIjEEEE10hipError_tPvRmT2_T3_mT4_P12ihipStream_tbEUlmE_jEESB_NS0_8identityIvEEEESG_SJ_SK_mSL_SN_bEUlT_E_NS1_11comp_targetILNS1_3genE0ELNS1_11target_archE4294967295ELNS1_3gpuE0ELNS1_3repE0EEENS1_30default_config_static_selectorELNS0_4arch9wavefront6targetE1EEEvT1_,comdat
.Lfunc_end373:
	.size	_ZN7rocprim17ROCPRIM_400000_NS6detail17trampoline_kernelINS0_14default_configENS1_25transform_config_selectorIjLb0EEEZNS1_14transform_implILb0ES3_S5_NS0_18transform_iteratorINS0_17counting_iteratorImlEEZNS1_24adjacent_difference_implIS3_Lb1ELb0EPjSB_N6thrust23THRUST_200600_302600_NS5minusIjEEEE10hipError_tPvRmT2_T3_mT4_P12ihipStream_tbEUlmE_jEESB_NS0_8identityIvEEEESG_SJ_SK_mSL_SN_bEUlT_E_NS1_11comp_targetILNS1_3genE0ELNS1_11target_archE4294967295ELNS1_3gpuE0ELNS1_3repE0EEENS1_30default_config_static_selectorELNS0_4arch9wavefront6targetE1EEEvT1_, .Lfunc_end373-_ZN7rocprim17ROCPRIM_400000_NS6detail17trampoline_kernelINS0_14default_configENS1_25transform_config_selectorIjLb0EEEZNS1_14transform_implILb0ES3_S5_NS0_18transform_iteratorINS0_17counting_iteratorImlEEZNS1_24adjacent_difference_implIS3_Lb1ELb0EPjSB_N6thrust23THRUST_200600_302600_NS5minusIjEEEE10hipError_tPvRmT2_T3_mT4_P12ihipStream_tbEUlmE_jEESB_NS0_8identityIvEEEESG_SJ_SK_mSL_SN_bEUlT_E_NS1_11comp_targetILNS1_3genE0ELNS1_11target_archE4294967295ELNS1_3gpuE0ELNS1_3repE0EEENS1_30default_config_static_selectorELNS0_4arch9wavefront6targetE1EEEvT1_
                                        ; -- End function
	.section	.AMDGPU.csdata,"",@progbits
; Kernel info:
; codeLenInByte = 0
; NumSgprs: 4
; NumVgprs: 0
; NumAgprs: 0
; TotalNumVgprs: 0
; ScratchSize: 0
; MemoryBound: 0
; FloatMode: 240
; IeeeMode: 1
; LDSByteSize: 0 bytes/workgroup (compile time only)
; SGPRBlocks: 0
; VGPRBlocks: 0
; NumSGPRsForWavesPerEU: 4
; NumVGPRsForWavesPerEU: 1
; AccumOffset: 4
; Occupancy: 8
; WaveLimiterHint : 0
; COMPUTE_PGM_RSRC2:SCRATCH_EN: 0
; COMPUTE_PGM_RSRC2:USER_SGPR: 6
; COMPUTE_PGM_RSRC2:TRAP_HANDLER: 0
; COMPUTE_PGM_RSRC2:TGID_X_EN: 1
; COMPUTE_PGM_RSRC2:TGID_Y_EN: 0
; COMPUTE_PGM_RSRC2:TGID_Z_EN: 0
; COMPUTE_PGM_RSRC2:TIDIG_COMP_CNT: 0
; COMPUTE_PGM_RSRC3_GFX90A:ACCUM_OFFSET: 0
; COMPUTE_PGM_RSRC3_GFX90A:TG_SPLIT: 0
	.section	.text._ZN7rocprim17ROCPRIM_400000_NS6detail17trampoline_kernelINS0_14default_configENS1_25transform_config_selectorIjLb0EEEZNS1_14transform_implILb0ES3_S5_NS0_18transform_iteratorINS0_17counting_iteratorImlEEZNS1_24adjacent_difference_implIS3_Lb1ELb0EPjSB_N6thrust23THRUST_200600_302600_NS5minusIjEEEE10hipError_tPvRmT2_T3_mT4_P12ihipStream_tbEUlmE_jEESB_NS0_8identityIvEEEESG_SJ_SK_mSL_SN_bEUlT_E_NS1_11comp_targetILNS1_3genE5ELNS1_11target_archE942ELNS1_3gpuE9ELNS1_3repE0EEENS1_30default_config_static_selectorELNS0_4arch9wavefront6targetE1EEEvT1_,"axG",@progbits,_ZN7rocprim17ROCPRIM_400000_NS6detail17trampoline_kernelINS0_14default_configENS1_25transform_config_selectorIjLb0EEEZNS1_14transform_implILb0ES3_S5_NS0_18transform_iteratorINS0_17counting_iteratorImlEEZNS1_24adjacent_difference_implIS3_Lb1ELb0EPjSB_N6thrust23THRUST_200600_302600_NS5minusIjEEEE10hipError_tPvRmT2_T3_mT4_P12ihipStream_tbEUlmE_jEESB_NS0_8identityIvEEEESG_SJ_SK_mSL_SN_bEUlT_E_NS1_11comp_targetILNS1_3genE5ELNS1_11target_archE942ELNS1_3gpuE9ELNS1_3repE0EEENS1_30default_config_static_selectorELNS0_4arch9wavefront6targetE1EEEvT1_,comdat
	.protected	_ZN7rocprim17ROCPRIM_400000_NS6detail17trampoline_kernelINS0_14default_configENS1_25transform_config_selectorIjLb0EEEZNS1_14transform_implILb0ES3_S5_NS0_18transform_iteratorINS0_17counting_iteratorImlEEZNS1_24adjacent_difference_implIS3_Lb1ELb0EPjSB_N6thrust23THRUST_200600_302600_NS5minusIjEEEE10hipError_tPvRmT2_T3_mT4_P12ihipStream_tbEUlmE_jEESB_NS0_8identityIvEEEESG_SJ_SK_mSL_SN_bEUlT_E_NS1_11comp_targetILNS1_3genE5ELNS1_11target_archE942ELNS1_3gpuE9ELNS1_3repE0EEENS1_30default_config_static_selectorELNS0_4arch9wavefront6targetE1EEEvT1_ ; -- Begin function _ZN7rocprim17ROCPRIM_400000_NS6detail17trampoline_kernelINS0_14default_configENS1_25transform_config_selectorIjLb0EEEZNS1_14transform_implILb0ES3_S5_NS0_18transform_iteratorINS0_17counting_iteratorImlEEZNS1_24adjacent_difference_implIS3_Lb1ELb0EPjSB_N6thrust23THRUST_200600_302600_NS5minusIjEEEE10hipError_tPvRmT2_T3_mT4_P12ihipStream_tbEUlmE_jEESB_NS0_8identityIvEEEESG_SJ_SK_mSL_SN_bEUlT_E_NS1_11comp_targetILNS1_3genE5ELNS1_11target_archE942ELNS1_3gpuE9ELNS1_3repE0EEENS1_30default_config_static_selectorELNS0_4arch9wavefront6targetE1EEEvT1_
	.globl	_ZN7rocprim17ROCPRIM_400000_NS6detail17trampoline_kernelINS0_14default_configENS1_25transform_config_selectorIjLb0EEEZNS1_14transform_implILb0ES3_S5_NS0_18transform_iteratorINS0_17counting_iteratorImlEEZNS1_24adjacent_difference_implIS3_Lb1ELb0EPjSB_N6thrust23THRUST_200600_302600_NS5minusIjEEEE10hipError_tPvRmT2_T3_mT4_P12ihipStream_tbEUlmE_jEESB_NS0_8identityIvEEEESG_SJ_SK_mSL_SN_bEUlT_E_NS1_11comp_targetILNS1_3genE5ELNS1_11target_archE942ELNS1_3gpuE9ELNS1_3repE0EEENS1_30default_config_static_selectorELNS0_4arch9wavefront6targetE1EEEvT1_
	.p2align	8
	.type	_ZN7rocprim17ROCPRIM_400000_NS6detail17trampoline_kernelINS0_14default_configENS1_25transform_config_selectorIjLb0EEEZNS1_14transform_implILb0ES3_S5_NS0_18transform_iteratorINS0_17counting_iteratorImlEEZNS1_24adjacent_difference_implIS3_Lb1ELb0EPjSB_N6thrust23THRUST_200600_302600_NS5minusIjEEEE10hipError_tPvRmT2_T3_mT4_P12ihipStream_tbEUlmE_jEESB_NS0_8identityIvEEEESG_SJ_SK_mSL_SN_bEUlT_E_NS1_11comp_targetILNS1_3genE5ELNS1_11target_archE942ELNS1_3gpuE9ELNS1_3repE0EEENS1_30default_config_static_selectorELNS0_4arch9wavefront6targetE1EEEvT1_,@function
_ZN7rocprim17ROCPRIM_400000_NS6detail17trampoline_kernelINS0_14default_configENS1_25transform_config_selectorIjLb0EEEZNS1_14transform_implILb0ES3_S5_NS0_18transform_iteratorINS0_17counting_iteratorImlEEZNS1_24adjacent_difference_implIS3_Lb1ELb0EPjSB_N6thrust23THRUST_200600_302600_NS5minusIjEEEE10hipError_tPvRmT2_T3_mT4_P12ihipStream_tbEUlmE_jEESB_NS0_8identityIvEEEESG_SJ_SK_mSL_SN_bEUlT_E_NS1_11comp_targetILNS1_3genE5ELNS1_11target_archE942ELNS1_3gpuE9ELNS1_3repE0EEENS1_30default_config_static_selectorELNS0_4arch9wavefront6targetE1EEEvT1_: ; @_ZN7rocprim17ROCPRIM_400000_NS6detail17trampoline_kernelINS0_14default_configENS1_25transform_config_selectorIjLb0EEEZNS1_14transform_implILb0ES3_S5_NS0_18transform_iteratorINS0_17counting_iteratorImlEEZNS1_24adjacent_difference_implIS3_Lb1ELb0EPjSB_N6thrust23THRUST_200600_302600_NS5minusIjEEEE10hipError_tPvRmT2_T3_mT4_P12ihipStream_tbEUlmE_jEESB_NS0_8identityIvEEEESG_SJ_SK_mSL_SN_bEUlT_E_NS1_11comp_targetILNS1_3genE5ELNS1_11target_archE942ELNS1_3gpuE9ELNS1_3repE0EEENS1_30default_config_static_selectorELNS0_4arch9wavefront6targetE1EEEvT1_
; %bb.0:
	.section	.rodata,"a",@progbits
	.p2align	6, 0x0
	.amdhsa_kernel _ZN7rocprim17ROCPRIM_400000_NS6detail17trampoline_kernelINS0_14default_configENS1_25transform_config_selectorIjLb0EEEZNS1_14transform_implILb0ES3_S5_NS0_18transform_iteratorINS0_17counting_iteratorImlEEZNS1_24adjacent_difference_implIS3_Lb1ELb0EPjSB_N6thrust23THRUST_200600_302600_NS5minusIjEEEE10hipError_tPvRmT2_T3_mT4_P12ihipStream_tbEUlmE_jEESB_NS0_8identityIvEEEESG_SJ_SK_mSL_SN_bEUlT_E_NS1_11comp_targetILNS1_3genE5ELNS1_11target_archE942ELNS1_3gpuE9ELNS1_3repE0EEENS1_30default_config_static_selectorELNS0_4arch9wavefront6targetE1EEEvT1_
		.amdhsa_group_segment_fixed_size 0
		.amdhsa_private_segment_fixed_size 0
		.amdhsa_kernarg_size 56
		.amdhsa_user_sgpr_count 6
		.amdhsa_user_sgpr_private_segment_buffer 1
		.amdhsa_user_sgpr_dispatch_ptr 0
		.amdhsa_user_sgpr_queue_ptr 0
		.amdhsa_user_sgpr_kernarg_segment_ptr 1
		.amdhsa_user_sgpr_dispatch_id 0
		.amdhsa_user_sgpr_flat_scratch_init 0
		.amdhsa_user_sgpr_kernarg_preload_length 0
		.amdhsa_user_sgpr_kernarg_preload_offset 0
		.amdhsa_user_sgpr_private_segment_size 0
		.amdhsa_uses_dynamic_stack 0
		.amdhsa_system_sgpr_private_segment_wavefront_offset 0
		.amdhsa_system_sgpr_workgroup_id_x 1
		.amdhsa_system_sgpr_workgroup_id_y 0
		.amdhsa_system_sgpr_workgroup_id_z 0
		.amdhsa_system_sgpr_workgroup_info 0
		.amdhsa_system_vgpr_workitem_id 0
		.amdhsa_next_free_vgpr 1
		.amdhsa_next_free_sgpr 0
		.amdhsa_accum_offset 4
		.amdhsa_reserve_vcc 0
		.amdhsa_reserve_flat_scratch 0
		.amdhsa_float_round_mode_32 0
		.amdhsa_float_round_mode_16_64 0
		.amdhsa_float_denorm_mode_32 3
		.amdhsa_float_denorm_mode_16_64 3
		.amdhsa_dx10_clamp 1
		.amdhsa_ieee_mode 1
		.amdhsa_fp16_overflow 0
		.amdhsa_tg_split 0
		.amdhsa_exception_fp_ieee_invalid_op 0
		.amdhsa_exception_fp_denorm_src 0
		.amdhsa_exception_fp_ieee_div_zero 0
		.amdhsa_exception_fp_ieee_overflow 0
		.amdhsa_exception_fp_ieee_underflow 0
		.amdhsa_exception_fp_ieee_inexact 0
		.amdhsa_exception_int_div_zero 0
	.end_amdhsa_kernel
	.section	.text._ZN7rocprim17ROCPRIM_400000_NS6detail17trampoline_kernelINS0_14default_configENS1_25transform_config_selectorIjLb0EEEZNS1_14transform_implILb0ES3_S5_NS0_18transform_iteratorINS0_17counting_iteratorImlEEZNS1_24adjacent_difference_implIS3_Lb1ELb0EPjSB_N6thrust23THRUST_200600_302600_NS5minusIjEEEE10hipError_tPvRmT2_T3_mT4_P12ihipStream_tbEUlmE_jEESB_NS0_8identityIvEEEESG_SJ_SK_mSL_SN_bEUlT_E_NS1_11comp_targetILNS1_3genE5ELNS1_11target_archE942ELNS1_3gpuE9ELNS1_3repE0EEENS1_30default_config_static_selectorELNS0_4arch9wavefront6targetE1EEEvT1_,"axG",@progbits,_ZN7rocprim17ROCPRIM_400000_NS6detail17trampoline_kernelINS0_14default_configENS1_25transform_config_selectorIjLb0EEEZNS1_14transform_implILb0ES3_S5_NS0_18transform_iteratorINS0_17counting_iteratorImlEEZNS1_24adjacent_difference_implIS3_Lb1ELb0EPjSB_N6thrust23THRUST_200600_302600_NS5minusIjEEEE10hipError_tPvRmT2_T3_mT4_P12ihipStream_tbEUlmE_jEESB_NS0_8identityIvEEEESG_SJ_SK_mSL_SN_bEUlT_E_NS1_11comp_targetILNS1_3genE5ELNS1_11target_archE942ELNS1_3gpuE9ELNS1_3repE0EEENS1_30default_config_static_selectorELNS0_4arch9wavefront6targetE1EEEvT1_,comdat
.Lfunc_end374:
	.size	_ZN7rocprim17ROCPRIM_400000_NS6detail17trampoline_kernelINS0_14default_configENS1_25transform_config_selectorIjLb0EEEZNS1_14transform_implILb0ES3_S5_NS0_18transform_iteratorINS0_17counting_iteratorImlEEZNS1_24adjacent_difference_implIS3_Lb1ELb0EPjSB_N6thrust23THRUST_200600_302600_NS5minusIjEEEE10hipError_tPvRmT2_T3_mT4_P12ihipStream_tbEUlmE_jEESB_NS0_8identityIvEEEESG_SJ_SK_mSL_SN_bEUlT_E_NS1_11comp_targetILNS1_3genE5ELNS1_11target_archE942ELNS1_3gpuE9ELNS1_3repE0EEENS1_30default_config_static_selectorELNS0_4arch9wavefront6targetE1EEEvT1_, .Lfunc_end374-_ZN7rocprim17ROCPRIM_400000_NS6detail17trampoline_kernelINS0_14default_configENS1_25transform_config_selectorIjLb0EEEZNS1_14transform_implILb0ES3_S5_NS0_18transform_iteratorINS0_17counting_iteratorImlEEZNS1_24adjacent_difference_implIS3_Lb1ELb0EPjSB_N6thrust23THRUST_200600_302600_NS5minusIjEEEE10hipError_tPvRmT2_T3_mT4_P12ihipStream_tbEUlmE_jEESB_NS0_8identityIvEEEESG_SJ_SK_mSL_SN_bEUlT_E_NS1_11comp_targetILNS1_3genE5ELNS1_11target_archE942ELNS1_3gpuE9ELNS1_3repE0EEENS1_30default_config_static_selectorELNS0_4arch9wavefront6targetE1EEEvT1_
                                        ; -- End function
	.section	.AMDGPU.csdata,"",@progbits
; Kernel info:
; codeLenInByte = 0
; NumSgprs: 4
; NumVgprs: 0
; NumAgprs: 0
; TotalNumVgprs: 0
; ScratchSize: 0
; MemoryBound: 0
; FloatMode: 240
; IeeeMode: 1
; LDSByteSize: 0 bytes/workgroup (compile time only)
; SGPRBlocks: 0
; VGPRBlocks: 0
; NumSGPRsForWavesPerEU: 4
; NumVGPRsForWavesPerEU: 1
; AccumOffset: 4
; Occupancy: 8
; WaveLimiterHint : 0
; COMPUTE_PGM_RSRC2:SCRATCH_EN: 0
; COMPUTE_PGM_RSRC2:USER_SGPR: 6
; COMPUTE_PGM_RSRC2:TRAP_HANDLER: 0
; COMPUTE_PGM_RSRC2:TGID_X_EN: 1
; COMPUTE_PGM_RSRC2:TGID_Y_EN: 0
; COMPUTE_PGM_RSRC2:TGID_Z_EN: 0
; COMPUTE_PGM_RSRC2:TIDIG_COMP_CNT: 0
; COMPUTE_PGM_RSRC3_GFX90A:ACCUM_OFFSET: 0
; COMPUTE_PGM_RSRC3_GFX90A:TG_SPLIT: 0
	.section	.text._ZN7rocprim17ROCPRIM_400000_NS6detail17trampoline_kernelINS0_14default_configENS1_25transform_config_selectorIjLb0EEEZNS1_14transform_implILb0ES3_S5_NS0_18transform_iteratorINS0_17counting_iteratorImlEEZNS1_24adjacent_difference_implIS3_Lb1ELb0EPjSB_N6thrust23THRUST_200600_302600_NS5minusIjEEEE10hipError_tPvRmT2_T3_mT4_P12ihipStream_tbEUlmE_jEESB_NS0_8identityIvEEEESG_SJ_SK_mSL_SN_bEUlT_E_NS1_11comp_targetILNS1_3genE4ELNS1_11target_archE910ELNS1_3gpuE8ELNS1_3repE0EEENS1_30default_config_static_selectorELNS0_4arch9wavefront6targetE1EEEvT1_,"axG",@progbits,_ZN7rocprim17ROCPRIM_400000_NS6detail17trampoline_kernelINS0_14default_configENS1_25transform_config_selectorIjLb0EEEZNS1_14transform_implILb0ES3_S5_NS0_18transform_iteratorINS0_17counting_iteratorImlEEZNS1_24adjacent_difference_implIS3_Lb1ELb0EPjSB_N6thrust23THRUST_200600_302600_NS5minusIjEEEE10hipError_tPvRmT2_T3_mT4_P12ihipStream_tbEUlmE_jEESB_NS0_8identityIvEEEESG_SJ_SK_mSL_SN_bEUlT_E_NS1_11comp_targetILNS1_3genE4ELNS1_11target_archE910ELNS1_3gpuE8ELNS1_3repE0EEENS1_30default_config_static_selectorELNS0_4arch9wavefront6targetE1EEEvT1_,comdat
	.protected	_ZN7rocprim17ROCPRIM_400000_NS6detail17trampoline_kernelINS0_14default_configENS1_25transform_config_selectorIjLb0EEEZNS1_14transform_implILb0ES3_S5_NS0_18transform_iteratorINS0_17counting_iteratorImlEEZNS1_24adjacent_difference_implIS3_Lb1ELb0EPjSB_N6thrust23THRUST_200600_302600_NS5minusIjEEEE10hipError_tPvRmT2_T3_mT4_P12ihipStream_tbEUlmE_jEESB_NS0_8identityIvEEEESG_SJ_SK_mSL_SN_bEUlT_E_NS1_11comp_targetILNS1_3genE4ELNS1_11target_archE910ELNS1_3gpuE8ELNS1_3repE0EEENS1_30default_config_static_selectorELNS0_4arch9wavefront6targetE1EEEvT1_ ; -- Begin function _ZN7rocprim17ROCPRIM_400000_NS6detail17trampoline_kernelINS0_14default_configENS1_25transform_config_selectorIjLb0EEEZNS1_14transform_implILb0ES3_S5_NS0_18transform_iteratorINS0_17counting_iteratorImlEEZNS1_24adjacent_difference_implIS3_Lb1ELb0EPjSB_N6thrust23THRUST_200600_302600_NS5minusIjEEEE10hipError_tPvRmT2_T3_mT4_P12ihipStream_tbEUlmE_jEESB_NS0_8identityIvEEEESG_SJ_SK_mSL_SN_bEUlT_E_NS1_11comp_targetILNS1_3genE4ELNS1_11target_archE910ELNS1_3gpuE8ELNS1_3repE0EEENS1_30default_config_static_selectorELNS0_4arch9wavefront6targetE1EEEvT1_
	.globl	_ZN7rocprim17ROCPRIM_400000_NS6detail17trampoline_kernelINS0_14default_configENS1_25transform_config_selectorIjLb0EEEZNS1_14transform_implILb0ES3_S5_NS0_18transform_iteratorINS0_17counting_iteratorImlEEZNS1_24adjacent_difference_implIS3_Lb1ELb0EPjSB_N6thrust23THRUST_200600_302600_NS5minusIjEEEE10hipError_tPvRmT2_T3_mT4_P12ihipStream_tbEUlmE_jEESB_NS0_8identityIvEEEESG_SJ_SK_mSL_SN_bEUlT_E_NS1_11comp_targetILNS1_3genE4ELNS1_11target_archE910ELNS1_3gpuE8ELNS1_3repE0EEENS1_30default_config_static_selectorELNS0_4arch9wavefront6targetE1EEEvT1_
	.p2align	8
	.type	_ZN7rocprim17ROCPRIM_400000_NS6detail17trampoline_kernelINS0_14default_configENS1_25transform_config_selectorIjLb0EEEZNS1_14transform_implILb0ES3_S5_NS0_18transform_iteratorINS0_17counting_iteratorImlEEZNS1_24adjacent_difference_implIS3_Lb1ELb0EPjSB_N6thrust23THRUST_200600_302600_NS5minusIjEEEE10hipError_tPvRmT2_T3_mT4_P12ihipStream_tbEUlmE_jEESB_NS0_8identityIvEEEESG_SJ_SK_mSL_SN_bEUlT_E_NS1_11comp_targetILNS1_3genE4ELNS1_11target_archE910ELNS1_3gpuE8ELNS1_3repE0EEENS1_30default_config_static_selectorELNS0_4arch9wavefront6targetE1EEEvT1_,@function
_ZN7rocprim17ROCPRIM_400000_NS6detail17trampoline_kernelINS0_14default_configENS1_25transform_config_selectorIjLb0EEEZNS1_14transform_implILb0ES3_S5_NS0_18transform_iteratorINS0_17counting_iteratorImlEEZNS1_24adjacent_difference_implIS3_Lb1ELb0EPjSB_N6thrust23THRUST_200600_302600_NS5minusIjEEEE10hipError_tPvRmT2_T3_mT4_P12ihipStream_tbEUlmE_jEESB_NS0_8identityIvEEEESG_SJ_SK_mSL_SN_bEUlT_E_NS1_11comp_targetILNS1_3genE4ELNS1_11target_archE910ELNS1_3gpuE8ELNS1_3repE0EEENS1_30default_config_static_selectorELNS0_4arch9wavefront6targetE1EEEvT1_: ; @_ZN7rocprim17ROCPRIM_400000_NS6detail17trampoline_kernelINS0_14default_configENS1_25transform_config_selectorIjLb0EEEZNS1_14transform_implILb0ES3_S5_NS0_18transform_iteratorINS0_17counting_iteratorImlEEZNS1_24adjacent_difference_implIS3_Lb1ELb0EPjSB_N6thrust23THRUST_200600_302600_NS5minusIjEEEE10hipError_tPvRmT2_T3_mT4_P12ihipStream_tbEUlmE_jEESB_NS0_8identityIvEEEESG_SJ_SK_mSL_SN_bEUlT_E_NS1_11comp_targetILNS1_3genE4ELNS1_11target_archE910ELNS1_3gpuE8ELNS1_3repE0EEENS1_30default_config_static_selectorELNS0_4arch9wavefront6targetE1EEEvT1_
; %bb.0:
	s_load_dwordx4 s[0:3], s[4:5], 0x18
	s_load_dwordx2 s[14:15], s[4:5], 0x28
	s_load_dwordx4 s[8:11], s[4:5], 0x0
	s_load_dword s12, s[4:5], 0x10
	s_waitcnt lgkmcnt(0)
	s_load_dword s3, s[4:5], 0x38
                                        ; kill: killed $sgpr4_sgpr5
	s_lshl_b64 s[4:5], s[0:1], 2
	s_add_u32 s14, s14, s4
	s_addc_u32 s15, s15, s5
	s_lshl_b32 s4, s6, 11
	s_waitcnt lgkmcnt(0)
	s_add_i32 s3, s3, -1
	s_add_u32 s7, s8, s4
	s_addc_u32 s8, s9, 0
	s_add_u32 s16, s7, s0
	s_addc_u32 s17, s8, s1
	s_mov_b32 s5, 0
	s_cmp_lg_u32 s6, s3
	v_lshlrev_b32_e32 v1, 2, v0
	s_cbranch_scc0 .LBB375_2
; %bb.1:
	v_mov_b32_e32 v2, s17
	v_add_co_u32_e32 v3, vcc, s16, v0
	v_addc_co_u32_e32 v5, vcc, 0, v2, vcc
	v_mad_u64_u32 v[2:3], s[0:1], v3, s12, 0
	v_mov_b32_e32 v4, v3
	v_mad_u64_u32 v[4:5], s[0:1], v5, s12, v[4:5]
	v_mov_b32_e32 v3, v4
	v_lshlrev_b64 v[2:3], 2, v[2:3]
	s_mov_b32 s13, s5
	v_mov_b32_e32 v4, s11
	v_add_co_u32_e32 v2, vcc, s10, v2
	v_addc_co_u32_e32 v3, vcc, v4, v3, vcc
	s_lshl_b64 s[0:1], s[12:13], 12
	global_load_dword v6, v[2:3], off
	v_mov_b32_e32 v4, s1
	v_add_co_u32_e32 v2, vcc, s0, v2
	v_addc_co_u32_e32 v3, vcc, v3, v4, vcc
	global_load_dword v3, v[2:3], off
	s_lshl_b64 s[6:7], s[4:5], 2
	s_add_u32 s6, s14, s6
	s_addc_u32 s7, s15, s7
	v_mov_b32_e32 v2, s7
	v_add_co_u32_e32 v4, vcc, s6, v1
	v_addc_co_u32_e32 v5, vcc, 0, v2, vcc
	s_waitcnt vmcnt(1)
	global_store_dword v1, v6, s[6:7]
	s_mov_b64 s[6:7], -1
	s_cbranch_execz .LBB375_3
	s_branch .LBB375_12
.LBB375_2:
	s_mov_b64 s[6:7], 0
                                        ; implicit-def: $vgpr3
                                        ; implicit-def: $vgpr4_vgpr5
.LBB375_3:
	s_sub_i32 s8, s2, s4
	v_cmp_gt_u32_e32 vcc, s8, v0
                                        ; implicit-def: $vgpr2_vgpr3
	s_and_saveexec_b64 s[2:3], vcc
	s_cbranch_execz .LBB375_5
; %bb.4:
	v_mov_b32_e32 v2, s17
	s_waitcnt vmcnt(1)
	v_add_co_u32_e64 v3, s[0:1], s16, v0
	v_addc_co_u32_e64 v5, s[0:1], 0, v2, s[0:1]
	v_mad_u64_u32 v[2:3], s[0:1], v3, s12, 0
	v_mov_b32_e32 v4, v3
	v_mad_u64_u32 v[4:5], s[0:1], v5, s12, v[4:5]
	v_mov_b32_e32 v3, v4
	v_lshlrev_b64 v[2:3], 2, v[2:3]
	v_mov_b32_e32 v4, s11
	v_add_co_u32_e64 v2, s[0:1], s10, v2
	v_addc_co_u32_e64 v3, s[0:1], v4, v3, s[0:1]
	global_load_dword v2, v[2:3], off
.LBB375_5:
	s_or_b64 exec, exec, s[2:3]
	v_or_b32_e32 v0, 0x400, v0
	v_cmp_gt_u32_e64 s[0:1], s8, v0
	s_and_saveexec_b64 s[8:9], s[0:1]
	s_cbranch_execz .LBB375_7
; %bb.6:
	s_waitcnt vmcnt(1)
	v_mov_b32_e32 v3, s17
	v_add_co_u32_e64 v0, s[2:3], s16, v0
	v_addc_co_u32_e64 v3, s[2:3], 0, v3, s[2:3]
	v_mad_u64_u32 v[4:5], s[2:3], v0, s12, 0
	v_mov_b32_e32 v0, v5
	v_mad_u64_u32 v[6:7], s[2:3], v3, s12, v[0:1]
	v_mov_b32_e32 v5, v6
	v_lshlrev_b64 v[4:5], 2, v[4:5]
	v_mov_b32_e32 v0, s11
	v_add_co_u32_e64 v4, s[2:3], s10, v4
	v_addc_co_u32_e64 v5, s[2:3], v0, v5, s[2:3]
	global_load_dword v3, v[4:5], off
.LBB375_7:
	s_or_b64 exec, exec, s[8:9]
	s_lshl_b64 s[2:3], s[4:5], 2
	s_add_u32 s2, s14, s2
	s_addc_u32 s3, s15, s3
	v_mov_b32_e32 v0, s3
	v_add_co_u32_e64 v4, s[2:3], s2, v1
	v_addc_co_u32_e64 v5, s[2:3], 0, v0, s[2:3]
	s_and_saveexec_b64 s[2:3], vcc
	s_cbranch_execz .LBB375_9
; %bb.8:
	s_waitcnt vmcnt(0)
	global_store_dword v[4:5], v2, off
.LBB375_9:
	s_or_b64 exec, exec, s[2:3]
	s_and_saveexec_b64 s[2:3], s[0:1]
; %bb.10:
	s_or_b64 s[6:7], s[6:7], exec
; %bb.11:
	s_or_b64 exec, exec, s[2:3]
.LBB375_12:
	s_and_saveexec_b64 s[0:1], s[6:7]
	s_cbranch_execnz .LBB375_14
; %bb.13:
	s_endpgm
.LBB375_14:
	v_add_co_u32_e32 v0, vcc, 0x1000, v4
	v_addc_co_u32_e32 v1, vcc, 0, v5, vcc
	s_waitcnt vmcnt(0)
	global_store_dword v[0:1], v3, off
	s_endpgm
	.section	.rodata,"a",@progbits
	.p2align	6, 0x0
	.amdhsa_kernel _ZN7rocprim17ROCPRIM_400000_NS6detail17trampoline_kernelINS0_14default_configENS1_25transform_config_selectorIjLb0EEEZNS1_14transform_implILb0ES3_S5_NS0_18transform_iteratorINS0_17counting_iteratorImlEEZNS1_24adjacent_difference_implIS3_Lb1ELb0EPjSB_N6thrust23THRUST_200600_302600_NS5minusIjEEEE10hipError_tPvRmT2_T3_mT4_P12ihipStream_tbEUlmE_jEESB_NS0_8identityIvEEEESG_SJ_SK_mSL_SN_bEUlT_E_NS1_11comp_targetILNS1_3genE4ELNS1_11target_archE910ELNS1_3gpuE8ELNS1_3repE0EEENS1_30default_config_static_selectorELNS0_4arch9wavefront6targetE1EEEvT1_
		.amdhsa_group_segment_fixed_size 0
		.amdhsa_private_segment_fixed_size 0
		.amdhsa_kernarg_size 312
		.amdhsa_user_sgpr_count 6
		.amdhsa_user_sgpr_private_segment_buffer 1
		.amdhsa_user_sgpr_dispatch_ptr 0
		.amdhsa_user_sgpr_queue_ptr 0
		.amdhsa_user_sgpr_kernarg_segment_ptr 1
		.amdhsa_user_sgpr_dispatch_id 0
		.amdhsa_user_sgpr_flat_scratch_init 0
		.amdhsa_user_sgpr_kernarg_preload_length 0
		.amdhsa_user_sgpr_kernarg_preload_offset 0
		.amdhsa_user_sgpr_private_segment_size 0
		.amdhsa_uses_dynamic_stack 0
		.amdhsa_system_sgpr_private_segment_wavefront_offset 0
		.amdhsa_system_sgpr_workgroup_id_x 1
		.amdhsa_system_sgpr_workgroup_id_y 0
		.amdhsa_system_sgpr_workgroup_id_z 0
		.amdhsa_system_sgpr_workgroup_info 0
		.amdhsa_system_vgpr_workitem_id 0
		.amdhsa_next_free_vgpr 8
		.amdhsa_next_free_sgpr 18
		.amdhsa_accum_offset 8
		.amdhsa_reserve_vcc 1
		.amdhsa_reserve_flat_scratch 0
		.amdhsa_float_round_mode_32 0
		.amdhsa_float_round_mode_16_64 0
		.amdhsa_float_denorm_mode_32 3
		.amdhsa_float_denorm_mode_16_64 3
		.amdhsa_dx10_clamp 1
		.amdhsa_ieee_mode 1
		.amdhsa_fp16_overflow 0
		.amdhsa_tg_split 0
		.amdhsa_exception_fp_ieee_invalid_op 0
		.amdhsa_exception_fp_denorm_src 0
		.amdhsa_exception_fp_ieee_div_zero 0
		.amdhsa_exception_fp_ieee_overflow 0
		.amdhsa_exception_fp_ieee_underflow 0
		.amdhsa_exception_fp_ieee_inexact 0
		.amdhsa_exception_int_div_zero 0
	.end_amdhsa_kernel
	.section	.text._ZN7rocprim17ROCPRIM_400000_NS6detail17trampoline_kernelINS0_14default_configENS1_25transform_config_selectorIjLb0EEEZNS1_14transform_implILb0ES3_S5_NS0_18transform_iteratorINS0_17counting_iteratorImlEEZNS1_24adjacent_difference_implIS3_Lb1ELb0EPjSB_N6thrust23THRUST_200600_302600_NS5minusIjEEEE10hipError_tPvRmT2_T3_mT4_P12ihipStream_tbEUlmE_jEESB_NS0_8identityIvEEEESG_SJ_SK_mSL_SN_bEUlT_E_NS1_11comp_targetILNS1_3genE4ELNS1_11target_archE910ELNS1_3gpuE8ELNS1_3repE0EEENS1_30default_config_static_selectorELNS0_4arch9wavefront6targetE1EEEvT1_,"axG",@progbits,_ZN7rocprim17ROCPRIM_400000_NS6detail17trampoline_kernelINS0_14default_configENS1_25transform_config_selectorIjLb0EEEZNS1_14transform_implILb0ES3_S5_NS0_18transform_iteratorINS0_17counting_iteratorImlEEZNS1_24adjacent_difference_implIS3_Lb1ELb0EPjSB_N6thrust23THRUST_200600_302600_NS5minusIjEEEE10hipError_tPvRmT2_T3_mT4_P12ihipStream_tbEUlmE_jEESB_NS0_8identityIvEEEESG_SJ_SK_mSL_SN_bEUlT_E_NS1_11comp_targetILNS1_3genE4ELNS1_11target_archE910ELNS1_3gpuE8ELNS1_3repE0EEENS1_30default_config_static_selectorELNS0_4arch9wavefront6targetE1EEEvT1_,comdat
.Lfunc_end375:
	.size	_ZN7rocprim17ROCPRIM_400000_NS6detail17trampoline_kernelINS0_14default_configENS1_25transform_config_selectorIjLb0EEEZNS1_14transform_implILb0ES3_S5_NS0_18transform_iteratorINS0_17counting_iteratorImlEEZNS1_24adjacent_difference_implIS3_Lb1ELb0EPjSB_N6thrust23THRUST_200600_302600_NS5minusIjEEEE10hipError_tPvRmT2_T3_mT4_P12ihipStream_tbEUlmE_jEESB_NS0_8identityIvEEEESG_SJ_SK_mSL_SN_bEUlT_E_NS1_11comp_targetILNS1_3genE4ELNS1_11target_archE910ELNS1_3gpuE8ELNS1_3repE0EEENS1_30default_config_static_selectorELNS0_4arch9wavefront6targetE1EEEvT1_, .Lfunc_end375-_ZN7rocprim17ROCPRIM_400000_NS6detail17trampoline_kernelINS0_14default_configENS1_25transform_config_selectorIjLb0EEEZNS1_14transform_implILb0ES3_S5_NS0_18transform_iteratorINS0_17counting_iteratorImlEEZNS1_24adjacent_difference_implIS3_Lb1ELb0EPjSB_N6thrust23THRUST_200600_302600_NS5minusIjEEEE10hipError_tPvRmT2_T3_mT4_P12ihipStream_tbEUlmE_jEESB_NS0_8identityIvEEEESG_SJ_SK_mSL_SN_bEUlT_E_NS1_11comp_targetILNS1_3genE4ELNS1_11target_archE910ELNS1_3gpuE8ELNS1_3repE0EEENS1_30default_config_static_selectorELNS0_4arch9wavefront6targetE1EEEvT1_
                                        ; -- End function
	.section	.AMDGPU.csdata,"",@progbits
; Kernel info:
; codeLenInByte = 568
; NumSgprs: 22
; NumVgprs: 8
; NumAgprs: 0
; TotalNumVgprs: 8
; ScratchSize: 0
; MemoryBound: 0
; FloatMode: 240
; IeeeMode: 1
; LDSByteSize: 0 bytes/workgroup (compile time only)
; SGPRBlocks: 2
; VGPRBlocks: 0
; NumSGPRsForWavesPerEU: 22
; NumVGPRsForWavesPerEU: 8
; AccumOffset: 8
; Occupancy: 8
; WaveLimiterHint : 0
; COMPUTE_PGM_RSRC2:SCRATCH_EN: 0
; COMPUTE_PGM_RSRC2:USER_SGPR: 6
; COMPUTE_PGM_RSRC2:TRAP_HANDLER: 0
; COMPUTE_PGM_RSRC2:TGID_X_EN: 1
; COMPUTE_PGM_RSRC2:TGID_Y_EN: 0
; COMPUTE_PGM_RSRC2:TGID_Z_EN: 0
; COMPUTE_PGM_RSRC2:TIDIG_COMP_CNT: 0
; COMPUTE_PGM_RSRC3_GFX90A:ACCUM_OFFSET: 1
; COMPUTE_PGM_RSRC3_GFX90A:TG_SPLIT: 0
	.section	.text._ZN7rocprim17ROCPRIM_400000_NS6detail17trampoline_kernelINS0_14default_configENS1_25transform_config_selectorIjLb0EEEZNS1_14transform_implILb0ES3_S5_NS0_18transform_iteratorINS0_17counting_iteratorImlEEZNS1_24adjacent_difference_implIS3_Lb1ELb0EPjSB_N6thrust23THRUST_200600_302600_NS5minusIjEEEE10hipError_tPvRmT2_T3_mT4_P12ihipStream_tbEUlmE_jEESB_NS0_8identityIvEEEESG_SJ_SK_mSL_SN_bEUlT_E_NS1_11comp_targetILNS1_3genE3ELNS1_11target_archE908ELNS1_3gpuE7ELNS1_3repE0EEENS1_30default_config_static_selectorELNS0_4arch9wavefront6targetE1EEEvT1_,"axG",@progbits,_ZN7rocprim17ROCPRIM_400000_NS6detail17trampoline_kernelINS0_14default_configENS1_25transform_config_selectorIjLb0EEEZNS1_14transform_implILb0ES3_S5_NS0_18transform_iteratorINS0_17counting_iteratorImlEEZNS1_24adjacent_difference_implIS3_Lb1ELb0EPjSB_N6thrust23THRUST_200600_302600_NS5minusIjEEEE10hipError_tPvRmT2_T3_mT4_P12ihipStream_tbEUlmE_jEESB_NS0_8identityIvEEEESG_SJ_SK_mSL_SN_bEUlT_E_NS1_11comp_targetILNS1_3genE3ELNS1_11target_archE908ELNS1_3gpuE7ELNS1_3repE0EEENS1_30default_config_static_selectorELNS0_4arch9wavefront6targetE1EEEvT1_,comdat
	.protected	_ZN7rocprim17ROCPRIM_400000_NS6detail17trampoline_kernelINS0_14default_configENS1_25transform_config_selectorIjLb0EEEZNS1_14transform_implILb0ES3_S5_NS0_18transform_iteratorINS0_17counting_iteratorImlEEZNS1_24adjacent_difference_implIS3_Lb1ELb0EPjSB_N6thrust23THRUST_200600_302600_NS5minusIjEEEE10hipError_tPvRmT2_T3_mT4_P12ihipStream_tbEUlmE_jEESB_NS0_8identityIvEEEESG_SJ_SK_mSL_SN_bEUlT_E_NS1_11comp_targetILNS1_3genE3ELNS1_11target_archE908ELNS1_3gpuE7ELNS1_3repE0EEENS1_30default_config_static_selectorELNS0_4arch9wavefront6targetE1EEEvT1_ ; -- Begin function _ZN7rocprim17ROCPRIM_400000_NS6detail17trampoline_kernelINS0_14default_configENS1_25transform_config_selectorIjLb0EEEZNS1_14transform_implILb0ES3_S5_NS0_18transform_iteratorINS0_17counting_iteratorImlEEZNS1_24adjacent_difference_implIS3_Lb1ELb0EPjSB_N6thrust23THRUST_200600_302600_NS5minusIjEEEE10hipError_tPvRmT2_T3_mT4_P12ihipStream_tbEUlmE_jEESB_NS0_8identityIvEEEESG_SJ_SK_mSL_SN_bEUlT_E_NS1_11comp_targetILNS1_3genE3ELNS1_11target_archE908ELNS1_3gpuE7ELNS1_3repE0EEENS1_30default_config_static_selectorELNS0_4arch9wavefront6targetE1EEEvT1_
	.globl	_ZN7rocprim17ROCPRIM_400000_NS6detail17trampoline_kernelINS0_14default_configENS1_25transform_config_selectorIjLb0EEEZNS1_14transform_implILb0ES3_S5_NS0_18transform_iteratorINS0_17counting_iteratorImlEEZNS1_24adjacent_difference_implIS3_Lb1ELb0EPjSB_N6thrust23THRUST_200600_302600_NS5minusIjEEEE10hipError_tPvRmT2_T3_mT4_P12ihipStream_tbEUlmE_jEESB_NS0_8identityIvEEEESG_SJ_SK_mSL_SN_bEUlT_E_NS1_11comp_targetILNS1_3genE3ELNS1_11target_archE908ELNS1_3gpuE7ELNS1_3repE0EEENS1_30default_config_static_selectorELNS0_4arch9wavefront6targetE1EEEvT1_
	.p2align	8
	.type	_ZN7rocprim17ROCPRIM_400000_NS6detail17trampoline_kernelINS0_14default_configENS1_25transform_config_selectorIjLb0EEEZNS1_14transform_implILb0ES3_S5_NS0_18transform_iteratorINS0_17counting_iteratorImlEEZNS1_24adjacent_difference_implIS3_Lb1ELb0EPjSB_N6thrust23THRUST_200600_302600_NS5minusIjEEEE10hipError_tPvRmT2_T3_mT4_P12ihipStream_tbEUlmE_jEESB_NS0_8identityIvEEEESG_SJ_SK_mSL_SN_bEUlT_E_NS1_11comp_targetILNS1_3genE3ELNS1_11target_archE908ELNS1_3gpuE7ELNS1_3repE0EEENS1_30default_config_static_selectorELNS0_4arch9wavefront6targetE1EEEvT1_,@function
_ZN7rocprim17ROCPRIM_400000_NS6detail17trampoline_kernelINS0_14default_configENS1_25transform_config_selectorIjLb0EEEZNS1_14transform_implILb0ES3_S5_NS0_18transform_iteratorINS0_17counting_iteratorImlEEZNS1_24adjacent_difference_implIS3_Lb1ELb0EPjSB_N6thrust23THRUST_200600_302600_NS5minusIjEEEE10hipError_tPvRmT2_T3_mT4_P12ihipStream_tbEUlmE_jEESB_NS0_8identityIvEEEESG_SJ_SK_mSL_SN_bEUlT_E_NS1_11comp_targetILNS1_3genE3ELNS1_11target_archE908ELNS1_3gpuE7ELNS1_3repE0EEENS1_30default_config_static_selectorELNS0_4arch9wavefront6targetE1EEEvT1_: ; @_ZN7rocprim17ROCPRIM_400000_NS6detail17trampoline_kernelINS0_14default_configENS1_25transform_config_selectorIjLb0EEEZNS1_14transform_implILb0ES3_S5_NS0_18transform_iteratorINS0_17counting_iteratorImlEEZNS1_24adjacent_difference_implIS3_Lb1ELb0EPjSB_N6thrust23THRUST_200600_302600_NS5minusIjEEEE10hipError_tPvRmT2_T3_mT4_P12ihipStream_tbEUlmE_jEESB_NS0_8identityIvEEEESG_SJ_SK_mSL_SN_bEUlT_E_NS1_11comp_targetILNS1_3genE3ELNS1_11target_archE908ELNS1_3gpuE7ELNS1_3repE0EEENS1_30default_config_static_selectorELNS0_4arch9wavefront6targetE1EEEvT1_
; %bb.0:
	.section	.rodata,"a",@progbits
	.p2align	6, 0x0
	.amdhsa_kernel _ZN7rocprim17ROCPRIM_400000_NS6detail17trampoline_kernelINS0_14default_configENS1_25transform_config_selectorIjLb0EEEZNS1_14transform_implILb0ES3_S5_NS0_18transform_iteratorINS0_17counting_iteratorImlEEZNS1_24adjacent_difference_implIS3_Lb1ELb0EPjSB_N6thrust23THRUST_200600_302600_NS5minusIjEEEE10hipError_tPvRmT2_T3_mT4_P12ihipStream_tbEUlmE_jEESB_NS0_8identityIvEEEESG_SJ_SK_mSL_SN_bEUlT_E_NS1_11comp_targetILNS1_3genE3ELNS1_11target_archE908ELNS1_3gpuE7ELNS1_3repE0EEENS1_30default_config_static_selectorELNS0_4arch9wavefront6targetE1EEEvT1_
		.amdhsa_group_segment_fixed_size 0
		.amdhsa_private_segment_fixed_size 0
		.amdhsa_kernarg_size 56
		.amdhsa_user_sgpr_count 6
		.amdhsa_user_sgpr_private_segment_buffer 1
		.amdhsa_user_sgpr_dispatch_ptr 0
		.amdhsa_user_sgpr_queue_ptr 0
		.amdhsa_user_sgpr_kernarg_segment_ptr 1
		.amdhsa_user_sgpr_dispatch_id 0
		.amdhsa_user_sgpr_flat_scratch_init 0
		.amdhsa_user_sgpr_kernarg_preload_length 0
		.amdhsa_user_sgpr_kernarg_preload_offset 0
		.amdhsa_user_sgpr_private_segment_size 0
		.amdhsa_uses_dynamic_stack 0
		.amdhsa_system_sgpr_private_segment_wavefront_offset 0
		.amdhsa_system_sgpr_workgroup_id_x 1
		.amdhsa_system_sgpr_workgroup_id_y 0
		.amdhsa_system_sgpr_workgroup_id_z 0
		.amdhsa_system_sgpr_workgroup_info 0
		.amdhsa_system_vgpr_workitem_id 0
		.amdhsa_next_free_vgpr 1
		.amdhsa_next_free_sgpr 0
		.amdhsa_accum_offset 4
		.amdhsa_reserve_vcc 0
		.amdhsa_reserve_flat_scratch 0
		.amdhsa_float_round_mode_32 0
		.amdhsa_float_round_mode_16_64 0
		.amdhsa_float_denorm_mode_32 3
		.amdhsa_float_denorm_mode_16_64 3
		.amdhsa_dx10_clamp 1
		.amdhsa_ieee_mode 1
		.amdhsa_fp16_overflow 0
		.amdhsa_tg_split 0
		.amdhsa_exception_fp_ieee_invalid_op 0
		.amdhsa_exception_fp_denorm_src 0
		.amdhsa_exception_fp_ieee_div_zero 0
		.amdhsa_exception_fp_ieee_overflow 0
		.amdhsa_exception_fp_ieee_underflow 0
		.amdhsa_exception_fp_ieee_inexact 0
		.amdhsa_exception_int_div_zero 0
	.end_amdhsa_kernel
	.section	.text._ZN7rocprim17ROCPRIM_400000_NS6detail17trampoline_kernelINS0_14default_configENS1_25transform_config_selectorIjLb0EEEZNS1_14transform_implILb0ES3_S5_NS0_18transform_iteratorINS0_17counting_iteratorImlEEZNS1_24adjacent_difference_implIS3_Lb1ELb0EPjSB_N6thrust23THRUST_200600_302600_NS5minusIjEEEE10hipError_tPvRmT2_T3_mT4_P12ihipStream_tbEUlmE_jEESB_NS0_8identityIvEEEESG_SJ_SK_mSL_SN_bEUlT_E_NS1_11comp_targetILNS1_3genE3ELNS1_11target_archE908ELNS1_3gpuE7ELNS1_3repE0EEENS1_30default_config_static_selectorELNS0_4arch9wavefront6targetE1EEEvT1_,"axG",@progbits,_ZN7rocprim17ROCPRIM_400000_NS6detail17trampoline_kernelINS0_14default_configENS1_25transform_config_selectorIjLb0EEEZNS1_14transform_implILb0ES3_S5_NS0_18transform_iteratorINS0_17counting_iteratorImlEEZNS1_24adjacent_difference_implIS3_Lb1ELb0EPjSB_N6thrust23THRUST_200600_302600_NS5minusIjEEEE10hipError_tPvRmT2_T3_mT4_P12ihipStream_tbEUlmE_jEESB_NS0_8identityIvEEEESG_SJ_SK_mSL_SN_bEUlT_E_NS1_11comp_targetILNS1_3genE3ELNS1_11target_archE908ELNS1_3gpuE7ELNS1_3repE0EEENS1_30default_config_static_selectorELNS0_4arch9wavefront6targetE1EEEvT1_,comdat
.Lfunc_end376:
	.size	_ZN7rocprim17ROCPRIM_400000_NS6detail17trampoline_kernelINS0_14default_configENS1_25transform_config_selectorIjLb0EEEZNS1_14transform_implILb0ES3_S5_NS0_18transform_iteratorINS0_17counting_iteratorImlEEZNS1_24adjacent_difference_implIS3_Lb1ELb0EPjSB_N6thrust23THRUST_200600_302600_NS5minusIjEEEE10hipError_tPvRmT2_T3_mT4_P12ihipStream_tbEUlmE_jEESB_NS0_8identityIvEEEESG_SJ_SK_mSL_SN_bEUlT_E_NS1_11comp_targetILNS1_3genE3ELNS1_11target_archE908ELNS1_3gpuE7ELNS1_3repE0EEENS1_30default_config_static_selectorELNS0_4arch9wavefront6targetE1EEEvT1_, .Lfunc_end376-_ZN7rocprim17ROCPRIM_400000_NS6detail17trampoline_kernelINS0_14default_configENS1_25transform_config_selectorIjLb0EEEZNS1_14transform_implILb0ES3_S5_NS0_18transform_iteratorINS0_17counting_iteratorImlEEZNS1_24adjacent_difference_implIS3_Lb1ELb0EPjSB_N6thrust23THRUST_200600_302600_NS5minusIjEEEE10hipError_tPvRmT2_T3_mT4_P12ihipStream_tbEUlmE_jEESB_NS0_8identityIvEEEESG_SJ_SK_mSL_SN_bEUlT_E_NS1_11comp_targetILNS1_3genE3ELNS1_11target_archE908ELNS1_3gpuE7ELNS1_3repE0EEENS1_30default_config_static_selectorELNS0_4arch9wavefront6targetE1EEEvT1_
                                        ; -- End function
	.section	.AMDGPU.csdata,"",@progbits
; Kernel info:
; codeLenInByte = 0
; NumSgprs: 4
; NumVgprs: 0
; NumAgprs: 0
; TotalNumVgprs: 0
; ScratchSize: 0
; MemoryBound: 0
; FloatMode: 240
; IeeeMode: 1
; LDSByteSize: 0 bytes/workgroup (compile time only)
; SGPRBlocks: 0
; VGPRBlocks: 0
; NumSGPRsForWavesPerEU: 4
; NumVGPRsForWavesPerEU: 1
; AccumOffset: 4
; Occupancy: 8
; WaveLimiterHint : 0
; COMPUTE_PGM_RSRC2:SCRATCH_EN: 0
; COMPUTE_PGM_RSRC2:USER_SGPR: 6
; COMPUTE_PGM_RSRC2:TRAP_HANDLER: 0
; COMPUTE_PGM_RSRC2:TGID_X_EN: 1
; COMPUTE_PGM_RSRC2:TGID_Y_EN: 0
; COMPUTE_PGM_RSRC2:TGID_Z_EN: 0
; COMPUTE_PGM_RSRC2:TIDIG_COMP_CNT: 0
; COMPUTE_PGM_RSRC3_GFX90A:ACCUM_OFFSET: 0
; COMPUTE_PGM_RSRC3_GFX90A:TG_SPLIT: 0
	.section	.text._ZN7rocprim17ROCPRIM_400000_NS6detail17trampoline_kernelINS0_14default_configENS1_25transform_config_selectorIjLb0EEEZNS1_14transform_implILb0ES3_S5_NS0_18transform_iteratorINS0_17counting_iteratorImlEEZNS1_24adjacent_difference_implIS3_Lb1ELb0EPjSB_N6thrust23THRUST_200600_302600_NS5minusIjEEEE10hipError_tPvRmT2_T3_mT4_P12ihipStream_tbEUlmE_jEESB_NS0_8identityIvEEEESG_SJ_SK_mSL_SN_bEUlT_E_NS1_11comp_targetILNS1_3genE2ELNS1_11target_archE906ELNS1_3gpuE6ELNS1_3repE0EEENS1_30default_config_static_selectorELNS0_4arch9wavefront6targetE1EEEvT1_,"axG",@progbits,_ZN7rocprim17ROCPRIM_400000_NS6detail17trampoline_kernelINS0_14default_configENS1_25transform_config_selectorIjLb0EEEZNS1_14transform_implILb0ES3_S5_NS0_18transform_iteratorINS0_17counting_iteratorImlEEZNS1_24adjacent_difference_implIS3_Lb1ELb0EPjSB_N6thrust23THRUST_200600_302600_NS5minusIjEEEE10hipError_tPvRmT2_T3_mT4_P12ihipStream_tbEUlmE_jEESB_NS0_8identityIvEEEESG_SJ_SK_mSL_SN_bEUlT_E_NS1_11comp_targetILNS1_3genE2ELNS1_11target_archE906ELNS1_3gpuE6ELNS1_3repE0EEENS1_30default_config_static_selectorELNS0_4arch9wavefront6targetE1EEEvT1_,comdat
	.protected	_ZN7rocprim17ROCPRIM_400000_NS6detail17trampoline_kernelINS0_14default_configENS1_25transform_config_selectorIjLb0EEEZNS1_14transform_implILb0ES3_S5_NS0_18transform_iteratorINS0_17counting_iteratorImlEEZNS1_24adjacent_difference_implIS3_Lb1ELb0EPjSB_N6thrust23THRUST_200600_302600_NS5minusIjEEEE10hipError_tPvRmT2_T3_mT4_P12ihipStream_tbEUlmE_jEESB_NS0_8identityIvEEEESG_SJ_SK_mSL_SN_bEUlT_E_NS1_11comp_targetILNS1_3genE2ELNS1_11target_archE906ELNS1_3gpuE6ELNS1_3repE0EEENS1_30default_config_static_selectorELNS0_4arch9wavefront6targetE1EEEvT1_ ; -- Begin function _ZN7rocprim17ROCPRIM_400000_NS6detail17trampoline_kernelINS0_14default_configENS1_25transform_config_selectorIjLb0EEEZNS1_14transform_implILb0ES3_S5_NS0_18transform_iteratorINS0_17counting_iteratorImlEEZNS1_24adjacent_difference_implIS3_Lb1ELb0EPjSB_N6thrust23THRUST_200600_302600_NS5minusIjEEEE10hipError_tPvRmT2_T3_mT4_P12ihipStream_tbEUlmE_jEESB_NS0_8identityIvEEEESG_SJ_SK_mSL_SN_bEUlT_E_NS1_11comp_targetILNS1_3genE2ELNS1_11target_archE906ELNS1_3gpuE6ELNS1_3repE0EEENS1_30default_config_static_selectorELNS0_4arch9wavefront6targetE1EEEvT1_
	.globl	_ZN7rocprim17ROCPRIM_400000_NS6detail17trampoline_kernelINS0_14default_configENS1_25transform_config_selectorIjLb0EEEZNS1_14transform_implILb0ES3_S5_NS0_18transform_iteratorINS0_17counting_iteratorImlEEZNS1_24adjacent_difference_implIS3_Lb1ELb0EPjSB_N6thrust23THRUST_200600_302600_NS5minusIjEEEE10hipError_tPvRmT2_T3_mT4_P12ihipStream_tbEUlmE_jEESB_NS0_8identityIvEEEESG_SJ_SK_mSL_SN_bEUlT_E_NS1_11comp_targetILNS1_3genE2ELNS1_11target_archE906ELNS1_3gpuE6ELNS1_3repE0EEENS1_30default_config_static_selectorELNS0_4arch9wavefront6targetE1EEEvT1_
	.p2align	8
	.type	_ZN7rocprim17ROCPRIM_400000_NS6detail17trampoline_kernelINS0_14default_configENS1_25transform_config_selectorIjLb0EEEZNS1_14transform_implILb0ES3_S5_NS0_18transform_iteratorINS0_17counting_iteratorImlEEZNS1_24adjacent_difference_implIS3_Lb1ELb0EPjSB_N6thrust23THRUST_200600_302600_NS5minusIjEEEE10hipError_tPvRmT2_T3_mT4_P12ihipStream_tbEUlmE_jEESB_NS0_8identityIvEEEESG_SJ_SK_mSL_SN_bEUlT_E_NS1_11comp_targetILNS1_3genE2ELNS1_11target_archE906ELNS1_3gpuE6ELNS1_3repE0EEENS1_30default_config_static_selectorELNS0_4arch9wavefront6targetE1EEEvT1_,@function
_ZN7rocprim17ROCPRIM_400000_NS6detail17trampoline_kernelINS0_14default_configENS1_25transform_config_selectorIjLb0EEEZNS1_14transform_implILb0ES3_S5_NS0_18transform_iteratorINS0_17counting_iteratorImlEEZNS1_24adjacent_difference_implIS3_Lb1ELb0EPjSB_N6thrust23THRUST_200600_302600_NS5minusIjEEEE10hipError_tPvRmT2_T3_mT4_P12ihipStream_tbEUlmE_jEESB_NS0_8identityIvEEEESG_SJ_SK_mSL_SN_bEUlT_E_NS1_11comp_targetILNS1_3genE2ELNS1_11target_archE906ELNS1_3gpuE6ELNS1_3repE0EEENS1_30default_config_static_selectorELNS0_4arch9wavefront6targetE1EEEvT1_: ; @_ZN7rocprim17ROCPRIM_400000_NS6detail17trampoline_kernelINS0_14default_configENS1_25transform_config_selectorIjLb0EEEZNS1_14transform_implILb0ES3_S5_NS0_18transform_iteratorINS0_17counting_iteratorImlEEZNS1_24adjacent_difference_implIS3_Lb1ELb0EPjSB_N6thrust23THRUST_200600_302600_NS5minusIjEEEE10hipError_tPvRmT2_T3_mT4_P12ihipStream_tbEUlmE_jEESB_NS0_8identityIvEEEESG_SJ_SK_mSL_SN_bEUlT_E_NS1_11comp_targetILNS1_3genE2ELNS1_11target_archE906ELNS1_3gpuE6ELNS1_3repE0EEENS1_30default_config_static_selectorELNS0_4arch9wavefront6targetE1EEEvT1_
; %bb.0:
	.section	.rodata,"a",@progbits
	.p2align	6, 0x0
	.amdhsa_kernel _ZN7rocprim17ROCPRIM_400000_NS6detail17trampoline_kernelINS0_14default_configENS1_25transform_config_selectorIjLb0EEEZNS1_14transform_implILb0ES3_S5_NS0_18transform_iteratorINS0_17counting_iteratorImlEEZNS1_24adjacent_difference_implIS3_Lb1ELb0EPjSB_N6thrust23THRUST_200600_302600_NS5minusIjEEEE10hipError_tPvRmT2_T3_mT4_P12ihipStream_tbEUlmE_jEESB_NS0_8identityIvEEEESG_SJ_SK_mSL_SN_bEUlT_E_NS1_11comp_targetILNS1_3genE2ELNS1_11target_archE906ELNS1_3gpuE6ELNS1_3repE0EEENS1_30default_config_static_selectorELNS0_4arch9wavefront6targetE1EEEvT1_
		.amdhsa_group_segment_fixed_size 0
		.amdhsa_private_segment_fixed_size 0
		.amdhsa_kernarg_size 56
		.amdhsa_user_sgpr_count 6
		.amdhsa_user_sgpr_private_segment_buffer 1
		.amdhsa_user_sgpr_dispatch_ptr 0
		.amdhsa_user_sgpr_queue_ptr 0
		.amdhsa_user_sgpr_kernarg_segment_ptr 1
		.amdhsa_user_sgpr_dispatch_id 0
		.amdhsa_user_sgpr_flat_scratch_init 0
		.amdhsa_user_sgpr_kernarg_preload_length 0
		.amdhsa_user_sgpr_kernarg_preload_offset 0
		.amdhsa_user_sgpr_private_segment_size 0
		.amdhsa_uses_dynamic_stack 0
		.amdhsa_system_sgpr_private_segment_wavefront_offset 0
		.amdhsa_system_sgpr_workgroup_id_x 1
		.amdhsa_system_sgpr_workgroup_id_y 0
		.amdhsa_system_sgpr_workgroup_id_z 0
		.amdhsa_system_sgpr_workgroup_info 0
		.amdhsa_system_vgpr_workitem_id 0
		.amdhsa_next_free_vgpr 1
		.amdhsa_next_free_sgpr 0
		.amdhsa_accum_offset 4
		.amdhsa_reserve_vcc 0
		.amdhsa_reserve_flat_scratch 0
		.amdhsa_float_round_mode_32 0
		.amdhsa_float_round_mode_16_64 0
		.amdhsa_float_denorm_mode_32 3
		.amdhsa_float_denorm_mode_16_64 3
		.amdhsa_dx10_clamp 1
		.amdhsa_ieee_mode 1
		.amdhsa_fp16_overflow 0
		.amdhsa_tg_split 0
		.amdhsa_exception_fp_ieee_invalid_op 0
		.amdhsa_exception_fp_denorm_src 0
		.amdhsa_exception_fp_ieee_div_zero 0
		.amdhsa_exception_fp_ieee_overflow 0
		.amdhsa_exception_fp_ieee_underflow 0
		.amdhsa_exception_fp_ieee_inexact 0
		.amdhsa_exception_int_div_zero 0
	.end_amdhsa_kernel
	.section	.text._ZN7rocprim17ROCPRIM_400000_NS6detail17trampoline_kernelINS0_14default_configENS1_25transform_config_selectorIjLb0EEEZNS1_14transform_implILb0ES3_S5_NS0_18transform_iteratorINS0_17counting_iteratorImlEEZNS1_24adjacent_difference_implIS3_Lb1ELb0EPjSB_N6thrust23THRUST_200600_302600_NS5minusIjEEEE10hipError_tPvRmT2_T3_mT4_P12ihipStream_tbEUlmE_jEESB_NS0_8identityIvEEEESG_SJ_SK_mSL_SN_bEUlT_E_NS1_11comp_targetILNS1_3genE2ELNS1_11target_archE906ELNS1_3gpuE6ELNS1_3repE0EEENS1_30default_config_static_selectorELNS0_4arch9wavefront6targetE1EEEvT1_,"axG",@progbits,_ZN7rocprim17ROCPRIM_400000_NS6detail17trampoline_kernelINS0_14default_configENS1_25transform_config_selectorIjLb0EEEZNS1_14transform_implILb0ES3_S5_NS0_18transform_iteratorINS0_17counting_iteratorImlEEZNS1_24adjacent_difference_implIS3_Lb1ELb0EPjSB_N6thrust23THRUST_200600_302600_NS5minusIjEEEE10hipError_tPvRmT2_T3_mT4_P12ihipStream_tbEUlmE_jEESB_NS0_8identityIvEEEESG_SJ_SK_mSL_SN_bEUlT_E_NS1_11comp_targetILNS1_3genE2ELNS1_11target_archE906ELNS1_3gpuE6ELNS1_3repE0EEENS1_30default_config_static_selectorELNS0_4arch9wavefront6targetE1EEEvT1_,comdat
.Lfunc_end377:
	.size	_ZN7rocprim17ROCPRIM_400000_NS6detail17trampoline_kernelINS0_14default_configENS1_25transform_config_selectorIjLb0EEEZNS1_14transform_implILb0ES3_S5_NS0_18transform_iteratorINS0_17counting_iteratorImlEEZNS1_24adjacent_difference_implIS3_Lb1ELb0EPjSB_N6thrust23THRUST_200600_302600_NS5minusIjEEEE10hipError_tPvRmT2_T3_mT4_P12ihipStream_tbEUlmE_jEESB_NS0_8identityIvEEEESG_SJ_SK_mSL_SN_bEUlT_E_NS1_11comp_targetILNS1_3genE2ELNS1_11target_archE906ELNS1_3gpuE6ELNS1_3repE0EEENS1_30default_config_static_selectorELNS0_4arch9wavefront6targetE1EEEvT1_, .Lfunc_end377-_ZN7rocprim17ROCPRIM_400000_NS6detail17trampoline_kernelINS0_14default_configENS1_25transform_config_selectorIjLb0EEEZNS1_14transform_implILb0ES3_S5_NS0_18transform_iteratorINS0_17counting_iteratorImlEEZNS1_24adjacent_difference_implIS3_Lb1ELb0EPjSB_N6thrust23THRUST_200600_302600_NS5minusIjEEEE10hipError_tPvRmT2_T3_mT4_P12ihipStream_tbEUlmE_jEESB_NS0_8identityIvEEEESG_SJ_SK_mSL_SN_bEUlT_E_NS1_11comp_targetILNS1_3genE2ELNS1_11target_archE906ELNS1_3gpuE6ELNS1_3repE0EEENS1_30default_config_static_selectorELNS0_4arch9wavefront6targetE1EEEvT1_
                                        ; -- End function
	.section	.AMDGPU.csdata,"",@progbits
; Kernel info:
; codeLenInByte = 0
; NumSgprs: 4
; NumVgprs: 0
; NumAgprs: 0
; TotalNumVgprs: 0
; ScratchSize: 0
; MemoryBound: 0
; FloatMode: 240
; IeeeMode: 1
; LDSByteSize: 0 bytes/workgroup (compile time only)
; SGPRBlocks: 0
; VGPRBlocks: 0
; NumSGPRsForWavesPerEU: 4
; NumVGPRsForWavesPerEU: 1
; AccumOffset: 4
; Occupancy: 8
; WaveLimiterHint : 0
; COMPUTE_PGM_RSRC2:SCRATCH_EN: 0
; COMPUTE_PGM_RSRC2:USER_SGPR: 6
; COMPUTE_PGM_RSRC2:TRAP_HANDLER: 0
; COMPUTE_PGM_RSRC2:TGID_X_EN: 1
; COMPUTE_PGM_RSRC2:TGID_Y_EN: 0
; COMPUTE_PGM_RSRC2:TGID_Z_EN: 0
; COMPUTE_PGM_RSRC2:TIDIG_COMP_CNT: 0
; COMPUTE_PGM_RSRC3_GFX90A:ACCUM_OFFSET: 0
; COMPUTE_PGM_RSRC3_GFX90A:TG_SPLIT: 0
	.section	.text._ZN7rocprim17ROCPRIM_400000_NS6detail17trampoline_kernelINS0_14default_configENS1_25transform_config_selectorIjLb0EEEZNS1_14transform_implILb0ES3_S5_NS0_18transform_iteratorINS0_17counting_iteratorImlEEZNS1_24adjacent_difference_implIS3_Lb1ELb0EPjSB_N6thrust23THRUST_200600_302600_NS5minusIjEEEE10hipError_tPvRmT2_T3_mT4_P12ihipStream_tbEUlmE_jEESB_NS0_8identityIvEEEESG_SJ_SK_mSL_SN_bEUlT_E_NS1_11comp_targetILNS1_3genE10ELNS1_11target_archE1201ELNS1_3gpuE5ELNS1_3repE0EEENS1_30default_config_static_selectorELNS0_4arch9wavefront6targetE1EEEvT1_,"axG",@progbits,_ZN7rocprim17ROCPRIM_400000_NS6detail17trampoline_kernelINS0_14default_configENS1_25transform_config_selectorIjLb0EEEZNS1_14transform_implILb0ES3_S5_NS0_18transform_iteratorINS0_17counting_iteratorImlEEZNS1_24adjacent_difference_implIS3_Lb1ELb0EPjSB_N6thrust23THRUST_200600_302600_NS5minusIjEEEE10hipError_tPvRmT2_T3_mT4_P12ihipStream_tbEUlmE_jEESB_NS0_8identityIvEEEESG_SJ_SK_mSL_SN_bEUlT_E_NS1_11comp_targetILNS1_3genE10ELNS1_11target_archE1201ELNS1_3gpuE5ELNS1_3repE0EEENS1_30default_config_static_selectorELNS0_4arch9wavefront6targetE1EEEvT1_,comdat
	.protected	_ZN7rocprim17ROCPRIM_400000_NS6detail17trampoline_kernelINS0_14default_configENS1_25transform_config_selectorIjLb0EEEZNS1_14transform_implILb0ES3_S5_NS0_18transform_iteratorINS0_17counting_iteratorImlEEZNS1_24adjacent_difference_implIS3_Lb1ELb0EPjSB_N6thrust23THRUST_200600_302600_NS5minusIjEEEE10hipError_tPvRmT2_T3_mT4_P12ihipStream_tbEUlmE_jEESB_NS0_8identityIvEEEESG_SJ_SK_mSL_SN_bEUlT_E_NS1_11comp_targetILNS1_3genE10ELNS1_11target_archE1201ELNS1_3gpuE5ELNS1_3repE0EEENS1_30default_config_static_selectorELNS0_4arch9wavefront6targetE1EEEvT1_ ; -- Begin function _ZN7rocprim17ROCPRIM_400000_NS6detail17trampoline_kernelINS0_14default_configENS1_25transform_config_selectorIjLb0EEEZNS1_14transform_implILb0ES3_S5_NS0_18transform_iteratorINS0_17counting_iteratorImlEEZNS1_24adjacent_difference_implIS3_Lb1ELb0EPjSB_N6thrust23THRUST_200600_302600_NS5minusIjEEEE10hipError_tPvRmT2_T3_mT4_P12ihipStream_tbEUlmE_jEESB_NS0_8identityIvEEEESG_SJ_SK_mSL_SN_bEUlT_E_NS1_11comp_targetILNS1_3genE10ELNS1_11target_archE1201ELNS1_3gpuE5ELNS1_3repE0EEENS1_30default_config_static_selectorELNS0_4arch9wavefront6targetE1EEEvT1_
	.globl	_ZN7rocprim17ROCPRIM_400000_NS6detail17trampoline_kernelINS0_14default_configENS1_25transform_config_selectorIjLb0EEEZNS1_14transform_implILb0ES3_S5_NS0_18transform_iteratorINS0_17counting_iteratorImlEEZNS1_24adjacent_difference_implIS3_Lb1ELb0EPjSB_N6thrust23THRUST_200600_302600_NS5minusIjEEEE10hipError_tPvRmT2_T3_mT4_P12ihipStream_tbEUlmE_jEESB_NS0_8identityIvEEEESG_SJ_SK_mSL_SN_bEUlT_E_NS1_11comp_targetILNS1_3genE10ELNS1_11target_archE1201ELNS1_3gpuE5ELNS1_3repE0EEENS1_30default_config_static_selectorELNS0_4arch9wavefront6targetE1EEEvT1_
	.p2align	8
	.type	_ZN7rocprim17ROCPRIM_400000_NS6detail17trampoline_kernelINS0_14default_configENS1_25transform_config_selectorIjLb0EEEZNS1_14transform_implILb0ES3_S5_NS0_18transform_iteratorINS0_17counting_iteratorImlEEZNS1_24adjacent_difference_implIS3_Lb1ELb0EPjSB_N6thrust23THRUST_200600_302600_NS5minusIjEEEE10hipError_tPvRmT2_T3_mT4_P12ihipStream_tbEUlmE_jEESB_NS0_8identityIvEEEESG_SJ_SK_mSL_SN_bEUlT_E_NS1_11comp_targetILNS1_3genE10ELNS1_11target_archE1201ELNS1_3gpuE5ELNS1_3repE0EEENS1_30default_config_static_selectorELNS0_4arch9wavefront6targetE1EEEvT1_,@function
_ZN7rocprim17ROCPRIM_400000_NS6detail17trampoline_kernelINS0_14default_configENS1_25transform_config_selectorIjLb0EEEZNS1_14transform_implILb0ES3_S5_NS0_18transform_iteratorINS0_17counting_iteratorImlEEZNS1_24adjacent_difference_implIS3_Lb1ELb0EPjSB_N6thrust23THRUST_200600_302600_NS5minusIjEEEE10hipError_tPvRmT2_T3_mT4_P12ihipStream_tbEUlmE_jEESB_NS0_8identityIvEEEESG_SJ_SK_mSL_SN_bEUlT_E_NS1_11comp_targetILNS1_3genE10ELNS1_11target_archE1201ELNS1_3gpuE5ELNS1_3repE0EEENS1_30default_config_static_selectorELNS0_4arch9wavefront6targetE1EEEvT1_: ; @_ZN7rocprim17ROCPRIM_400000_NS6detail17trampoline_kernelINS0_14default_configENS1_25transform_config_selectorIjLb0EEEZNS1_14transform_implILb0ES3_S5_NS0_18transform_iteratorINS0_17counting_iteratorImlEEZNS1_24adjacent_difference_implIS3_Lb1ELb0EPjSB_N6thrust23THRUST_200600_302600_NS5minusIjEEEE10hipError_tPvRmT2_T3_mT4_P12ihipStream_tbEUlmE_jEESB_NS0_8identityIvEEEESG_SJ_SK_mSL_SN_bEUlT_E_NS1_11comp_targetILNS1_3genE10ELNS1_11target_archE1201ELNS1_3gpuE5ELNS1_3repE0EEENS1_30default_config_static_selectorELNS0_4arch9wavefront6targetE1EEEvT1_
; %bb.0:
	.section	.rodata,"a",@progbits
	.p2align	6, 0x0
	.amdhsa_kernel _ZN7rocprim17ROCPRIM_400000_NS6detail17trampoline_kernelINS0_14default_configENS1_25transform_config_selectorIjLb0EEEZNS1_14transform_implILb0ES3_S5_NS0_18transform_iteratorINS0_17counting_iteratorImlEEZNS1_24adjacent_difference_implIS3_Lb1ELb0EPjSB_N6thrust23THRUST_200600_302600_NS5minusIjEEEE10hipError_tPvRmT2_T3_mT4_P12ihipStream_tbEUlmE_jEESB_NS0_8identityIvEEEESG_SJ_SK_mSL_SN_bEUlT_E_NS1_11comp_targetILNS1_3genE10ELNS1_11target_archE1201ELNS1_3gpuE5ELNS1_3repE0EEENS1_30default_config_static_selectorELNS0_4arch9wavefront6targetE1EEEvT1_
		.amdhsa_group_segment_fixed_size 0
		.amdhsa_private_segment_fixed_size 0
		.amdhsa_kernarg_size 56
		.amdhsa_user_sgpr_count 6
		.amdhsa_user_sgpr_private_segment_buffer 1
		.amdhsa_user_sgpr_dispatch_ptr 0
		.amdhsa_user_sgpr_queue_ptr 0
		.amdhsa_user_sgpr_kernarg_segment_ptr 1
		.amdhsa_user_sgpr_dispatch_id 0
		.amdhsa_user_sgpr_flat_scratch_init 0
		.amdhsa_user_sgpr_kernarg_preload_length 0
		.amdhsa_user_sgpr_kernarg_preload_offset 0
		.amdhsa_user_sgpr_private_segment_size 0
		.amdhsa_uses_dynamic_stack 0
		.amdhsa_system_sgpr_private_segment_wavefront_offset 0
		.amdhsa_system_sgpr_workgroup_id_x 1
		.amdhsa_system_sgpr_workgroup_id_y 0
		.amdhsa_system_sgpr_workgroup_id_z 0
		.amdhsa_system_sgpr_workgroup_info 0
		.amdhsa_system_vgpr_workitem_id 0
		.amdhsa_next_free_vgpr 1
		.amdhsa_next_free_sgpr 0
		.amdhsa_accum_offset 4
		.amdhsa_reserve_vcc 0
		.amdhsa_reserve_flat_scratch 0
		.amdhsa_float_round_mode_32 0
		.amdhsa_float_round_mode_16_64 0
		.amdhsa_float_denorm_mode_32 3
		.amdhsa_float_denorm_mode_16_64 3
		.amdhsa_dx10_clamp 1
		.amdhsa_ieee_mode 1
		.amdhsa_fp16_overflow 0
		.amdhsa_tg_split 0
		.amdhsa_exception_fp_ieee_invalid_op 0
		.amdhsa_exception_fp_denorm_src 0
		.amdhsa_exception_fp_ieee_div_zero 0
		.amdhsa_exception_fp_ieee_overflow 0
		.amdhsa_exception_fp_ieee_underflow 0
		.amdhsa_exception_fp_ieee_inexact 0
		.amdhsa_exception_int_div_zero 0
	.end_amdhsa_kernel
	.section	.text._ZN7rocprim17ROCPRIM_400000_NS6detail17trampoline_kernelINS0_14default_configENS1_25transform_config_selectorIjLb0EEEZNS1_14transform_implILb0ES3_S5_NS0_18transform_iteratorINS0_17counting_iteratorImlEEZNS1_24adjacent_difference_implIS3_Lb1ELb0EPjSB_N6thrust23THRUST_200600_302600_NS5minusIjEEEE10hipError_tPvRmT2_T3_mT4_P12ihipStream_tbEUlmE_jEESB_NS0_8identityIvEEEESG_SJ_SK_mSL_SN_bEUlT_E_NS1_11comp_targetILNS1_3genE10ELNS1_11target_archE1201ELNS1_3gpuE5ELNS1_3repE0EEENS1_30default_config_static_selectorELNS0_4arch9wavefront6targetE1EEEvT1_,"axG",@progbits,_ZN7rocprim17ROCPRIM_400000_NS6detail17trampoline_kernelINS0_14default_configENS1_25transform_config_selectorIjLb0EEEZNS1_14transform_implILb0ES3_S5_NS0_18transform_iteratorINS0_17counting_iteratorImlEEZNS1_24adjacent_difference_implIS3_Lb1ELb0EPjSB_N6thrust23THRUST_200600_302600_NS5minusIjEEEE10hipError_tPvRmT2_T3_mT4_P12ihipStream_tbEUlmE_jEESB_NS0_8identityIvEEEESG_SJ_SK_mSL_SN_bEUlT_E_NS1_11comp_targetILNS1_3genE10ELNS1_11target_archE1201ELNS1_3gpuE5ELNS1_3repE0EEENS1_30default_config_static_selectorELNS0_4arch9wavefront6targetE1EEEvT1_,comdat
.Lfunc_end378:
	.size	_ZN7rocprim17ROCPRIM_400000_NS6detail17trampoline_kernelINS0_14default_configENS1_25transform_config_selectorIjLb0EEEZNS1_14transform_implILb0ES3_S5_NS0_18transform_iteratorINS0_17counting_iteratorImlEEZNS1_24adjacent_difference_implIS3_Lb1ELb0EPjSB_N6thrust23THRUST_200600_302600_NS5minusIjEEEE10hipError_tPvRmT2_T3_mT4_P12ihipStream_tbEUlmE_jEESB_NS0_8identityIvEEEESG_SJ_SK_mSL_SN_bEUlT_E_NS1_11comp_targetILNS1_3genE10ELNS1_11target_archE1201ELNS1_3gpuE5ELNS1_3repE0EEENS1_30default_config_static_selectorELNS0_4arch9wavefront6targetE1EEEvT1_, .Lfunc_end378-_ZN7rocprim17ROCPRIM_400000_NS6detail17trampoline_kernelINS0_14default_configENS1_25transform_config_selectorIjLb0EEEZNS1_14transform_implILb0ES3_S5_NS0_18transform_iteratorINS0_17counting_iteratorImlEEZNS1_24adjacent_difference_implIS3_Lb1ELb0EPjSB_N6thrust23THRUST_200600_302600_NS5minusIjEEEE10hipError_tPvRmT2_T3_mT4_P12ihipStream_tbEUlmE_jEESB_NS0_8identityIvEEEESG_SJ_SK_mSL_SN_bEUlT_E_NS1_11comp_targetILNS1_3genE10ELNS1_11target_archE1201ELNS1_3gpuE5ELNS1_3repE0EEENS1_30default_config_static_selectorELNS0_4arch9wavefront6targetE1EEEvT1_
                                        ; -- End function
	.section	.AMDGPU.csdata,"",@progbits
; Kernel info:
; codeLenInByte = 0
; NumSgprs: 4
; NumVgprs: 0
; NumAgprs: 0
; TotalNumVgprs: 0
; ScratchSize: 0
; MemoryBound: 0
; FloatMode: 240
; IeeeMode: 1
; LDSByteSize: 0 bytes/workgroup (compile time only)
; SGPRBlocks: 0
; VGPRBlocks: 0
; NumSGPRsForWavesPerEU: 4
; NumVGPRsForWavesPerEU: 1
; AccumOffset: 4
; Occupancy: 8
; WaveLimiterHint : 0
; COMPUTE_PGM_RSRC2:SCRATCH_EN: 0
; COMPUTE_PGM_RSRC2:USER_SGPR: 6
; COMPUTE_PGM_RSRC2:TRAP_HANDLER: 0
; COMPUTE_PGM_RSRC2:TGID_X_EN: 1
; COMPUTE_PGM_RSRC2:TGID_Y_EN: 0
; COMPUTE_PGM_RSRC2:TGID_Z_EN: 0
; COMPUTE_PGM_RSRC2:TIDIG_COMP_CNT: 0
; COMPUTE_PGM_RSRC3_GFX90A:ACCUM_OFFSET: 0
; COMPUTE_PGM_RSRC3_GFX90A:TG_SPLIT: 0
	.section	.text._ZN7rocprim17ROCPRIM_400000_NS6detail17trampoline_kernelINS0_14default_configENS1_25transform_config_selectorIjLb0EEEZNS1_14transform_implILb0ES3_S5_NS0_18transform_iteratorINS0_17counting_iteratorImlEEZNS1_24adjacent_difference_implIS3_Lb1ELb0EPjSB_N6thrust23THRUST_200600_302600_NS5minusIjEEEE10hipError_tPvRmT2_T3_mT4_P12ihipStream_tbEUlmE_jEESB_NS0_8identityIvEEEESG_SJ_SK_mSL_SN_bEUlT_E_NS1_11comp_targetILNS1_3genE10ELNS1_11target_archE1200ELNS1_3gpuE4ELNS1_3repE0EEENS1_30default_config_static_selectorELNS0_4arch9wavefront6targetE1EEEvT1_,"axG",@progbits,_ZN7rocprim17ROCPRIM_400000_NS6detail17trampoline_kernelINS0_14default_configENS1_25transform_config_selectorIjLb0EEEZNS1_14transform_implILb0ES3_S5_NS0_18transform_iteratorINS0_17counting_iteratorImlEEZNS1_24adjacent_difference_implIS3_Lb1ELb0EPjSB_N6thrust23THRUST_200600_302600_NS5minusIjEEEE10hipError_tPvRmT2_T3_mT4_P12ihipStream_tbEUlmE_jEESB_NS0_8identityIvEEEESG_SJ_SK_mSL_SN_bEUlT_E_NS1_11comp_targetILNS1_3genE10ELNS1_11target_archE1200ELNS1_3gpuE4ELNS1_3repE0EEENS1_30default_config_static_selectorELNS0_4arch9wavefront6targetE1EEEvT1_,comdat
	.protected	_ZN7rocprim17ROCPRIM_400000_NS6detail17trampoline_kernelINS0_14default_configENS1_25transform_config_selectorIjLb0EEEZNS1_14transform_implILb0ES3_S5_NS0_18transform_iteratorINS0_17counting_iteratorImlEEZNS1_24adjacent_difference_implIS3_Lb1ELb0EPjSB_N6thrust23THRUST_200600_302600_NS5minusIjEEEE10hipError_tPvRmT2_T3_mT4_P12ihipStream_tbEUlmE_jEESB_NS0_8identityIvEEEESG_SJ_SK_mSL_SN_bEUlT_E_NS1_11comp_targetILNS1_3genE10ELNS1_11target_archE1200ELNS1_3gpuE4ELNS1_3repE0EEENS1_30default_config_static_selectorELNS0_4arch9wavefront6targetE1EEEvT1_ ; -- Begin function _ZN7rocprim17ROCPRIM_400000_NS6detail17trampoline_kernelINS0_14default_configENS1_25transform_config_selectorIjLb0EEEZNS1_14transform_implILb0ES3_S5_NS0_18transform_iteratorINS0_17counting_iteratorImlEEZNS1_24adjacent_difference_implIS3_Lb1ELb0EPjSB_N6thrust23THRUST_200600_302600_NS5minusIjEEEE10hipError_tPvRmT2_T3_mT4_P12ihipStream_tbEUlmE_jEESB_NS0_8identityIvEEEESG_SJ_SK_mSL_SN_bEUlT_E_NS1_11comp_targetILNS1_3genE10ELNS1_11target_archE1200ELNS1_3gpuE4ELNS1_3repE0EEENS1_30default_config_static_selectorELNS0_4arch9wavefront6targetE1EEEvT1_
	.globl	_ZN7rocprim17ROCPRIM_400000_NS6detail17trampoline_kernelINS0_14default_configENS1_25transform_config_selectorIjLb0EEEZNS1_14transform_implILb0ES3_S5_NS0_18transform_iteratorINS0_17counting_iteratorImlEEZNS1_24adjacent_difference_implIS3_Lb1ELb0EPjSB_N6thrust23THRUST_200600_302600_NS5minusIjEEEE10hipError_tPvRmT2_T3_mT4_P12ihipStream_tbEUlmE_jEESB_NS0_8identityIvEEEESG_SJ_SK_mSL_SN_bEUlT_E_NS1_11comp_targetILNS1_3genE10ELNS1_11target_archE1200ELNS1_3gpuE4ELNS1_3repE0EEENS1_30default_config_static_selectorELNS0_4arch9wavefront6targetE1EEEvT1_
	.p2align	8
	.type	_ZN7rocprim17ROCPRIM_400000_NS6detail17trampoline_kernelINS0_14default_configENS1_25transform_config_selectorIjLb0EEEZNS1_14transform_implILb0ES3_S5_NS0_18transform_iteratorINS0_17counting_iteratorImlEEZNS1_24adjacent_difference_implIS3_Lb1ELb0EPjSB_N6thrust23THRUST_200600_302600_NS5minusIjEEEE10hipError_tPvRmT2_T3_mT4_P12ihipStream_tbEUlmE_jEESB_NS0_8identityIvEEEESG_SJ_SK_mSL_SN_bEUlT_E_NS1_11comp_targetILNS1_3genE10ELNS1_11target_archE1200ELNS1_3gpuE4ELNS1_3repE0EEENS1_30default_config_static_selectorELNS0_4arch9wavefront6targetE1EEEvT1_,@function
_ZN7rocprim17ROCPRIM_400000_NS6detail17trampoline_kernelINS0_14default_configENS1_25transform_config_selectorIjLb0EEEZNS1_14transform_implILb0ES3_S5_NS0_18transform_iteratorINS0_17counting_iteratorImlEEZNS1_24adjacent_difference_implIS3_Lb1ELb0EPjSB_N6thrust23THRUST_200600_302600_NS5minusIjEEEE10hipError_tPvRmT2_T3_mT4_P12ihipStream_tbEUlmE_jEESB_NS0_8identityIvEEEESG_SJ_SK_mSL_SN_bEUlT_E_NS1_11comp_targetILNS1_3genE10ELNS1_11target_archE1200ELNS1_3gpuE4ELNS1_3repE0EEENS1_30default_config_static_selectorELNS0_4arch9wavefront6targetE1EEEvT1_: ; @_ZN7rocprim17ROCPRIM_400000_NS6detail17trampoline_kernelINS0_14default_configENS1_25transform_config_selectorIjLb0EEEZNS1_14transform_implILb0ES3_S5_NS0_18transform_iteratorINS0_17counting_iteratorImlEEZNS1_24adjacent_difference_implIS3_Lb1ELb0EPjSB_N6thrust23THRUST_200600_302600_NS5minusIjEEEE10hipError_tPvRmT2_T3_mT4_P12ihipStream_tbEUlmE_jEESB_NS0_8identityIvEEEESG_SJ_SK_mSL_SN_bEUlT_E_NS1_11comp_targetILNS1_3genE10ELNS1_11target_archE1200ELNS1_3gpuE4ELNS1_3repE0EEENS1_30default_config_static_selectorELNS0_4arch9wavefront6targetE1EEEvT1_
; %bb.0:
	.section	.rodata,"a",@progbits
	.p2align	6, 0x0
	.amdhsa_kernel _ZN7rocprim17ROCPRIM_400000_NS6detail17trampoline_kernelINS0_14default_configENS1_25transform_config_selectorIjLb0EEEZNS1_14transform_implILb0ES3_S5_NS0_18transform_iteratorINS0_17counting_iteratorImlEEZNS1_24adjacent_difference_implIS3_Lb1ELb0EPjSB_N6thrust23THRUST_200600_302600_NS5minusIjEEEE10hipError_tPvRmT2_T3_mT4_P12ihipStream_tbEUlmE_jEESB_NS0_8identityIvEEEESG_SJ_SK_mSL_SN_bEUlT_E_NS1_11comp_targetILNS1_3genE10ELNS1_11target_archE1200ELNS1_3gpuE4ELNS1_3repE0EEENS1_30default_config_static_selectorELNS0_4arch9wavefront6targetE1EEEvT1_
		.amdhsa_group_segment_fixed_size 0
		.amdhsa_private_segment_fixed_size 0
		.amdhsa_kernarg_size 56
		.amdhsa_user_sgpr_count 6
		.amdhsa_user_sgpr_private_segment_buffer 1
		.amdhsa_user_sgpr_dispatch_ptr 0
		.amdhsa_user_sgpr_queue_ptr 0
		.amdhsa_user_sgpr_kernarg_segment_ptr 1
		.amdhsa_user_sgpr_dispatch_id 0
		.amdhsa_user_sgpr_flat_scratch_init 0
		.amdhsa_user_sgpr_kernarg_preload_length 0
		.amdhsa_user_sgpr_kernarg_preload_offset 0
		.amdhsa_user_sgpr_private_segment_size 0
		.amdhsa_uses_dynamic_stack 0
		.amdhsa_system_sgpr_private_segment_wavefront_offset 0
		.amdhsa_system_sgpr_workgroup_id_x 1
		.amdhsa_system_sgpr_workgroup_id_y 0
		.amdhsa_system_sgpr_workgroup_id_z 0
		.amdhsa_system_sgpr_workgroup_info 0
		.amdhsa_system_vgpr_workitem_id 0
		.amdhsa_next_free_vgpr 1
		.amdhsa_next_free_sgpr 0
		.amdhsa_accum_offset 4
		.amdhsa_reserve_vcc 0
		.amdhsa_reserve_flat_scratch 0
		.amdhsa_float_round_mode_32 0
		.amdhsa_float_round_mode_16_64 0
		.amdhsa_float_denorm_mode_32 3
		.amdhsa_float_denorm_mode_16_64 3
		.amdhsa_dx10_clamp 1
		.amdhsa_ieee_mode 1
		.amdhsa_fp16_overflow 0
		.amdhsa_tg_split 0
		.amdhsa_exception_fp_ieee_invalid_op 0
		.amdhsa_exception_fp_denorm_src 0
		.amdhsa_exception_fp_ieee_div_zero 0
		.amdhsa_exception_fp_ieee_overflow 0
		.amdhsa_exception_fp_ieee_underflow 0
		.amdhsa_exception_fp_ieee_inexact 0
		.amdhsa_exception_int_div_zero 0
	.end_amdhsa_kernel
	.section	.text._ZN7rocprim17ROCPRIM_400000_NS6detail17trampoline_kernelINS0_14default_configENS1_25transform_config_selectorIjLb0EEEZNS1_14transform_implILb0ES3_S5_NS0_18transform_iteratorINS0_17counting_iteratorImlEEZNS1_24adjacent_difference_implIS3_Lb1ELb0EPjSB_N6thrust23THRUST_200600_302600_NS5minusIjEEEE10hipError_tPvRmT2_T3_mT4_P12ihipStream_tbEUlmE_jEESB_NS0_8identityIvEEEESG_SJ_SK_mSL_SN_bEUlT_E_NS1_11comp_targetILNS1_3genE10ELNS1_11target_archE1200ELNS1_3gpuE4ELNS1_3repE0EEENS1_30default_config_static_selectorELNS0_4arch9wavefront6targetE1EEEvT1_,"axG",@progbits,_ZN7rocprim17ROCPRIM_400000_NS6detail17trampoline_kernelINS0_14default_configENS1_25transform_config_selectorIjLb0EEEZNS1_14transform_implILb0ES3_S5_NS0_18transform_iteratorINS0_17counting_iteratorImlEEZNS1_24adjacent_difference_implIS3_Lb1ELb0EPjSB_N6thrust23THRUST_200600_302600_NS5minusIjEEEE10hipError_tPvRmT2_T3_mT4_P12ihipStream_tbEUlmE_jEESB_NS0_8identityIvEEEESG_SJ_SK_mSL_SN_bEUlT_E_NS1_11comp_targetILNS1_3genE10ELNS1_11target_archE1200ELNS1_3gpuE4ELNS1_3repE0EEENS1_30default_config_static_selectorELNS0_4arch9wavefront6targetE1EEEvT1_,comdat
.Lfunc_end379:
	.size	_ZN7rocprim17ROCPRIM_400000_NS6detail17trampoline_kernelINS0_14default_configENS1_25transform_config_selectorIjLb0EEEZNS1_14transform_implILb0ES3_S5_NS0_18transform_iteratorINS0_17counting_iteratorImlEEZNS1_24adjacent_difference_implIS3_Lb1ELb0EPjSB_N6thrust23THRUST_200600_302600_NS5minusIjEEEE10hipError_tPvRmT2_T3_mT4_P12ihipStream_tbEUlmE_jEESB_NS0_8identityIvEEEESG_SJ_SK_mSL_SN_bEUlT_E_NS1_11comp_targetILNS1_3genE10ELNS1_11target_archE1200ELNS1_3gpuE4ELNS1_3repE0EEENS1_30default_config_static_selectorELNS0_4arch9wavefront6targetE1EEEvT1_, .Lfunc_end379-_ZN7rocprim17ROCPRIM_400000_NS6detail17trampoline_kernelINS0_14default_configENS1_25transform_config_selectorIjLb0EEEZNS1_14transform_implILb0ES3_S5_NS0_18transform_iteratorINS0_17counting_iteratorImlEEZNS1_24adjacent_difference_implIS3_Lb1ELb0EPjSB_N6thrust23THRUST_200600_302600_NS5minusIjEEEE10hipError_tPvRmT2_T3_mT4_P12ihipStream_tbEUlmE_jEESB_NS0_8identityIvEEEESG_SJ_SK_mSL_SN_bEUlT_E_NS1_11comp_targetILNS1_3genE10ELNS1_11target_archE1200ELNS1_3gpuE4ELNS1_3repE0EEENS1_30default_config_static_selectorELNS0_4arch9wavefront6targetE1EEEvT1_
                                        ; -- End function
	.section	.AMDGPU.csdata,"",@progbits
; Kernel info:
; codeLenInByte = 0
; NumSgprs: 4
; NumVgprs: 0
; NumAgprs: 0
; TotalNumVgprs: 0
; ScratchSize: 0
; MemoryBound: 0
; FloatMode: 240
; IeeeMode: 1
; LDSByteSize: 0 bytes/workgroup (compile time only)
; SGPRBlocks: 0
; VGPRBlocks: 0
; NumSGPRsForWavesPerEU: 4
; NumVGPRsForWavesPerEU: 1
; AccumOffset: 4
; Occupancy: 8
; WaveLimiterHint : 0
; COMPUTE_PGM_RSRC2:SCRATCH_EN: 0
; COMPUTE_PGM_RSRC2:USER_SGPR: 6
; COMPUTE_PGM_RSRC2:TRAP_HANDLER: 0
; COMPUTE_PGM_RSRC2:TGID_X_EN: 1
; COMPUTE_PGM_RSRC2:TGID_Y_EN: 0
; COMPUTE_PGM_RSRC2:TGID_Z_EN: 0
; COMPUTE_PGM_RSRC2:TIDIG_COMP_CNT: 0
; COMPUTE_PGM_RSRC3_GFX90A:ACCUM_OFFSET: 0
; COMPUTE_PGM_RSRC3_GFX90A:TG_SPLIT: 0
	.section	.text._ZN7rocprim17ROCPRIM_400000_NS6detail17trampoline_kernelINS0_14default_configENS1_25transform_config_selectorIjLb0EEEZNS1_14transform_implILb0ES3_S5_NS0_18transform_iteratorINS0_17counting_iteratorImlEEZNS1_24adjacent_difference_implIS3_Lb1ELb0EPjSB_N6thrust23THRUST_200600_302600_NS5minusIjEEEE10hipError_tPvRmT2_T3_mT4_P12ihipStream_tbEUlmE_jEESB_NS0_8identityIvEEEESG_SJ_SK_mSL_SN_bEUlT_E_NS1_11comp_targetILNS1_3genE9ELNS1_11target_archE1100ELNS1_3gpuE3ELNS1_3repE0EEENS1_30default_config_static_selectorELNS0_4arch9wavefront6targetE1EEEvT1_,"axG",@progbits,_ZN7rocprim17ROCPRIM_400000_NS6detail17trampoline_kernelINS0_14default_configENS1_25transform_config_selectorIjLb0EEEZNS1_14transform_implILb0ES3_S5_NS0_18transform_iteratorINS0_17counting_iteratorImlEEZNS1_24adjacent_difference_implIS3_Lb1ELb0EPjSB_N6thrust23THRUST_200600_302600_NS5minusIjEEEE10hipError_tPvRmT2_T3_mT4_P12ihipStream_tbEUlmE_jEESB_NS0_8identityIvEEEESG_SJ_SK_mSL_SN_bEUlT_E_NS1_11comp_targetILNS1_3genE9ELNS1_11target_archE1100ELNS1_3gpuE3ELNS1_3repE0EEENS1_30default_config_static_selectorELNS0_4arch9wavefront6targetE1EEEvT1_,comdat
	.protected	_ZN7rocprim17ROCPRIM_400000_NS6detail17trampoline_kernelINS0_14default_configENS1_25transform_config_selectorIjLb0EEEZNS1_14transform_implILb0ES3_S5_NS0_18transform_iteratorINS0_17counting_iteratorImlEEZNS1_24adjacent_difference_implIS3_Lb1ELb0EPjSB_N6thrust23THRUST_200600_302600_NS5minusIjEEEE10hipError_tPvRmT2_T3_mT4_P12ihipStream_tbEUlmE_jEESB_NS0_8identityIvEEEESG_SJ_SK_mSL_SN_bEUlT_E_NS1_11comp_targetILNS1_3genE9ELNS1_11target_archE1100ELNS1_3gpuE3ELNS1_3repE0EEENS1_30default_config_static_selectorELNS0_4arch9wavefront6targetE1EEEvT1_ ; -- Begin function _ZN7rocprim17ROCPRIM_400000_NS6detail17trampoline_kernelINS0_14default_configENS1_25transform_config_selectorIjLb0EEEZNS1_14transform_implILb0ES3_S5_NS0_18transform_iteratorINS0_17counting_iteratorImlEEZNS1_24adjacent_difference_implIS3_Lb1ELb0EPjSB_N6thrust23THRUST_200600_302600_NS5minusIjEEEE10hipError_tPvRmT2_T3_mT4_P12ihipStream_tbEUlmE_jEESB_NS0_8identityIvEEEESG_SJ_SK_mSL_SN_bEUlT_E_NS1_11comp_targetILNS1_3genE9ELNS1_11target_archE1100ELNS1_3gpuE3ELNS1_3repE0EEENS1_30default_config_static_selectorELNS0_4arch9wavefront6targetE1EEEvT1_
	.globl	_ZN7rocprim17ROCPRIM_400000_NS6detail17trampoline_kernelINS0_14default_configENS1_25transform_config_selectorIjLb0EEEZNS1_14transform_implILb0ES3_S5_NS0_18transform_iteratorINS0_17counting_iteratorImlEEZNS1_24adjacent_difference_implIS3_Lb1ELb0EPjSB_N6thrust23THRUST_200600_302600_NS5minusIjEEEE10hipError_tPvRmT2_T3_mT4_P12ihipStream_tbEUlmE_jEESB_NS0_8identityIvEEEESG_SJ_SK_mSL_SN_bEUlT_E_NS1_11comp_targetILNS1_3genE9ELNS1_11target_archE1100ELNS1_3gpuE3ELNS1_3repE0EEENS1_30default_config_static_selectorELNS0_4arch9wavefront6targetE1EEEvT1_
	.p2align	8
	.type	_ZN7rocprim17ROCPRIM_400000_NS6detail17trampoline_kernelINS0_14default_configENS1_25transform_config_selectorIjLb0EEEZNS1_14transform_implILb0ES3_S5_NS0_18transform_iteratorINS0_17counting_iteratorImlEEZNS1_24adjacent_difference_implIS3_Lb1ELb0EPjSB_N6thrust23THRUST_200600_302600_NS5minusIjEEEE10hipError_tPvRmT2_T3_mT4_P12ihipStream_tbEUlmE_jEESB_NS0_8identityIvEEEESG_SJ_SK_mSL_SN_bEUlT_E_NS1_11comp_targetILNS1_3genE9ELNS1_11target_archE1100ELNS1_3gpuE3ELNS1_3repE0EEENS1_30default_config_static_selectorELNS0_4arch9wavefront6targetE1EEEvT1_,@function
_ZN7rocprim17ROCPRIM_400000_NS6detail17trampoline_kernelINS0_14default_configENS1_25transform_config_selectorIjLb0EEEZNS1_14transform_implILb0ES3_S5_NS0_18transform_iteratorINS0_17counting_iteratorImlEEZNS1_24adjacent_difference_implIS3_Lb1ELb0EPjSB_N6thrust23THRUST_200600_302600_NS5minusIjEEEE10hipError_tPvRmT2_T3_mT4_P12ihipStream_tbEUlmE_jEESB_NS0_8identityIvEEEESG_SJ_SK_mSL_SN_bEUlT_E_NS1_11comp_targetILNS1_3genE9ELNS1_11target_archE1100ELNS1_3gpuE3ELNS1_3repE0EEENS1_30default_config_static_selectorELNS0_4arch9wavefront6targetE1EEEvT1_: ; @_ZN7rocprim17ROCPRIM_400000_NS6detail17trampoline_kernelINS0_14default_configENS1_25transform_config_selectorIjLb0EEEZNS1_14transform_implILb0ES3_S5_NS0_18transform_iteratorINS0_17counting_iteratorImlEEZNS1_24adjacent_difference_implIS3_Lb1ELb0EPjSB_N6thrust23THRUST_200600_302600_NS5minusIjEEEE10hipError_tPvRmT2_T3_mT4_P12ihipStream_tbEUlmE_jEESB_NS0_8identityIvEEEESG_SJ_SK_mSL_SN_bEUlT_E_NS1_11comp_targetILNS1_3genE9ELNS1_11target_archE1100ELNS1_3gpuE3ELNS1_3repE0EEENS1_30default_config_static_selectorELNS0_4arch9wavefront6targetE1EEEvT1_
; %bb.0:
	.section	.rodata,"a",@progbits
	.p2align	6, 0x0
	.amdhsa_kernel _ZN7rocprim17ROCPRIM_400000_NS6detail17trampoline_kernelINS0_14default_configENS1_25transform_config_selectorIjLb0EEEZNS1_14transform_implILb0ES3_S5_NS0_18transform_iteratorINS0_17counting_iteratorImlEEZNS1_24adjacent_difference_implIS3_Lb1ELb0EPjSB_N6thrust23THRUST_200600_302600_NS5minusIjEEEE10hipError_tPvRmT2_T3_mT4_P12ihipStream_tbEUlmE_jEESB_NS0_8identityIvEEEESG_SJ_SK_mSL_SN_bEUlT_E_NS1_11comp_targetILNS1_3genE9ELNS1_11target_archE1100ELNS1_3gpuE3ELNS1_3repE0EEENS1_30default_config_static_selectorELNS0_4arch9wavefront6targetE1EEEvT1_
		.amdhsa_group_segment_fixed_size 0
		.amdhsa_private_segment_fixed_size 0
		.amdhsa_kernarg_size 56
		.amdhsa_user_sgpr_count 6
		.amdhsa_user_sgpr_private_segment_buffer 1
		.amdhsa_user_sgpr_dispatch_ptr 0
		.amdhsa_user_sgpr_queue_ptr 0
		.amdhsa_user_sgpr_kernarg_segment_ptr 1
		.amdhsa_user_sgpr_dispatch_id 0
		.amdhsa_user_sgpr_flat_scratch_init 0
		.amdhsa_user_sgpr_kernarg_preload_length 0
		.amdhsa_user_sgpr_kernarg_preload_offset 0
		.amdhsa_user_sgpr_private_segment_size 0
		.amdhsa_uses_dynamic_stack 0
		.amdhsa_system_sgpr_private_segment_wavefront_offset 0
		.amdhsa_system_sgpr_workgroup_id_x 1
		.amdhsa_system_sgpr_workgroup_id_y 0
		.amdhsa_system_sgpr_workgroup_id_z 0
		.amdhsa_system_sgpr_workgroup_info 0
		.amdhsa_system_vgpr_workitem_id 0
		.amdhsa_next_free_vgpr 1
		.amdhsa_next_free_sgpr 0
		.amdhsa_accum_offset 4
		.amdhsa_reserve_vcc 0
		.amdhsa_reserve_flat_scratch 0
		.amdhsa_float_round_mode_32 0
		.amdhsa_float_round_mode_16_64 0
		.amdhsa_float_denorm_mode_32 3
		.amdhsa_float_denorm_mode_16_64 3
		.amdhsa_dx10_clamp 1
		.amdhsa_ieee_mode 1
		.amdhsa_fp16_overflow 0
		.amdhsa_tg_split 0
		.amdhsa_exception_fp_ieee_invalid_op 0
		.amdhsa_exception_fp_denorm_src 0
		.amdhsa_exception_fp_ieee_div_zero 0
		.amdhsa_exception_fp_ieee_overflow 0
		.amdhsa_exception_fp_ieee_underflow 0
		.amdhsa_exception_fp_ieee_inexact 0
		.amdhsa_exception_int_div_zero 0
	.end_amdhsa_kernel
	.section	.text._ZN7rocprim17ROCPRIM_400000_NS6detail17trampoline_kernelINS0_14default_configENS1_25transform_config_selectorIjLb0EEEZNS1_14transform_implILb0ES3_S5_NS0_18transform_iteratorINS0_17counting_iteratorImlEEZNS1_24adjacent_difference_implIS3_Lb1ELb0EPjSB_N6thrust23THRUST_200600_302600_NS5minusIjEEEE10hipError_tPvRmT2_T3_mT4_P12ihipStream_tbEUlmE_jEESB_NS0_8identityIvEEEESG_SJ_SK_mSL_SN_bEUlT_E_NS1_11comp_targetILNS1_3genE9ELNS1_11target_archE1100ELNS1_3gpuE3ELNS1_3repE0EEENS1_30default_config_static_selectorELNS0_4arch9wavefront6targetE1EEEvT1_,"axG",@progbits,_ZN7rocprim17ROCPRIM_400000_NS6detail17trampoline_kernelINS0_14default_configENS1_25transform_config_selectorIjLb0EEEZNS1_14transform_implILb0ES3_S5_NS0_18transform_iteratorINS0_17counting_iteratorImlEEZNS1_24adjacent_difference_implIS3_Lb1ELb0EPjSB_N6thrust23THRUST_200600_302600_NS5minusIjEEEE10hipError_tPvRmT2_T3_mT4_P12ihipStream_tbEUlmE_jEESB_NS0_8identityIvEEEESG_SJ_SK_mSL_SN_bEUlT_E_NS1_11comp_targetILNS1_3genE9ELNS1_11target_archE1100ELNS1_3gpuE3ELNS1_3repE0EEENS1_30default_config_static_selectorELNS0_4arch9wavefront6targetE1EEEvT1_,comdat
.Lfunc_end380:
	.size	_ZN7rocprim17ROCPRIM_400000_NS6detail17trampoline_kernelINS0_14default_configENS1_25transform_config_selectorIjLb0EEEZNS1_14transform_implILb0ES3_S5_NS0_18transform_iteratorINS0_17counting_iteratorImlEEZNS1_24adjacent_difference_implIS3_Lb1ELb0EPjSB_N6thrust23THRUST_200600_302600_NS5minusIjEEEE10hipError_tPvRmT2_T3_mT4_P12ihipStream_tbEUlmE_jEESB_NS0_8identityIvEEEESG_SJ_SK_mSL_SN_bEUlT_E_NS1_11comp_targetILNS1_3genE9ELNS1_11target_archE1100ELNS1_3gpuE3ELNS1_3repE0EEENS1_30default_config_static_selectorELNS0_4arch9wavefront6targetE1EEEvT1_, .Lfunc_end380-_ZN7rocprim17ROCPRIM_400000_NS6detail17trampoline_kernelINS0_14default_configENS1_25transform_config_selectorIjLb0EEEZNS1_14transform_implILb0ES3_S5_NS0_18transform_iteratorINS0_17counting_iteratorImlEEZNS1_24adjacent_difference_implIS3_Lb1ELb0EPjSB_N6thrust23THRUST_200600_302600_NS5minusIjEEEE10hipError_tPvRmT2_T3_mT4_P12ihipStream_tbEUlmE_jEESB_NS0_8identityIvEEEESG_SJ_SK_mSL_SN_bEUlT_E_NS1_11comp_targetILNS1_3genE9ELNS1_11target_archE1100ELNS1_3gpuE3ELNS1_3repE0EEENS1_30default_config_static_selectorELNS0_4arch9wavefront6targetE1EEEvT1_
                                        ; -- End function
	.section	.AMDGPU.csdata,"",@progbits
; Kernel info:
; codeLenInByte = 0
; NumSgprs: 4
; NumVgprs: 0
; NumAgprs: 0
; TotalNumVgprs: 0
; ScratchSize: 0
; MemoryBound: 0
; FloatMode: 240
; IeeeMode: 1
; LDSByteSize: 0 bytes/workgroup (compile time only)
; SGPRBlocks: 0
; VGPRBlocks: 0
; NumSGPRsForWavesPerEU: 4
; NumVGPRsForWavesPerEU: 1
; AccumOffset: 4
; Occupancy: 8
; WaveLimiterHint : 0
; COMPUTE_PGM_RSRC2:SCRATCH_EN: 0
; COMPUTE_PGM_RSRC2:USER_SGPR: 6
; COMPUTE_PGM_RSRC2:TRAP_HANDLER: 0
; COMPUTE_PGM_RSRC2:TGID_X_EN: 1
; COMPUTE_PGM_RSRC2:TGID_Y_EN: 0
; COMPUTE_PGM_RSRC2:TGID_Z_EN: 0
; COMPUTE_PGM_RSRC2:TIDIG_COMP_CNT: 0
; COMPUTE_PGM_RSRC3_GFX90A:ACCUM_OFFSET: 0
; COMPUTE_PGM_RSRC3_GFX90A:TG_SPLIT: 0
	.section	.text._ZN7rocprim17ROCPRIM_400000_NS6detail17trampoline_kernelINS0_14default_configENS1_25transform_config_selectorIjLb0EEEZNS1_14transform_implILb0ES3_S5_NS0_18transform_iteratorINS0_17counting_iteratorImlEEZNS1_24adjacent_difference_implIS3_Lb1ELb0EPjSB_N6thrust23THRUST_200600_302600_NS5minusIjEEEE10hipError_tPvRmT2_T3_mT4_P12ihipStream_tbEUlmE_jEESB_NS0_8identityIvEEEESG_SJ_SK_mSL_SN_bEUlT_E_NS1_11comp_targetILNS1_3genE8ELNS1_11target_archE1030ELNS1_3gpuE2ELNS1_3repE0EEENS1_30default_config_static_selectorELNS0_4arch9wavefront6targetE1EEEvT1_,"axG",@progbits,_ZN7rocprim17ROCPRIM_400000_NS6detail17trampoline_kernelINS0_14default_configENS1_25transform_config_selectorIjLb0EEEZNS1_14transform_implILb0ES3_S5_NS0_18transform_iteratorINS0_17counting_iteratorImlEEZNS1_24adjacent_difference_implIS3_Lb1ELb0EPjSB_N6thrust23THRUST_200600_302600_NS5minusIjEEEE10hipError_tPvRmT2_T3_mT4_P12ihipStream_tbEUlmE_jEESB_NS0_8identityIvEEEESG_SJ_SK_mSL_SN_bEUlT_E_NS1_11comp_targetILNS1_3genE8ELNS1_11target_archE1030ELNS1_3gpuE2ELNS1_3repE0EEENS1_30default_config_static_selectorELNS0_4arch9wavefront6targetE1EEEvT1_,comdat
	.protected	_ZN7rocprim17ROCPRIM_400000_NS6detail17trampoline_kernelINS0_14default_configENS1_25transform_config_selectorIjLb0EEEZNS1_14transform_implILb0ES3_S5_NS0_18transform_iteratorINS0_17counting_iteratorImlEEZNS1_24adjacent_difference_implIS3_Lb1ELb0EPjSB_N6thrust23THRUST_200600_302600_NS5minusIjEEEE10hipError_tPvRmT2_T3_mT4_P12ihipStream_tbEUlmE_jEESB_NS0_8identityIvEEEESG_SJ_SK_mSL_SN_bEUlT_E_NS1_11comp_targetILNS1_3genE8ELNS1_11target_archE1030ELNS1_3gpuE2ELNS1_3repE0EEENS1_30default_config_static_selectorELNS0_4arch9wavefront6targetE1EEEvT1_ ; -- Begin function _ZN7rocprim17ROCPRIM_400000_NS6detail17trampoline_kernelINS0_14default_configENS1_25transform_config_selectorIjLb0EEEZNS1_14transform_implILb0ES3_S5_NS0_18transform_iteratorINS0_17counting_iteratorImlEEZNS1_24adjacent_difference_implIS3_Lb1ELb0EPjSB_N6thrust23THRUST_200600_302600_NS5minusIjEEEE10hipError_tPvRmT2_T3_mT4_P12ihipStream_tbEUlmE_jEESB_NS0_8identityIvEEEESG_SJ_SK_mSL_SN_bEUlT_E_NS1_11comp_targetILNS1_3genE8ELNS1_11target_archE1030ELNS1_3gpuE2ELNS1_3repE0EEENS1_30default_config_static_selectorELNS0_4arch9wavefront6targetE1EEEvT1_
	.globl	_ZN7rocprim17ROCPRIM_400000_NS6detail17trampoline_kernelINS0_14default_configENS1_25transform_config_selectorIjLb0EEEZNS1_14transform_implILb0ES3_S5_NS0_18transform_iteratorINS0_17counting_iteratorImlEEZNS1_24adjacent_difference_implIS3_Lb1ELb0EPjSB_N6thrust23THRUST_200600_302600_NS5minusIjEEEE10hipError_tPvRmT2_T3_mT4_P12ihipStream_tbEUlmE_jEESB_NS0_8identityIvEEEESG_SJ_SK_mSL_SN_bEUlT_E_NS1_11comp_targetILNS1_3genE8ELNS1_11target_archE1030ELNS1_3gpuE2ELNS1_3repE0EEENS1_30default_config_static_selectorELNS0_4arch9wavefront6targetE1EEEvT1_
	.p2align	8
	.type	_ZN7rocprim17ROCPRIM_400000_NS6detail17trampoline_kernelINS0_14default_configENS1_25transform_config_selectorIjLb0EEEZNS1_14transform_implILb0ES3_S5_NS0_18transform_iteratorINS0_17counting_iteratorImlEEZNS1_24adjacent_difference_implIS3_Lb1ELb0EPjSB_N6thrust23THRUST_200600_302600_NS5minusIjEEEE10hipError_tPvRmT2_T3_mT4_P12ihipStream_tbEUlmE_jEESB_NS0_8identityIvEEEESG_SJ_SK_mSL_SN_bEUlT_E_NS1_11comp_targetILNS1_3genE8ELNS1_11target_archE1030ELNS1_3gpuE2ELNS1_3repE0EEENS1_30default_config_static_selectorELNS0_4arch9wavefront6targetE1EEEvT1_,@function
_ZN7rocprim17ROCPRIM_400000_NS6detail17trampoline_kernelINS0_14default_configENS1_25transform_config_selectorIjLb0EEEZNS1_14transform_implILb0ES3_S5_NS0_18transform_iteratorINS0_17counting_iteratorImlEEZNS1_24adjacent_difference_implIS3_Lb1ELb0EPjSB_N6thrust23THRUST_200600_302600_NS5minusIjEEEE10hipError_tPvRmT2_T3_mT4_P12ihipStream_tbEUlmE_jEESB_NS0_8identityIvEEEESG_SJ_SK_mSL_SN_bEUlT_E_NS1_11comp_targetILNS1_3genE8ELNS1_11target_archE1030ELNS1_3gpuE2ELNS1_3repE0EEENS1_30default_config_static_selectorELNS0_4arch9wavefront6targetE1EEEvT1_: ; @_ZN7rocprim17ROCPRIM_400000_NS6detail17trampoline_kernelINS0_14default_configENS1_25transform_config_selectorIjLb0EEEZNS1_14transform_implILb0ES3_S5_NS0_18transform_iteratorINS0_17counting_iteratorImlEEZNS1_24adjacent_difference_implIS3_Lb1ELb0EPjSB_N6thrust23THRUST_200600_302600_NS5minusIjEEEE10hipError_tPvRmT2_T3_mT4_P12ihipStream_tbEUlmE_jEESB_NS0_8identityIvEEEESG_SJ_SK_mSL_SN_bEUlT_E_NS1_11comp_targetILNS1_3genE8ELNS1_11target_archE1030ELNS1_3gpuE2ELNS1_3repE0EEENS1_30default_config_static_selectorELNS0_4arch9wavefront6targetE1EEEvT1_
; %bb.0:
	.section	.rodata,"a",@progbits
	.p2align	6, 0x0
	.amdhsa_kernel _ZN7rocprim17ROCPRIM_400000_NS6detail17trampoline_kernelINS0_14default_configENS1_25transform_config_selectorIjLb0EEEZNS1_14transform_implILb0ES3_S5_NS0_18transform_iteratorINS0_17counting_iteratorImlEEZNS1_24adjacent_difference_implIS3_Lb1ELb0EPjSB_N6thrust23THRUST_200600_302600_NS5minusIjEEEE10hipError_tPvRmT2_T3_mT4_P12ihipStream_tbEUlmE_jEESB_NS0_8identityIvEEEESG_SJ_SK_mSL_SN_bEUlT_E_NS1_11comp_targetILNS1_3genE8ELNS1_11target_archE1030ELNS1_3gpuE2ELNS1_3repE0EEENS1_30default_config_static_selectorELNS0_4arch9wavefront6targetE1EEEvT1_
		.amdhsa_group_segment_fixed_size 0
		.amdhsa_private_segment_fixed_size 0
		.amdhsa_kernarg_size 56
		.amdhsa_user_sgpr_count 6
		.amdhsa_user_sgpr_private_segment_buffer 1
		.amdhsa_user_sgpr_dispatch_ptr 0
		.amdhsa_user_sgpr_queue_ptr 0
		.amdhsa_user_sgpr_kernarg_segment_ptr 1
		.amdhsa_user_sgpr_dispatch_id 0
		.amdhsa_user_sgpr_flat_scratch_init 0
		.amdhsa_user_sgpr_kernarg_preload_length 0
		.amdhsa_user_sgpr_kernarg_preload_offset 0
		.amdhsa_user_sgpr_private_segment_size 0
		.amdhsa_uses_dynamic_stack 0
		.amdhsa_system_sgpr_private_segment_wavefront_offset 0
		.amdhsa_system_sgpr_workgroup_id_x 1
		.amdhsa_system_sgpr_workgroup_id_y 0
		.amdhsa_system_sgpr_workgroup_id_z 0
		.amdhsa_system_sgpr_workgroup_info 0
		.amdhsa_system_vgpr_workitem_id 0
		.amdhsa_next_free_vgpr 1
		.amdhsa_next_free_sgpr 0
		.amdhsa_accum_offset 4
		.amdhsa_reserve_vcc 0
		.amdhsa_reserve_flat_scratch 0
		.amdhsa_float_round_mode_32 0
		.amdhsa_float_round_mode_16_64 0
		.amdhsa_float_denorm_mode_32 3
		.amdhsa_float_denorm_mode_16_64 3
		.amdhsa_dx10_clamp 1
		.amdhsa_ieee_mode 1
		.amdhsa_fp16_overflow 0
		.amdhsa_tg_split 0
		.amdhsa_exception_fp_ieee_invalid_op 0
		.amdhsa_exception_fp_denorm_src 0
		.amdhsa_exception_fp_ieee_div_zero 0
		.amdhsa_exception_fp_ieee_overflow 0
		.amdhsa_exception_fp_ieee_underflow 0
		.amdhsa_exception_fp_ieee_inexact 0
		.amdhsa_exception_int_div_zero 0
	.end_amdhsa_kernel
	.section	.text._ZN7rocprim17ROCPRIM_400000_NS6detail17trampoline_kernelINS0_14default_configENS1_25transform_config_selectorIjLb0EEEZNS1_14transform_implILb0ES3_S5_NS0_18transform_iteratorINS0_17counting_iteratorImlEEZNS1_24adjacent_difference_implIS3_Lb1ELb0EPjSB_N6thrust23THRUST_200600_302600_NS5minusIjEEEE10hipError_tPvRmT2_T3_mT4_P12ihipStream_tbEUlmE_jEESB_NS0_8identityIvEEEESG_SJ_SK_mSL_SN_bEUlT_E_NS1_11comp_targetILNS1_3genE8ELNS1_11target_archE1030ELNS1_3gpuE2ELNS1_3repE0EEENS1_30default_config_static_selectorELNS0_4arch9wavefront6targetE1EEEvT1_,"axG",@progbits,_ZN7rocprim17ROCPRIM_400000_NS6detail17trampoline_kernelINS0_14default_configENS1_25transform_config_selectorIjLb0EEEZNS1_14transform_implILb0ES3_S5_NS0_18transform_iteratorINS0_17counting_iteratorImlEEZNS1_24adjacent_difference_implIS3_Lb1ELb0EPjSB_N6thrust23THRUST_200600_302600_NS5minusIjEEEE10hipError_tPvRmT2_T3_mT4_P12ihipStream_tbEUlmE_jEESB_NS0_8identityIvEEEESG_SJ_SK_mSL_SN_bEUlT_E_NS1_11comp_targetILNS1_3genE8ELNS1_11target_archE1030ELNS1_3gpuE2ELNS1_3repE0EEENS1_30default_config_static_selectorELNS0_4arch9wavefront6targetE1EEEvT1_,comdat
.Lfunc_end381:
	.size	_ZN7rocprim17ROCPRIM_400000_NS6detail17trampoline_kernelINS0_14default_configENS1_25transform_config_selectorIjLb0EEEZNS1_14transform_implILb0ES3_S5_NS0_18transform_iteratorINS0_17counting_iteratorImlEEZNS1_24adjacent_difference_implIS3_Lb1ELb0EPjSB_N6thrust23THRUST_200600_302600_NS5minusIjEEEE10hipError_tPvRmT2_T3_mT4_P12ihipStream_tbEUlmE_jEESB_NS0_8identityIvEEEESG_SJ_SK_mSL_SN_bEUlT_E_NS1_11comp_targetILNS1_3genE8ELNS1_11target_archE1030ELNS1_3gpuE2ELNS1_3repE0EEENS1_30default_config_static_selectorELNS0_4arch9wavefront6targetE1EEEvT1_, .Lfunc_end381-_ZN7rocprim17ROCPRIM_400000_NS6detail17trampoline_kernelINS0_14default_configENS1_25transform_config_selectorIjLb0EEEZNS1_14transform_implILb0ES3_S5_NS0_18transform_iteratorINS0_17counting_iteratorImlEEZNS1_24adjacent_difference_implIS3_Lb1ELb0EPjSB_N6thrust23THRUST_200600_302600_NS5minusIjEEEE10hipError_tPvRmT2_T3_mT4_P12ihipStream_tbEUlmE_jEESB_NS0_8identityIvEEEESG_SJ_SK_mSL_SN_bEUlT_E_NS1_11comp_targetILNS1_3genE8ELNS1_11target_archE1030ELNS1_3gpuE2ELNS1_3repE0EEENS1_30default_config_static_selectorELNS0_4arch9wavefront6targetE1EEEvT1_
                                        ; -- End function
	.section	.AMDGPU.csdata,"",@progbits
; Kernel info:
; codeLenInByte = 0
; NumSgprs: 4
; NumVgprs: 0
; NumAgprs: 0
; TotalNumVgprs: 0
; ScratchSize: 0
; MemoryBound: 0
; FloatMode: 240
; IeeeMode: 1
; LDSByteSize: 0 bytes/workgroup (compile time only)
; SGPRBlocks: 0
; VGPRBlocks: 0
; NumSGPRsForWavesPerEU: 4
; NumVGPRsForWavesPerEU: 1
; AccumOffset: 4
; Occupancy: 8
; WaveLimiterHint : 0
; COMPUTE_PGM_RSRC2:SCRATCH_EN: 0
; COMPUTE_PGM_RSRC2:USER_SGPR: 6
; COMPUTE_PGM_RSRC2:TRAP_HANDLER: 0
; COMPUTE_PGM_RSRC2:TGID_X_EN: 1
; COMPUTE_PGM_RSRC2:TGID_Y_EN: 0
; COMPUTE_PGM_RSRC2:TGID_Z_EN: 0
; COMPUTE_PGM_RSRC2:TIDIG_COMP_CNT: 0
; COMPUTE_PGM_RSRC3_GFX90A:ACCUM_OFFSET: 0
; COMPUTE_PGM_RSRC3_GFX90A:TG_SPLIT: 0
	.section	.text._ZN7rocprim17ROCPRIM_400000_NS6detail17trampoline_kernelINS0_14default_configENS1_35adjacent_difference_config_selectorILb1EjEEZNS1_24adjacent_difference_implIS3_Lb1ELb0EPjS7_N6thrust23THRUST_200600_302600_NS5minusIjEEEE10hipError_tPvRmT2_T3_mT4_P12ihipStream_tbEUlT_E_NS1_11comp_targetILNS1_3genE0ELNS1_11target_archE4294967295ELNS1_3gpuE0ELNS1_3repE0EEENS1_30default_config_static_selectorELNS0_4arch9wavefront6targetE1EEEvT1_,"axG",@progbits,_ZN7rocprim17ROCPRIM_400000_NS6detail17trampoline_kernelINS0_14default_configENS1_35adjacent_difference_config_selectorILb1EjEEZNS1_24adjacent_difference_implIS3_Lb1ELb0EPjS7_N6thrust23THRUST_200600_302600_NS5minusIjEEEE10hipError_tPvRmT2_T3_mT4_P12ihipStream_tbEUlT_E_NS1_11comp_targetILNS1_3genE0ELNS1_11target_archE4294967295ELNS1_3gpuE0ELNS1_3repE0EEENS1_30default_config_static_selectorELNS0_4arch9wavefront6targetE1EEEvT1_,comdat
	.protected	_ZN7rocprim17ROCPRIM_400000_NS6detail17trampoline_kernelINS0_14default_configENS1_35adjacent_difference_config_selectorILb1EjEEZNS1_24adjacent_difference_implIS3_Lb1ELb0EPjS7_N6thrust23THRUST_200600_302600_NS5minusIjEEEE10hipError_tPvRmT2_T3_mT4_P12ihipStream_tbEUlT_E_NS1_11comp_targetILNS1_3genE0ELNS1_11target_archE4294967295ELNS1_3gpuE0ELNS1_3repE0EEENS1_30default_config_static_selectorELNS0_4arch9wavefront6targetE1EEEvT1_ ; -- Begin function _ZN7rocprim17ROCPRIM_400000_NS6detail17trampoline_kernelINS0_14default_configENS1_35adjacent_difference_config_selectorILb1EjEEZNS1_24adjacent_difference_implIS3_Lb1ELb0EPjS7_N6thrust23THRUST_200600_302600_NS5minusIjEEEE10hipError_tPvRmT2_T3_mT4_P12ihipStream_tbEUlT_E_NS1_11comp_targetILNS1_3genE0ELNS1_11target_archE4294967295ELNS1_3gpuE0ELNS1_3repE0EEENS1_30default_config_static_selectorELNS0_4arch9wavefront6targetE1EEEvT1_
	.globl	_ZN7rocprim17ROCPRIM_400000_NS6detail17trampoline_kernelINS0_14default_configENS1_35adjacent_difference_config_selectorILb1EjEEZNS1_24adjacent_difference_implIS3_Lb1ELb0EPjS7_N6thrust23THRUST_200600_302600_NS5minusIjEEEE10hipError_tPvRmT2_T3_mT4_P12ihipStream_tbEUlT_E_NS1_11comp_targetILNS1_3genE0ELNS1_11target_archE4294967295ELNS1_3gpuE0ELNS1_3repE0EEENS1_30default_config_static_selectorELNS0_4arch9wavefront6targetE1EEEvT1_
	.p2align	8
	.type	_ZN7rocprim17ROCPRIM_400000_NS6detail17trampoline_kernelINS0_14default_configENS1_35adjacent_difference_config_selectorILb1EjEEZNS1_24adjacent_difference_implIS3_Lb1ELb0EPjS7_N6thrust23THRUST_200600_302600_NS5minusIjEEEE10hipError_tPvRmT2_T3_mT4_P12ihipStream_tbEUlT_E_NS1_11comp_targetILNS1_3genE0ELNS1_11target_archE4294967295ELNS1_3gpuE0ELNS1_3repE0EEENS1_30default_config_static_selectorELNS0_4arch9wavefront6targetE1EEEvT1_,@function
_ZN7rocprim17ROCPRIM_400000_NS6detail17trampoline_kernelINS0_14default_configENS1_35adjacent_difference_config_selectorILb1EjEEZNS1_24adjacent_difference_implIS3_Lb1ELb0EPjS7_N6thrust23THRUST_200600_302600_NS5minusIjEEEE10hipError_tPvRmT2_T3_mT4_P12ihipStream_tbEUlT_E_NS1_11comp_targetILNS1_3genE0ELNS1_11target_archE4294967295ELNS1_3gpuE0ELNS1_3repE0EEENS1_30default_config_static_selectorELNS0_4arch9wavefront6targetE1EEEvT1_: ; @_ZN7rocprim17ROCPRIM_400000_NS6detail17trampoline_kernelINS0_14default_configENS1_35adjacent_difference_config_selectorILb1EjEEZNS1_24adjacent_difference_implIS3_Lb1ELb0EPjS7_N6thrust23THRUST_200600_302600_NS5minusIjEEEE10hipError_tPvRmT2_T3_mT4_P12ihipStream_tbEUlT_E_NS1_11comp_targetILNS1_3genE0ELNS1_11target_archE4294967295ELNS1_3gpuE0ELNS1_3repE0EEENS1_30default_config_static_selectorELNS0_4arch9wavefront6targetE1EEEvT1_
; %bb.0:
	.section	.rodata,"a",@progbits
	.p2align	6, 0x0
	.amdhsa_kernel _ZN7rocprim17ROCPRIM_400000_NS6detail17trampoline_kernelINS0_14default_configENS1_35adjacent_difference_config_selectorILb1EjEEZNS1_24adjacent_difference_implIS3_Lb1ELb0EPjS7_N6thrust23THRUST_200600_302600_NS5minusIjEEEE10hipError_tPvRmT2_T3_mT4_P12ihipStream_tbEUlT_E_NS1_11comp_targetILNS1_3genE0ELNS1_11target_archE4294967295ELNS1_3gpuE0ELNS1_3repE0EEENS1_30default_config_static_selectorELNS0_4arch9wavefront6targetE1EEEvT1_
		.amdhsa_group_segment_fixed_size 0
		.amdhsa_private_segment_fixed_size 0
		.amdhsa_kernarg_size 56
		.amdhsa_user_sgpr_count 6
		.amdhsa_user_sgpr_private_segment_buffer 1
		.amdhsa_user_sgpr_dispatch_ptr 0
		.amdhsa_user_sgpr_queue_ptr 0
		.amdhsa_user_sgpr_kernarg_segment_ptr 1
		.amdhsa_user_sgpr_dispatch_id 0
		.amdhsa_user_sgpr_flat_scratch_init 0
		.amdhsa_user_sgpr_kernarg_preload_length 0
		.amdhsa_user_sgpr_kernarg_preload_offset 0
		.amdhsa_user_sgpr_private_segment_size 0
		.amdhsa_uses_dynamic_stack 0
		.amdhsa_system_sgpr_private_segment_wavefront_offset 0
		.amdhsa_system_sgpr_workgroup_id_x 1
		.amdhsa_system_sgpr_workgroup_id_y 0
		.amdhsa_system_sgpr_workgroup_id_z 0
		.amdhsa_system_sgpr_workgroup_info 0
		.amdhsa_system_vgpr_workitem_id 0
		.amdhsa_next_free_vgpr 1
		.amdhsa_next_free_sgpr 0
		.amdhsa_accum_offset 4
		.amdhsa_reserve_vcc 0
		.amdhsa_reserve_flat_scratch 0
		.amdhsa_float_round_mode_32 0
		.amdhsa_float_round_mode_16_64 0
		.amdhsa_float_denorm_mode_32 3
		.amdhsa_float_denorm_mode_16_64 3
		.amdhsa_dx10_clamp 1
		.amdhsa_ieee_mode 1
		.amdhsa_fp16_overflow 0
		.amdhsa_tg_split 0
		.amdhsa_exception_fp_ieee_invalid_op 0
		.amdhsa_exception_fp_denorm_src 0
		.amdhsa_exception_fp_ieee_div_zero 0
		.amdhsa_exception_fp_ieee_overflow 0
		.amdhsa_exception_fp_ieee_underflow 0
		.amdhsa_exception_fp_ieee_inexact 0
		.amdhsa_exception_int_div_zero 0
	.end_amdhsa_kernel
	.section	.text._ZN7rocprim17ROCPRIM_400000_NS6detail17trampoline_kernelINS0_14default_configENS1_35adjacent_difference_config_selectorILb1EjEEZNS1_24adjacent_difference_implIS3_Lb1ELb0EPjS7_N6thrust23THRUST_200600_302600_NS5minusIjEEEE10hipError_tPvRmT2_T3_mT4_P12ihipStream_tbEUlT_E_NS1_11comp_targetILNS1_3genE0ELNS1_11target_archE4294967295ELNS1_3gpuE0ELNS1_3repE0EEENS1_30default_config_static_selectorELNS0_4arch9wavefront6targetE1EEEvT1_,"axG",@progbits,_ZN7rocprim17ROCPRIM_400000_NS6detail17trampoline_kernelINS0_14default_configENS1_35adjacent_difference_config_selectorILb1EjEEZNS1_24adjacent_difference_implIS3_Lb1ELb0EPjS7_N6thrust23THRUST_200600_302600_NS5minusIjEEEE10hipError_tPvRmT2_T3_mT4_P12ihipStream_tbEUlT_E_NS1_11comp_targetILNS1_3genE0ELNS1_11target_archE4294967295ELNS1_3gpuE0ELNS1_3repE0EEENS1_30default_config_static_selectorELNS0_4arch9wavefront6targetE1EEEvT1_,comdat
.Lfunc_end382:
	.size	_ZN7rocprim17ROCPRIM_400000_NS6detail17trampoline_kernelINS0_14default_configENS1_35adjacent_difference_config_selectorILb1EjEEZNS1_24adjacent_difference_implIS3_Lb1ELb0EPjS7_N6thrust23THRUST_200600_302600_NS5minusIjEEEE10hipError_tPvRmT2_T3_mT4_P12ihipStream_tbEUlT_E_NS1_11comp_targetILNS1_3genE0ELNS1_11target_archE4294967295ELNS1_3gpuE0ELNS1_3repE0EEENS1_30default_config_static_selectorELNS0_4arch9wavefront6targetE1EEEvT1_, .Lfunc_end382-_ZN7rocprim17ROCPRIM_400000_NS6detail17trampoline_kernelINS0_14default_configENS1_35adjacent_difference_config_selectorILb1EjEEZNS1_24adjacent_difference_implIS3_Lb1ELb0EPjS7_N6thrust23THRUST_200600_302600_NS5minusIjEEEE10hipError_tPvRmT2_T3_mT4_P12ihipStream_tbEUlT_E_NS1_11comp_targetILNS1_3genE0ELNS1_11target_archE4294967295ELNS1_3gpuE0ELNS1_3repE0EEENS1_30default_config_static_selectorELNS0_4arch9wavefront6targetE1EEEvT1_
                                        ; -- End function
	.section	.AMDGPU.csdata,"",@progbits
; Kernel info:
; codeLenInByte = 0
; NumSgprs: 4
; NumVgprs: 0
; NumAgprs: 0
; TotalNumVgprs: 0
; ScratchSize: 0
; MemoryBound: 0
; FloatMode: 240
; IeeeMode: 1
; LDSByteSize: 0 bytes/workgroup (compile time only)
; SGPRBlocks: 0
; VGPRBlocks: 0
; NumSGPRsForWavesPerEU: 4
; NumVGPRsForWavesPerEU: 1
; AccumOffset: 4
; Occupancy: 8
; WaveLimiterHint : 0
; COMPUTE_PGM_RSRC2:SCRATCH_EN: 0
; COMPUTE_PGM_RSRC2:USER_SGPR: 6
; COMPUTE_PGM_RSRC2:TRAP_HANDLER: 0
; COMPUTE_PGM_RSRC2:TGID_X_EN: 1
; COMPUTE_PGM_RSRC2:TGID_Y_EN: 0
; COMPUTE_PGM_RSRC2:TGID_Z_EN: 0
; COMPUTE_PGM_RSRC2:TIDIG_COMP_CNT: 0
; COMPUTE_PGM_RSRC3_GFX90A:ACCUM_OFFSET: 0
; COMPUTE_PGM_RSRC3_GFX90A:TG_SPLIT: 0
	.section	.text._ZN7rocprim17ROCPRIM_400000_NS6detail17trampoline_kernelINS0_14default_configENS1_35adjacent_difference_config_selectorILb1EjEEZNS1_24adjacent_difference_implIS3_Lb1ELb0EPjS7_N6thrust23THRUST_200600_302600_NS5minusIjEEEE10hipError_tPvRmT2_T3_mT4_P12ihipStream_tbEUlT_E_NS1_11comp_targetILNS1_3genE10ELNS1_11target_archE1201ELNS1_3gpuE5ELNS1_3repE0EEENS1_30default_config_static_selectorELNS0_4arch9wavefront6targetE1EEEvT1_,"axG",@progbits,_ZN7rocprim17ROCPRIM_400000_NS6detail17trampoline_kernelINS0_14default_configENS1_35adjacent_difference_config_selectorILb1EjEEZNS1_24adjacent_difference_implIS3_Lb1ELb0EPjS7_N6thrust23THRUST_200600_302600_NS5minusIjEEEE10hipError_tPvRmT2_T3_mT4_P12ihipStream_tbEUlT_E_NS1_11comp_targetILNS1_3genE10ELNS1_11target_archE1201ELNS1_3gpuE5ELNS1_3repE0EEENS1_30default_config_static_selectorELNS0_4arch9wavefront6targetE1EEEvT1_,comdat
	.protected	_ZN7rocprim17ROCPRIM_400000_NS6detail17trampoline_kernelINS0_14default_configENS1_35adjacent_difference_config_selectorILb1EjEEZNS1_24adjacent_difference_implIS3_Lb1ELb0EPjS7_N6thrust23THRUST_200600_302600_NS5minusIjEEEE10hipError_tPvRmT2_T3_mT4_P12ihipStream_tbEUlT_E_NS1_11comp_targetILNS1_3genE10ELNS1_11target_archE1201ELNS1_3gpuE5ELNS1_3repE0EEENS1_30default_config_static_selectorELNS0_4arch9wavefront6targetE1EEEvT1_ ; -- Begin function _ZN7rocprim17ROCPRIM_400000_NS6detail17trampoline_kernelINS0_14default_configENS1_35adjacent_difference_config_selectorILb1EjEEZNS1_24adjacent_difference_implIS3_Lb1ELb0EPjS7_N6thrust23THRUST_200600_302600_NS5minusIjEEEE10hipError_tPvRmT2_T3_mT4_P12ihipStream_tbEUlT_E_NS1_11comp_targetILNS1_3genE10ELNS1_11target_archE1201ELNS1_3gpuE5ELNS1_3repE0EEENS1_30default_config_static_selectorELNS0_4arch9wavefront6targetE1EEEvT1_
	.globl	_ZN7rocprim17ROCPRIM_400000_NS6detail17trampoline_kernelINS0_14default_configENS1_35adjacent_difference_config_selectorILb1EjEEZNS1_24adjacent_difference_implIS3_Lb1ELb0EPjS7_N6thrust23THRUST_200600_302600_NS5minusIjEEEE10hipError_tPvRmT2_T3_mT4_P12ihipStream_tbEUlT_E_NS1_11comp_targetILNS1_3genE10ELNS1_11target_archE1201ELNS1_3gpuE5ELNS1_3repE0EEENS1_30default_config_static_selectorELNS0_4arch9wavefront6targetE1EEEvT1_
	.p2align	8
	.type	_ZN7rocprim17ROCPRIM_400000_NS6detail17trampoline_kernelINS0_14default_configENS1_35adjacent_difference_config_selectorILb1EjEEZNS1_24adjacent_difference_implIS3_Lb1ELb0EPjS7_N6thrust23THRUST_200600_302600_NS5minusIjEEEE10hipError_tPvRmT2_T3_mT4_P12ihipStream_tbEUlT_E_NS1_11comp_targetILNS1_3genE10ELNS1_11target_archE1201ELNS1_3gpuE5ELNS1_3repE0EEENS1_30default_config_static_selectorELNS0_4arch9wavefront6targetE1EEEvT1_,@function
_ZN7rocprim17ROCPRIM_400000_NS6detail17trampoline_kernelINS0_14default_configENS1_35adjacent_difference_config_selectorILb1EjEEZNS1_24adjacent_difference_implIS3_Lb1ELb0EPjS7_N6thrust23THRUST_200600_302600_NS5minusIjEEEE10hipError_tPvRmT2_T3_mT4_P12ihipStream_tbEUlT_E_NS1_11comp_targetILNS1_3genE10ELNS1_11target_archE1201ELNS1_3gpuE5ELNS1_3repE0EEENS1_30default_config_static_selectorELNS0_4arch9wavefront6targetE1EEEvT1_: ; @_ZN7rocprim17ROCPRIM_400000_NS6detail17trampoline_kernelINS0_14default_configENS1_35adjacent_difference_config_selectorILb1EjEEZNS1_24adjacent_difference_implIS3_Lb1ELb0EPjS7_N6thrust23THRUST_200600_302600_NS5minusIjEEEE10hipError_tPvRmT2_T3_mT4_P12ihipStream_tbEUlT_E_NS1_11comp_targetILNS1_3genE10ELNS1_11target_archE1201ELNS1_3gpuE5ELNS1_3repE0EEENS1_30default_config_static_selectorELNS0_4arch9wavefront6targetE1EEEvT1_
; %bb.0:
	.section	.rodata,"a",@progbits
	.p2align	6, 0x0
	.amdhsa_kernel _ZN7rocprim17ROCPRIM_400000_NS6detail17trampoline_kernelINS0_14default_configENS1_35adjacent_difference_config_selectorILb1EjEEZNS1_24adjacent_difference_implIS3_Lb1ELb0EPjS7_N6thrust23THRUST_200600_302600_NS5minusIjEEEE10hipError_tPvRmT2_T3_mT4_P12ihipStream_tbEUlT_E_NS1_11comp_targetILNS1_3genE10ELNS1_11target_archE1201ELNS1_3gpuE5ELNS1_3repE0EEENS1_30default_config_static_selectorELNS0_4arch9wavefront6targetE1EEEvT1_
		.amdhsa_group_segment_fixed_size 0
		.amdhsa_private_segment_fixed_size 0
		.amdhsa_kernarg_size 56
		.amdhsa_user_sgpr_count 6
		.amdhsa_user_sgpr_private_segment_buffer 1
		.amdhsa_user_sgpr_dispatch_ptr 0
		.amdhsa_user_sgpr_queue_ptr 0
		.amdhsa_user_sgpr_kernarg_segment_ptr 1
		.amdhsa_user_sgpr_dispatch_id 0
		.amdhsa_user_sgpr_flat_scratch_init 0
		.amdhsa_user_sgpr_kernarg_preload_length 0
		.amdhsa_user_sgpr_kernarg_preload_offset 0
		.amdhsa_user_sgpr_private_segment_size 0
		.amdhsa_uses_dynamic_stack 0
		.amdhsa_system_sgpr_private_segment_wavefront_offset 0
		.amdhsa_system_sgpr_workgroup_id_x 1
		.amdhsa_system_sgpr_workgroup_id_y 0
		.amdhsa_system_sgpr_workgroup_id_z 0
		.amdhsa_system_sgpr_workgroup_info 0
		.amdhsa_system_vgpr_workitem_id 0
		.amdhsa_next_free_vgpr 1
		.amdhsa_next_free_sgpr 0
		.amdhsa_accum_offset 4
		.amdhsa_reserve_vcc 0
		.amdhsa_reserve_flat_scratch 0
		.amdhsa_float_round_mode_32 0
		.amdhsa_float_round_mode_16_64 0
		.amdhsa_float_denorm_mode_32 3
		.amdhsa_float_denorm_mode_16_64 3
		.amdhsa_dx10_clamp 1
		.amdhsa_ieee_mode 1
		.amdhsa_fp16_overflow 0
		.amdhsa_tg_split 0
		.amdhsa_exception_fp_ieee_invalid_op 0
		.amdhsa_exception_fp_denorm_src 0
		.amdhsa_exception_fp_ieee_div_zero 0
		.amdhsa_exception_fp_ieee_overflow 0
		.amdhsa_exception_fp_ieee_underflow 0
		.amdhsa_exception_fp_ieee_inexact 0
		.amdhsa_exception_int_div_zero 0
	.end_amdhsa_kernel
	.section	.text._ZN7rocprim17ROCPRIM_400000_NS6detail17trampoline_kernelINS0_14default_configENS1_35adjacent_difference_config_selectorILb1EjEEZNS1_24adjacent_difference_implIS3_Lb1ELb0EPjS7_N6thrust23THRUST_200600_302600_NS5minusIjEEEE10hipError_tPvRmT2_T3_mT4_P12ihipStream_tbEUlT_E_NS1_11comp_targetILNS1_3genE10ELNS1_11target_archE1201ELNS1_3gpuE5ELNS1_3repE0EEENS1_30default_config_static_selectorELNS0_4arch9wavefront6targetE1EEEvT1_,"axG",@progbits,_ZN7rocprim17ROCPRIM_400000_NS6detail17trampoline_kernelINS0_14default_configENS1_35adjacent_difference_config_selectorILb1EjEEZNS1_24adjacent_difference_implIS3_Lb1ELb0EPjS7_N6thrust23THRUST_200600_302600_NS5minusIjEEEE10hipError_tPvRmT2_T3_mT4_P12ihipStream_tbEUlT_E_NS1_11comp_targetILNS1_3genE10ELNS1_11target_archE1201ELNS1_3gpuE5ELNS1_3repE0EEENS1_30default_config_static_selectorELNS0_4arch9wavefront6targetE1EEEvT1_,comdat
.Lfunc_end383:
	.size	_ZN7rocprim17ROCPRIM_400000_NS6detail17trampoline_kernelINS0_14default_configENS1_35adjacent_difference_config_selectorILb1EjEEZNS1_24adjacent_difference_implIS3_Lb1ELb0EPjS7_N6thrust23THRUST_200600_302600_NS5minusIjEEEE10hipError_tPvRmT2_T3_mT4_P12ihipStream_tbEUlT_E_NS1_11comp_targetILNS1_3genE10ELNS1_11target_archE1201ELNS1_3gpuE5ELNS1_3repE0EEENS1_30default_config_static_selectorELNS0_4arch9wavefront6targetE1EEEvT1_, .Lfunc_end383-_ZN7rocprim17ROCPRIM_400000_NS6detail17trampoline_kernelINS0_14default_configENS1_35adjacent_difference_config_selectorILb1EjEEZNS1_24adjacent_difference_implIS3_Lb1ELb0EPjS7_N6thrust23THRUST_200600_302600_NS5minusIjEEEE10hipError_tPvRmT2_T3_mT4_P12ihipStream_tbEUlT_E_NS1_11comp_targetILNS1_3genE10ELNS1_11target_archE1201ELNS1_3gpuE5ELNS1_3repE0EEENS1_30default_config_static_selectorELNS0_4arch9wavefront6targetE1EEEvT1_
                                        ; -- End function
	.section	.AMDGPU.csdata,"",@progbits
; Kernel info:
; codeLenInByte = 0
; NumSgprs: 4
; NumVgprs: 0
; NumAgprs: 0
; TotalNumVgprs: 0
; ScratchSize: 0
; MemoryBound: 0
; FloatMode: 240
; IeeeMode: 1
; LDSByteSize: 0 bytes/workgroup (compile time only)
; SGPRBlocks: 0
; VGPRBlocks: 0
; NumSGPRsForWavesPerEU: 4
; NumVGPRsForWavesPerEU: 1
; AccumOffset: 4
; Occupancy: 8
; WaveLimiterHint : 0
; COMPUTE_PGM_RSRC2:SCRATCH_EN: 0
; COMPUTE_PGM_RSRC2:USER_SGPR: 6
; COMPUTE_PGM_RSRC2:TRAP_HANDLER: 0
; COMPUTE_PGM_RSRC2:TGID_X_EN: 1
; COMPUTE_PGM_RSRC2:TGID_Y_EN: 0
; COMPUTE_PGM_RSRC2:TGID_Z_EN: 0
; COMPUTE_PGM_RSRC2:TIDIG_COMP_CNT: 0
; COMPUTE_PGM_RSRC3_GFX90A:ACCUM_OFFSET: 0
; COMPUTE_PGM_RSRC3_GFX90A:TG_SPLIT: 0
	.section	.text._ZN7rocprim17ROCPRIM_400000_NS6detail17trampoline_kernelINS0_14default_configENS1_35adjacent_difference_config_selectorILb1EjEEZNS1_24adjacent_difference_implIS3_Lb1ELb0EPjS7_N6thrust23THRUST_200600_302600_NS5minusIjEEEE10hipError_tPvRmT2_T3_mT4_P12ihipStream_tbEUlT_E_NS1_11comp_targetILNS1_3genE5ELNS1_11target_archE942ELNS1_3gpuE9ELNS1_3repE0EEENS1_30default_config_static_selectorELNS0_4arch9wavefront6targetE1EEEvT1_,"axG",@progbits,_ZN7rocprim17ROCPRIM_400000_NS6detail17trampoline_kernelINS0_14default_configENS1_35adjacent_difference_config_selectorILb1EjEEZNS1_24adjacent_difference_implIS3_Lb1ELb0EPjS7_N6thrust23THRUST_200600_302600_NS5minusIjEEEE10hipError_tPvRmT2_T3_mT4_P12ihipStream_tbEUlT_E_NS1_11comp_targetILNS1_3genE5ELNS1_11target_archE942ELNS1_3gpuE9ELNS1_3repE0EEENS1_30default_config_static_selectorELNS0_4arch9wavefront6targetE1EEEvT1_,comdat
	.protected	_ZN7rocprim17ROCPRIM_400000_NS6detail17trampoline_kernelINS0_14default_configENS1_35adjacent_difference_config_selectorILb1EjEEZNS1_24adjacent_difference_implIS3_Lb1ELb0EPjS7_N6thrust23THRUST_200600_302600_NS5minusIjEEEE10hipError_tPvRmT2_T3_mT4_P12ihipStream_tbEUlT_E_NS1_11comp_targetILNS1_3genE5ELNS1_11target_archE942ELNS1_3gpuE9ELNS1_3repE0EEENS1_30default_config_static_selectorELNS0_4arch9wavefront6targetE1EEEvT1_ ; -- Begin function _ZN7rocprim17ROCPRIM_400000_NS6detail17trampoline_kernelINS0_14default_configENS1_35adjacent_difference_config_selectorILb1EjEEZNS1_24adjacent_difference_implIS3_Lb1ELb0EPjS7_N6thrust23THRUST_200600_302600_NS5minusIjEEEE10hipError_tPvRmT2_T3_mT4_P12ihipStream_tbEUlT_E_NS1_11comp_targetILNS1_3genE5ELNS1_11target_archE942ELNS1_3gpuE9ELNS1_3repE0EEENS1_30default_config_static_selectorELNS0_4arch9wavefront6targetE1EEEvT1_
	.globl	_ZN7rocprim17ROCPRIM_400000_NS6detail17trampoline_kernelINS0_14default_configENS1_35adjacent_difference_config_selectorILb1EjEEZNS1_24adjacent_difference_implIS3_Lb1ELb0EPjS7_N6thrust23THRUST_200600_302600_NS5minusIjEEEE10hipError_tPvRmT2_T3_mT4_P12ihipStream_tbEUlT_E_NS1_11comp_targetILNS1_3genE5ELNS1_11target_archE942ELNS1_3gpuE9ELNS1_3repE0EEENS1_30default_config_static_selectorELNS0_4arch9wavefront6targetE1EEEvT1_
	.p2align	8
	.type	_ZN7rocprim17ROCPRIM_400000_NS6detail17trampoline_kernelINS0_14default_configENS1_35adjacent_difference_config_selectorILb1EjEEZNS1_24adjacent_difference_implIS3_Lb1ELb0EPjS7_N6thrust23THRUST_200600_302600_NS5minusIjEEEE10hipError_tPvRmT2_T3_mT4_P12ihipStream_tbEUlT_E_NS1_11comp_targetILNS1_3genE5ELNS1_11target_archE942ELNS1_3gpuE9ELNS1_3repE0EEENS1_30default_config_static_selectorELNS0_4arch9wavefront6targetE1EEEvT1_,@function
_ZN7rocprim17ROCPRIM_400000_NS6detail17trampoline_kernelINS0_14default_configENS1_35adjacent_difference_config_selectorILb1EjEEZNS1_24adjacent_difference_implIS3_Lb1ELb0EPjS7_N6thrust23THRUST_200600_302600_NS5minusIjEEEE10hipError_tPvRmT2_T3_mT4_P12ihipStream_tbEUlT_E_NS1_11comp_targetILNS1_3genE5ELNS1_11target_archE942ELNS1_3gpuE9ELNS1_3repE0EEENS1_30default_config_static_selectorELNS0_4arch9wavefront6targetE1EEEvT1_: ; @_ZN7rocprim17ROCPRIM_400000_NS6detail17trampoline_kernelINS0_14default_configENS1_35adjacent_difference_config_selectorILb1EjEEZNS1_24adjacent_difference_implIS3_Lb1ELb0EPjS7_N6thrust23THRUST_200600_302600_NS5minusIjEEEE10hipError_tPvRmT2_T3_mT4_P12ihipStream_tbEUlT_E_NS1_11comp_targetILNS1_3genE5ELNS1_11target_archE942ELNS1_3gpuE9ELNS1_3repE0EEENS1_30default_config_static_selectorELNS0_4arch9wavefront6targetE1EEEvT1_
; %bb.0:
	.section	.rodata,"a",@progbits
	.p2align	6, 0x0
	.amdhsa_kernel _ZN7rocprim17ROCPRIM_400000_NS6detail17trampoline_kernelINS0_14default_configENS1_35adjacent_difference_config_selectorILb1EjEEZNS1_24adjacent_difference_implIS3_Lb1ELb0EPjS7_N6thrust23THRUST_200600_302600_NS5minusIjEEEE10hipError_tPvRmT2_T3_mT4_P12ihipStream_tbEUlT_E_NS1_11comp_targetILNS1_3genE5ELNS1_11target_archE942ELNS1_3gpuE9ELNS1_3repE0EEENS1_30default_config_static_selectorELNS0_4arch9wavefront6targetE1EEEvT1_
		.amdhsa_group_segment_fixed_size 0
		.amdhsa_private_segment_fixed_size 0
		.amdhsa_kernarg_size 56
		.amdhsa_user_sgpr_count 6
		.amdhsa_user_sgpr_private_segment_buffer 1
		.amdhsa_user_sgpr_dispatch_ptr 0
		.amdhsa_user_sgpr_queue_ptr 0
		.amdhsa_user_sgpr_kernarg_segment_ptr 1
		.amdhsa_user_sgpr_dispatch_id 0
		.amdhsa_user_sgpr_flat_scratch_init 0
		.amdhsa_user_sgpr_kernarg_preload_length 0
		.amdhsa_user_sgpr_kernarg_preload_offset 0
		.amdhsa_user_sgpr_private_segment_size 0
		.amdhsa_uses_dynamic_stack 0
		.amdhsa_system_sgpr_private_segment_wavefront_offset 0
		.amdhsa_system_sgpr_workgroup_id_x 1
		.amdhsa_system_sgpr_workgroup_id_y 0
		.amdhsa_system_sgpr_workgroup_id_z 0
		.amdhsa_system_sgpr_workgroup_info 0
		.amdhsa_system_vgpr_workitem_id 0
		.amdhsa_next_free_vgpr 1
		.amdhsa_next_free_sgpr 0
		.amdhsa_accum_offset 4
		.amdhsa_reserve_vcc 0
		.amdhsa_reserve_flat_scratch 0
		.amdhsa_float_round_mode_32 0
		.amdhsa_float_round_mode_16_64 0
		.amdhsa_float_denorm_mode_32 3
		.amdhsa_float_denorm_mode_16_64 3
		.amdhsa_dx10_clamp 1
		.amdhsa_ieee_mode 1
		.amdhsa_fp16_overflow 0
		.amdhsa_tg_split 0
		.amdhsa_exception_fp_ieee_invalid_op 0
		.amdhsa_exception_fp_denorm_src 0
		.amdhsa_exception_fp_ieee_div_zero 0
		.amdhsa_exception_fp_ieee_overflow 0
		.amdhsa_exception_fp_ieee_underflow 0
		.amdhsa_exception_fp_ieee_inexact 0
		.amdhsa_exception_int_div_zero 0
	.end_amdhsa_kernel
	.section	.text._ZN7rocprim17ROCPRIM_400000_NS6detail17trampoline_kernelINS0_14default_configENS1_35adjacent_difference_config_selectorILb1EjEEZNS1_24adjacent_difference_implIS3_Lb1ELb0EPjS7_N6thrust23THRUST_200600_302600_NS5minusIjEEEE10hipError_tPvRmT2_T3_mT4_P12ihipStream_tbEUlT_E_NS1_11comp_targetILNS1_3genE5ELNS1_11target_archE942ELNS1_3gpuE9ELNS1_3repE0EEENS1_30default_config_static_selectorELNS0_4arch9wavefront6targetE1EEEvT1_,"axG",@progbits,_ZN7rocprim17ROCPRIM_400000_NS6detail17trampoline_kernelINS0_14default_configENS1_35adjacent_difference_config_selectorILb1EjEEZNS1_24adjacent_difference_implIS3_Lb1ELb0EPjS7_N6thrust23THRUST_200600_302600_NS5minusIjEEEE10hipError_tPvRmT2_T3_mT4_P12ihipStream_tbEUlT_E_NS1_11comp_targetILNS1_3genE5ELNS1_11target_archE942ELNS1_3gpuE9ELNS1_3repE0EEENS1_30default_config_static_selectorELNS0_4arch9wavefront6targetE1EEEvT1_,comdat
.Lfunc_end384:
	.size	_ZN7rocprim17ROCPRIM_400000_NS6detail17trampoline_kernelINS0_14default_configENS1_35adjacent_difference_config_selectorILb1EjEEZNS1_24adjacent_difference_implIS3_Lb1ELb0EPjS7_N6thrust23THRUST_200600_302600_NS5minusIjEEEE10hipError_tPvRmT2_T3_mT4_P12ihipStream_tbEUlT_E_NS1_11comp_targetILNS1_3genE5ELNS1_11target_archE942ELNS1_3gpuE9ELNS1_3repE0EEENS1_30default_config_static_selectorELNS0_4arch9wavefront6targetE1EEEvT1_, .Lfunc_end384-_ZN7rocprim17ROCPRIM_400000_NS6detail17trampoline_kernelINS0_14default_configENS1_35adjacent_difference_config_selectorILb1EjEEZNS1_24adjacent_difference_implIS3_Lb1ELb0EPjS7_N6thrust23THRUST_200600_302600_NS5minusIjEEEE10hipError_tPvRmT2_T3_mT4_P12ihipStream_tbEUlT_E_NS1_11comp_targetILNS1_3genE5ELNS1_11target_archE942ELNS1_3gpuE9ELNS1_3repE0EEENS1_30default_config_static_selectorELNS0_4arch9wavefront6targetE1EEEvT1_
                                        ; -- End function
	.section	.AMDGPU.csdata,"",@progbits
; Kernel info:
; codeLenInByte = 0
; NumSgprs: 4
; NumVgprs: 0
; NumAgprs: 0
; TotalNumVgprs: 0
; ScratchSize: 0
; MemoryBound: 0
; FloatMode: 240
; IeeeMode: 1
; LDSByteSize: 0 bytes/workgroup (compile time only)
; SGPRBlocks: 0
; VGPRBlocks: 0
; NumSGPRsForWavesPerEU: 4
; NumVGPRsForWavesPerEU: 1
; AccumOffset: 4
; Occupancy: 8
; WaveLimiterHint : 0
; COMPUTE_PGM_RSRC2:SCRATCH_EN: 0
; COMPUTE_PGM_RSRC2:USER_SGPR: 6
; COMPUTE_PGM_RSRC2:TRAP_HANDLER: 0
; COMPUTE_PGM_RSRC2:TGID_X_EN: 1
; COMPUTE_PGM_RSRC2:TGID_Y_EN: 0
; COMPUTE_PGM_RSRC2:TGID_Z_EN: 0
; COMPUTE_PGM_RSRC2:TIDIG_COMP_CNT: 0
; COMPUTE_PGM_RSRC3_GFX90A:ACCUM_OFFSET: 0
; COMPUTE_PGM_RSRC3_GFX90A:TG_SPLIT: 0
	.section	.text._ZN7rocprim17ROCPRIM_400000_NS6detail17trampoline_kernelINS0_14default_configENS1_35adjacent_difference_config_selectorILb1EjEEZNS1_24adjacent_difference_implIS3_Lb1ELb0EPjS7_N6thrust23THRUST_200600_302600_NS5minusIjEEEE10hipError_tPvRmT2_T3_mT4_P12ihipStream_tbEUlT_E_NS1_11comp_targetILNS1_3genE4ELNS1_11target_archE910ELNS1_3gpuE8ELNS1_3repE0EEENS1_30default_config_static_selectorELNS0_4arch9wavefront6targetE1EEEvT1_,"axG",@progbits,_ZN7rocprim17ROCPRIM_400000_NS6detail17trampoline_kernelINS0_14default_configENS1_35adjacent_difference_config_selectorILb1EjEEZNS1_24adjacent_difference_implIS3_Lb1ELb0EPjS7_N6thrust23THRUST_200600_302600_NS5minusIjEEEE10hipError_tPvRmT2_T3_mT4_P12ihipStream_tbEUlT_E_NS1_11comp_targetILNS1_3genE4ELNS1_11target_archE910ELNS1_3gpuE8ELNS1_3repE0EEENS1_30default_config_static_selectorELNS0_4arch9wavefront6targetE1EEEvT1_,comdat
	.protected	_ZN7rocprim17ROCPRIM_400000_NS6detail17trampoline_kernelINS0_14default_configENS1_35adjacent_difference_config_selectorILb1EjEEZNS1_24adjacent_difference_implIS3_Lb1ELb0EPjS7_N6thrust23THRUST_200600_302600_NS5minusIjEEEE10hipError_tPvRmT2_T3_mT4_P12ihipStream_tbEUlT_E_NS1_11comp_targetILNS1_3genE4ELNS1_11target_archE910ELNS1_3gpuE8ELNS1_3repE0EEENS1_30default_config_static_selectorELNS0_4arch9wavefront6targetE1EEEvT1_ ; -- Begin function _ZN7rocprim17ROCPRIM_400000_NS6detail17trampoline_kernelINS0_14default_configENS1_35adjacent_difference_config_selectorILb1EjEEZNS1_24adjacent_difference_implIS3_Lb1ELb0EPjS7_N6thrust23THRUST_200600_302600_NS5minusIjEEEE10hipError_tPvRmT2_T3_mT4_P12ihipStream_tbEUlT_E_NS1_11comp_targetILNS1_3genE4ELNS1_11target_archE910ELNS1_3gpuE8ELNS1_3repE0EEENS1_30default_config_static_selectorELNS0_4arch9wavefront6targetE1EEEvT1_
	.globl	_ZN7rocprim17ROCPRIM_400000_NS6detail17trampoline_kernelINS0_14default_configENS1_35adjacent_difference_config_selectorILb1EjEEZNS1_24adjacent_difference_implIS3_Lb1ELb0EPjS7_N6thrust23THRUST_200600_302600_NS5minusIjEEEE10hipError_tPvRmT2_T3_mT4_P12ihipStream_tbEUlT_E_NS1_11comp_targetILNS1_3genE4ELNS1_11target_archE910ELNS1_3gpuE8ELNS1_3repE0EEENS1_30default_config_static_selectorELNS0_4arch9wavefront6targetE1EEEvT1_
	.p2align	8
	.type	_ZN7rocprim17ROCPRIM_400000_NS6detail17trampoline_kernelINS0_14default_configENS1_35adjacent_difference_config_selectorILb1EjEEZNS1_24adjacent_difference_implIS3_Lb1ELb0EPjS7_N6thrust23THRUST_200600_302600_NS5minusIjEEEE10hipError_tPvRmT2_T3_mT4_P12ihipStream_tbEUlT_E_NS1_11comp_targetILNS1_3genE4ELNS1_11target_archE910ELNS1_3gpuE8ELNS1_3repE0EEENS1_30default_config_static_selectorELNS0_4arch9wavefront6targetE1EEEvT1_,@function
_ZN7rocprim17ROCPRIM_400000_NS6detail17trampoline_kernelINS0_14default_configENS1_35adjacent_difference_config_selectorILb1EjEEZNS1_24adjacent_difference_implIS3_Lb1ELb0EPjS7_N6thrust23THRUST_200600_302600_NS5minusIjEEEE10hipError_tPvRmT2_T3_mT4_P12ihipStream_tbEUlT_E_NS1_11comp_targetILNS1_3genE4ELNS1_11target_archE910ELNS1_3gpuE8ELNS1_3repE0EEENS1_30default_config_static_selectorELNS0_4arch9wavefront6targetE1EEEvT1_: ; @_ZN7rocprim17ROCPRIM_400000_NS6detail17trampoline_kernelINS0_14default_configENS1_35adjacent_difference_config_selectorILb1EjEEZNS1_24adjacent_difference_implIS3_Lb1ELb0EPjS7_N6thrust23THRUST_200600_302600_NS5minusIjEEEE10hipError_tPvRmT2_T3_mT4_P12ihipStream_tbEUlT_E_NS1_11comp_targetILNS1_3genE4ELNS1_11target_archE910ELNS1_3gpuE8ELNS1_3repE0EEENS1_30default_config_static_selectorELNS0_4arch9wavefront6targetE1EEEvT1_
; %bb.0:
	s_load_dwordx8 s[8:15], s[4:5], 0x0
	s_mov_b32 s0, 0x59999780
	s_load_dwordx4 s[16:19], s[4:5], 0x28
	s_movk_i32 s2, 0xa00
	s_mul_i32 s4, s6, 0xa00
	s_waitcnt lgkmcnt(0)
	s_lshl_b64 s[10:11], s[10:11], 2
	s_add_u32 s26, s8, s10
	s_addc_u32 s27, s9, s11
	s_add_u32 s0, 0xe0, s0
	s_addc_u32 s3, 0, 0
	v_add_co_u32_e64 v1, s[0:1], s0, 2.0
	s_cmp_lg_u64 s[0:1], 0
	s_addc_u32 s0, s3, 0x199999
	v_readfirstlane_b32 s3, v1
	s_mul_hi_u32 s5, s3, 0xfffff600
	s_mul_i32 s1, s0, 0xfffff600
	s_sub_i32 s5, s5, s3
	s_add_i32 s5, s5, s1
	s_mul_i32 s9, s3, 0xfffff600
	s_mul_hi_u32 s1, s3, s5
	s_mul_i32 s8, s3, s5
	s_mul_hi_u32 s3, s3, s9
	s_add_u32 s3, s3, s8
	s_addc_u32 s1, 0, s1
	s_mul_hi_u32 s20, s0, s9
	s_mul_i32 s9, s0, s9
	s_add_u32 s3, s3, s9
	s_mul_hi_u32 s8, s0, s5
	s_addc_u32 s1, s1, s20
	s_addc_u32 s3, s8, 0
	s_mul_i32 s5, s0, s5
	s_add_u32 s1, s1, s5
	s_addc_u32 s3, 0, s3
	v_add_co_u32_e32 v1, vcc, s1, v1
	s_cmp_lg_u64 vcc, 0
	s_addc_u32 s0, s0, s3
	v_readfirstlane_b32 s5, v1
	s_mul_i32 s3, s14, s0
	s_mul_hi_u32 s8, s14, s5
	s_mul_hi_u32 s1, s14, s0
	s_add_u32 s3, s8, s3
	s_addc_u32 s1, 0, s1
	s_mul_hi_u32 s9, s15, s5
	s_mul_i32 s5, s15, s5
	s_add_u32 s3, s3, s5
	s_mul_hi_u32 s8, s15, s0
	s_addc_u32 s1, s1, s9
	s_addc_u32 s3, s8, 0
	s_mul_i32 s0, s15, s0
	s_add_u32 s0, s1, s0
	s_addc_u32 s1, 0, s3
	s_add_u32 s3, s0, 1
	s_addc_u32 s5, s1, 0
	s_add_u32 s8, s0, 2
	s_mul_i32 s20, s1, 0xa00
	s_mul_hi_u32 s21, s0, 0xa00
	s_addc_u32 s9, s1, 0
	s_add_i32 s21, s21, s20
	s_mul_i32 s20, s0, 0xa00
	v_mov_b32_e32 v1, s20
	v_sub_co_u32_e32 v1, vcc, s14, v1
	s_cmp_lg_u64 vcc, 0
	s_subb_u32 s20, s15, s21
	v_subrev_co_u32_e32 v2, vcc, s2, v1
	s_cmp_lg_u64 vcc, 0
	s_subb_u32 s2, s20, 0
	v_readfirstlane_b32 s21, v2
	s_cmpk_gt_u32 s21, 0x9ff
	s_cselect_b32 s21, -1, 0
	s_cmp_eq_u32 s2, 0
	s_cselect_b32 s2, s21, -1
	s_cmp_lg_u32 s2, 0
	s_cselect_b32 s2, s8, s3
	s_cselect_b32 s3, s9, s5
	v_readfirstlane_b32 s5, v1
	s_cmpk_gt_u32 s5, 0x9ff
	s_cselect_b32 s5, -1, 0
	s_cmp_eq_u32 s20, 0
	s_cselect_b32 s5, s5, -1
	s_cmp_lg_u32 s5, 0
	s_cselect_b32 s3, s3, s1
	s_cselect_b32 s2, s2, s0
	s_mul_i32 s0, s3, 0xa00
	s_mul_hi_u32 s1, s2, 0xa00
	s_add_i32 s1, s1, s0
	s_mul_i32 s0, s2, 0xa00
	s_sub_u32 s0, s14, s0
	s_subb_u32 s1, s15, s1
	s_cmp_lg_u64 s[0:1], 0
	s_cselect_b64 s[0:1], -1, 0
	v_cndmask_b32_e64 v1, 0, 1, s[0:1]
	v_readfirstlane_b32 s0, v1
	s_add_u32 s2, s2, s0
	s_addc_u32 s3, s3, 0
	s_add_u32 s8, s18, s6
	s_addc_u32 s9, s19, 0
	s_add_u32 s20, s2, -1
	s_addc_u32 s21, s3, -1
	v_pk_mov_b32 v[2:3], s[20:21], s[20:21] op_sel:[0,1]
	v_cmp_ge_u64_e64 s[0:1], s[8:9], v[2:3]
	s_mov_b32 s7, 0
	s_mov_b64 s[22:23], -1
	s_and_b64 vcc, exec, s[0:1]
	s_mul_i32 s15, s20, 0xfffff600
	s_cbranch_vccz .LBB385_12
; %bb.1:
	s_mov_b32 s5, s7
	s_add_i32 s28, s15, s14
	s_lshl_b64 s[22:23], s[4:5], 2
	s_add_u32 s22, s26, s22
	s_addc_u32 s23, s27, s23
	v_cmp_gt_u32_e32 vcc, s28, v0
                                        ; implicit-def: $vgpr2_vgpr3_vgpr4_vgpr5_vgpr6
	s_and_saveexec_b64 s[24:25], vcc
	s_cbranch_execz .LBB385_3
; %bb.2:
	v_lshlrev_b32_e32 v1, 2, v0
	global_load_dword v2, v1, s[22:23]
.LBB385_3:
	s_or_b64 exec, exec, s[24:25]
	v_or_b32_e32 v1, 0x200, v0
	v_cmp_gt_u32_e32 vcc, s28, v1
	s_and_saveexec_b64 s[24:25], vcc
	s_cbranch_execz .LBB385_5
; %bb.4:
	v_lshlrev_b32_e32 v1, 2, v0
	global_load_dword v3, v1, s[22:23] offset:2048
.LBB385_5:
	s_or_b64 exec, exec, s[24:25]
	v_or_b32_e32 v1, 0x400, v0
	v_cmp_gt_u32_e32 vcc, s28, v1
	s_and_saveexec_b64 s[24:25], vcc
	s_cbranch_execz .LBB385_7
; %bb.6:
	v_lshlrev_b32_e32 v1, 2, v1
	global_load_dword v4, v1, s[22:23]
.LBB385_7:
	s_or_b64 exec, exec, s[24:25]
	v_or_b32_e32 v1, 0x600, v0
	v_cmp_gt_u32_e32 vcc, s28, v1
	s_and_saveexec_b64 s[24:25], vcc
	s_cbranch_execz .LBB385_9
; %bb.8:
	v_lshlrev_b32_e32 v1, 2, v1
	global_load_dword v5, v1, s[22:23]
.LBB385_9:
	;; [unrolled: 9-line block ×3, first 2 shown]
	s_or_b64 exec, exec, s[24:25]
	v_lshlrev_b32_e32 v1, 2, v0
	s_mov_b64 s[22:23], 0
	s_waitcnt vmcnt(0)
	ds_write2st64_b32 v1, v2, v3 offset1:8
	ds_write2st64_b32 v1, v4, v5 offset0:16 offset1:24
	ds_write_b32 v1, v6 offset:8192
	s_waitcnt lgkmcnt(0)
	s_barrier
.LBB385_12:
	s_and_b64 vcc, exec, s[22:23]
	v_lshlrev_b32_e32 v1, 2, v0
	s_cbranch_vccz .LBB385_14
; %bb.13:
	s_mov_b32 s5, 0
	s_lshl_b64 s[22:23], s[4:5], 2
	s_add_u32 s22, s26, s22
	s_addc_u32 s23, s27, s23
	v_mov_b32_e32 v2, s23
	v_add_co_u32_e32 v4, vcc, s22, v1
	v_addc_co_u32_e32 v5, vcc, 0, v2, vcc
	v_add_co_u32_e32 v2, vcc, 0x1000, v4
	v_addc_co_u32_e32 v3, vcc, 0, v5, vcc
	global_load_dword v6, v1, s[22:23]
	global_load_dword v7, v1, s[22:23] offset:2048
	global_load_dword v8, v[2:3], off
	global_load_dword v9, v[2:3], off offset:2048
	v_add_co_u32_e32 v2, vcc, 0x2000, v4
	v_addc_co_u32_e32 v3, vcc, 0, v5, vcc
	global_load_dword v2, v[2:3], off
	s_waitcnt vmcnt(3)
	ds_write2st64_b32 v1, v6, v7 offset1:8
	s_waitcnt vmcnt(1)
	ds_write2st64_b32 v1, v8, v9 offset0:16 offset1:24
	s_waitcnt vmcnt(0)
	ds_write_b32 v1, v2 offset:8192
	s_waitcnt lgkmcnt(0)
	s_barrier
.LBB385_14:
	v_mul_u32_u24_e32 v2, 5, v0
	v_lshlrev_b32_e32 v3, 2, v2
	ds_read_b32 v2, v3
	ds_read2_b32 v[20:21], v3 offset0:1 offset1:2
	ds_read2_b32 v[22:23], v3 offset0:3 offset1:4
	s_cmp_eq_u64 s[8:9], 0
	s_waitcnt lgkmcnt(0)
	s_barrier
	s_cbranch_scc1 .LBB385_19
; %bb.15:
	s_lshl_b64 s[18:19], s[18:19], 2
	s_add_u32 s5, s16, s18
	s_addc_u32 s16, s17, s19
	s_lshl_b64 s[6:7], s[6:7], 2
	s_add_u32 s5, s5, s6
	s_addc_u32 s7, s16, s7
	s_add_u32 s6, s5, -4
	s_addc_u32 s7, s7, -1
	s_load_dword s5, s[6:7], 0x0
	s_cmp_eq_u64 s[8:9], s[20:21]
	s_cbranch_scc1 .LBB385_20
; %bb.16:
	v_cmp_ne_u32_e32 vcc, 0, v0
	s_waitcnt lgkmcnt(0)
	v_mov_b32_e32 v3, s5
	ds_write_b32 v1, v23
	s_waitcnt lgkmcnt(0)
	s_barrier
	s_and_saveexec_b64 s[6:7], vcc
	s_cbranch_execz .LBB385_18
; %bb.17:
	v_add_u32_e32 v3, -4, v1
	ds_read_b32 v3, v3
.LBB385_18:
	s_or_b64 exec, exec, s[6:7]
	v_sub_u32_e32 v8, v23, v22
	v_sub_u32_e32 v9, v22, v21
	;; [unrolled: 1-line block ×4, first 2 shown]
	s_cbranch_execz .LBB385_21
	s_branch .LBB385_24
.LBB385_19:
                                        ; implicit-def: $vgpr14_vgpr15_vgpr16_vgpr17_vgpr18
                                        ; implicit-def: $vgpr10_vgpr11_vgpr12_vgpr13_vgpr14
	s_mov_b64 s[6:7], 0
                                        ; implicit-def: $vgpr6_vgpr7_vgpr8_vgpr9_vgpr10
                                        ; implicit-def: $vgpr3
                                        ; implicit-def: $vgpr4_vgpr5_vgpr6_vgpr7_vgpr8
	s_branch .LBB385_25
.LBB385_20:
                                        ; implicit-def: $vgpr14_vgpr15_vgpr16_vgpr17_vgpr18
                                        ; implicit-def: $vgpr10_vgpr11_vgpr12_vgpr13_vgpr14
                                        ; implicit-def: $vgpr3
                                        ; implicit-def: $vgpr6_vgpr7_vgpr8_vgpr9_vgpr10
                                        ; implicit-def: $vgpr4_vgpr5_vgpr6_vgpr7_vgpr8
.LBB385_21:
	s_waitcnt lgkmcnt(0)
	v_mul_u32_u24_e32 v3, 5, v0
	v_cmp_ne_u32_e32 vcc, 0, v0
	v_mov_b32_e32 v4, s5
	ds_write_b32 v1, v23
	s_waitcnt lgkmcnt(0)
	s_barrier
	s_and_saveexec_b64 s[6:7], vcc
	s_cbranch_execz .LBB385_23
; %bb.22:
	v_add_u32_e32 v4, -4, v1
	ds_read_b32 v4, v4
.LBB385_23:
	s_or_b64 exec, exec, s[6:7]
	s_mul_i32 s5, s8, 0xfffff600
	s_add_i32 s5, s5, s14
	v_add_u32_e32 v5, 4, v3
	v_sub_u32_e32 v6, v23, v22
	v_cmp_gt_u32_e32 vcc, s5, v5
	v_add_u32_e32 v5, 3, v3
	v_cndmask_b32_e32 v8, v23, v6, vcc
	v_sub_u32_e32 v6, v22, v21
	v_cmp_gt_u32_e32 vcc, s5, v5
	v_add_u32_e32 v5, 2, v3
	v_cndmask_b32_e32 v9, v22, v6, vcc
	;; [unrolled: 4-line block ×3, first 2 shown]
	v_sub_u32_e32 v6, v20, v2
	v_cmp_gt_u32_e32 vcc, s5, v5
	v_cndmask_b32_e32 v15, v20, v6, vcc
	v_cmp_gt_u32_e32 vcc, s5, v3
	s_waitcnt lgkmcnt(0)
	v_cndmask_b32_e32 v3, 0, v4, vcc
.LBB385_24:
	s_mov_b64 s[6:7], -1
	s_cbranch_execnz .LBB385_33
.LBB385_25:
	s_cmp_lg_u64 s[2:3], 1
	v_sub_u32_e32 v9, v22, v21
	v_sub_u32_e32 v8, v23, v22
	;; [unrolled: 1-line block ×4, first 2 shown]
	v_cmp_ne_u32_e32 vcc, 0, v0
	s_cbranch_scc0 .LBB385_29
; %bb.26:
	ds_write_b32 v1, v23
	s_waitcnt lgkmcnt(0)
	s_barrier
	s_waitcnt lgkmcnt(0)
                                        ; implicit-def: $vgpr3
	s_and_saveexec_b64 s[2:3], vcc
	s_cbranch_execz .LBB385_28
; %bb.27:
	v_add_u32_e32 v3, -4, v1
	ds_read_b32 v3, v3
	s_or_b64 s[6:7], s[6:7], exec
.LBB385_28:
	s_or_b64 exec, exec, s[2:3]
	s_branch .LBB385_33
.LBB385_29:
                                        ; implicit-def: $vgpr3
	s_cbranch_execz .LBB385_33
; %bb.30:
	v_mad_u32_u24 v4, v0, 5, 4
	v_cmp_gt_u32_e32 vcc, s14, v4
	v_mad_u32_u24 v4, v0, 5, 3
	v_cndmask_b32_e32 v8, v23, v8, vcc
	v_cmp_gt_u32_e32 vcc, s14, v4
	v_mad_u32_u24 v4, v0, 5, 2
	v_cndmask_b32_e32 v9, v22, v9, vcc
	v_cmp_gt_u32_e32 vcc, s14, v4
	v_mad_u32_u24 v4, v0, 5, 1
	s_waitcnt lgkmcnt(0)
	v_mul_u32_u24_e32 v3, 5, v0
	v_cndmask_b32_e32 v12, v21, v12, vcc
	v_cmp_gt_u32_e32 vcc, s14, v4
	v_cndmask_b32_e32 v15, v20, v15, vcc
	v_cmp_ne_u32_e32 vcc, 0, v0
	v_cmp_gt_u32_e64 s[2:3], s14, v3
	s_and_b64 s[8:9], vcc, s[2:3]
	ds_write_b32 v1, v23
	s_waitcnt lgkmcnt(0)
	s_barrier
	s_waitcnt lgkmcnt(0)
                                        ; implicit-def: $vgpr3
	s_and_saveexec_b64 s[2:3], s[8:9]
	s_cbranch_execz .LBB385_32
; %bb.31:
	v_add_u32_e32 v3, -4, v1
	ds_read_b32 v3, v3
	s_or_b64 s[6:7], s[6:7], exec
.LBB385_32:
	s_or_b64 exec, exec, s[2:3]
.LBB385_33:
	s_and_saveexec_b64 s[2:3], s[6:7]
	s_cbranch_execz .LBB385_35
; %bb.34:
	s_waitcnt lgkmcnt(0)
	v_sub_u32_e32 v2, v2, v3
.LBB385_35:
	s_or_b64 exec, exec, s[2:3]
	s_add_u32 s6, s12, s10
	s_addc_u32 s7, s13, s11
	s_and_b64 vcc, exec, s[0:1]
	s_waitcnt lgkmcnt(0)
	v_mul_u32_u24_e32 v3, 20, v0
	v_lshlrev_b32_e32 v13, 4, v0
	s_barrier
	s_cbranch_vccz .LBB385_45
; %bb.36:
	s_mov_b32 s5, 0
	s_add_i32 s15, s15, s14
	s_lshl_b64 s[0:1], s[4:5], 2
	v_sub_u32_e32 v4, v3, v13
	s_add_u32 s0, s6, s0
	ds_write2_b32 v3, v2, v15 offset1:1
	ds_write2_b32 v3, v12, v9 offset0:2 offset1:3
	ds_write_b32 v3, v8 offset:16
	s_waitcnt lgkmcnt(0)
	s_barrier
	ds_read2st64_b32 v[10:11], v4 offset0:8 offset1:16
	ds_read2st64_b32 v[4:5], v4 offset0:24 offset1:32
	s_addc_u32 s1, s7, s1
	v_mov_b32_e32 v7, s1
	v_add_co_u32_e32 v6, vcc, s0, v1
	v_addc_co_u32_e32 v7, vcc, 0, v7, vcc
	v_cmp_gt_u32_e32 vcc, s15, v0
	s_and_saveexec_b64 s[0:1], vcc
	s_cbranch_execz .LBB385_38
; %bb.37:
	v_sub_u32_e32 v14, 0, v13
	v_add_u32_e32 v14, v3, v14
	ds_read_b32 v14, v14
	s_waitcnt lgkmcnt(0)
	global_store_dword v[6:7], v14, off
.LBB385_38:
	s_or_b64 exec, exec, s[0:1]
	v_or_b32_e32 v14, 0x200, v0
	v_cmp_gt_u32_e32 vcc, s15, v14
	s_and_saveexec_b64 s[0:1], vcc
	s_cbranch_execz .LBB385_40
; %bb.39:
	s_waitcnt lgkmcnt(1)
	global_store_dword v[6:7], v10, off offset:2048
.LBB385_40:
	s_or_b64 exec, exec, s[0:1]
	s_waitcnt lgkmcnt(1)
	v_or_b32_e32 v10, 0x400, v0
	v_cmp_gt_u32_e32 vcc, s15, v10
	s_and_saveexec_b64 s[0:1], vcc
	s_cbranch_execz .LBB385_42
; %bb.41:
	v_add_co_u32_e32 v16, vcc, 0x1000, v6
	v_addc_co_u32_e32 v17, vcc, 0, v7, vcc
	global_store_dword v[16:17], v11, off
.LBB385_42:
	s_or_b64 exec, exec, s[0:1]
	v_or_b32_e32 v10, 0x600, v0
	v_cmp_gt_u32_e32 vcc, s15, v10
	s_and_saveexec_b64 s[0:1], vcc
	s_cbranch_execz .LBB385_44
; %bb.43:
	v_add_co_u32_e32 v10, vcc, 0x1000, v6
	v_addc_co_u32_e32 v11, vcc, 0, v7, vcc
	s_waitcnt lgkmcnt(0)
	global_store_dword v[10:11], v4, off offset:2048
.LBB385_44:
	s_or_b64 exec, exec, s[0:1]
	v_or_b32_e32 v0, 0x800, v0
	v_cmp_gt_u32_e64 s[0:1], s15, v0
	s_branch .LBB385_47
.LBB385_45:
	s_mov_b64 s[0:1], 0
                                        ; implicit-def: $vgpr5
                                        ; implicit-def: $vgpr6_vgpr7
	s_cbranch_execz .LBB385_47
; %bb.46:
	s_mov_b32 s5, 0
	s_lshl_b64 s[2:3], s[4:5], 2
	s_add_u32 s2, s6, s2
	s_addc_u32 s3, s7, s3
	v_sub_u32_e32 v0, v3, v13
	ds_write2_b32 v3, v2, v15 offset1:1
	ds_write2_b32 v3, v12, v9 offset0:2 offset1:3
	ds_write_b32 v3, v8 offset:16
	s_waitcnt lgkmcnt(0)
	s_barrier
	ds_read2st64_b32 v[2:3], v0 offset1:8
	ds_read2st64_b32 v[8:9], v0 offset0:16 offset1:24
	ds_read_b32 v5, v0 offset:8192
	v_mov_b32_e32 v0, s3
	v_add_co_u32_e32 v6, vcc, s2, v1
	v_addc_co_u32_e32 v7, vcc, 0, v0, vcc
	v_add_co_u32_e32 v0, vcc, 0x1000, v6
	s_waitcnt lgkmcnt(2)
	global_store_dword v1, v2, s[2:3]
	global_store_dword v1, v3, s[2:3] offset:2048
	v_addc_co_u32_e32 v1, vcc, 0, v7, vcc
	s_or_b64 s[0:1], s[0:1], exec
	s_waitcnt lgkmcnt(1)
	global_store_dword v[0:1], v8, off
	global_store_dword v[0:1], v9, off offset:2048
.LBB385_47:
	s_and_saveexec_b64 s[2:3], s[0:1]
	s_cbranch_execnz .LBB385_49
; %bb.48:
	s_endpgm
.LBB385_49:
	v_add_co_u32_e32 v0, vcc, 0x2000, v6
	v_addc_co_u32_e32 v1, vcc, 0, v7, vcc
	s_waitcnt lgkmcnt(0)
	global_store_dword v[0:1], v5, off
	s_endpgm
	.section	.rodata,"a",@progbits
	.p2align	6, 0x0
	.amdhsa_kernel _ZN7rocprim17ROCPRIM_400000_NS6detail17trampoline_kernelINS0_14default_configENS1_35adjacent_difference_config_selectorILb1EjEEZNS1_24adjacent_difference_implIS3_Lb1ELb0EPjS7_N6thrust23THRUST_200600_302600_NS5minusIjEEEE10hipError_tPvRmT2_T3_mT4_P12ihipStream_tbEUlT_E_NS1_11comp_targetILNS1_3genE4ELNS1_11target_archE910ELNS1_3gpuE8ELNS1_3repE0EEENS1_30default_config_static_selectorELNS0_4arch9wavefront6targetE1EEEvT1_
		.amdhsa_group_segment_fixed_size 10240
		.amdhsa_private_segment_fixed_size 0
		.amdhsa_kernarg_size 56
		.amdhsa_user_sgpr_count 6
		.amdhsa_user_sgpr_private_segment_buffer 1
		.amdhsa_user_sgpr_dispatch_ptr 0
		.amdhsa_user_sgpr_queue_ptr 0
		.amdhsa_user_sgpr_kernarg_segment_ptr 1
		.amdhsa_user_sgpr_dispatch_id 0
		.amdhsa_user_sgpr_flat_scratch_init 0
		.amdhsa_user_sgpr_kernarg_preload_length 0
		.amdhsa_user_sgpr_kernarg_preload_offset 0
		.amdhsa_user_sgpr_private_segment_size 0
		.amdhsa_uses_dynamic_stack 0
		.amdhsa_system_sgpr_private_segment_wavefront_offset 0
		.amdhsa_system_sgpr_workgroup_id_x 1
		.amdhsa_system_sgpr_workgroup_id_y 0
		.amdhsa_system_sgpr_workgroup_id_z 0
		.amdhsa_system_sgpr_workgroup_info 0
		.amdhsa_system_vgpr_workitem_id 0
		.amdhsa_next_free_vgpr 24
		.amdhsa_next_free_sgpr 29
		.amdhsa_accum_offset 24
		.amdhsa_reserve_vcc 1
		.amdhsa_reserve_flat_scratch 0
		.amdhsa_float_round_mode_32 0
		.amdhsa_float_round_mode_16_64 0
		.amdhsa_float_denorm_mode_32 3
		.amdhsa_float_denorm_mode_16_64 3
		.amdhsa_dx10_clamp 1
		.amdhsa_ieee_mode 1
		.amdhsa_fp16_overflow 0
		.amdhsa_tg_split 0
		.amdhsa_exception_fp_ieee_invalid_op 0
		.amdhsa_exception_fp_denorm_src 0
		.amdhsa_exception_fp_ieee_div_zero 0
		.amdhsa_exception_fp_ieee_overflow 0
		.amdhsa_exception_fp_ieee_underflow 0
		.amdhsa_exception_fp_ieee_inexact 0
		.amdhsa_exception_int_div_zero 0
	.end_amdhsa_kernel
	.section	.text._ZN7rocprim17ROCPRIM_400000_NS6detail17trampoline_kernelINS0_14default_configENS1_35adjacent_difference_config_selectorILb1EjEEZNS1_24adjacent_difference_implIS3_Lb1ELb0EPjS7_N6thrust23THRUST_200600_302600_NS5minusIjEEEE10hipError_tPvRmT2_T3_mT4_P12ihipStream_tbEUlT_E_NS1_11comp_targetILNS1_3genE4ELNS1_11target_archE910ELNS1_3gpuE8ELNS1_3repE0EEENS1_30default_config_static_selectorELNS0_4arch9wavefront6targetE1EEEvT1_,"axG",@progbits,_ZN7rocprim17ROCPRIM_400000_NS6detail17trampoline_kernelINS0_14default_configENS1_35adjacent_difference_config_selectorILb1EjEEZNS1_24adjacent_difference_implIS3_Lb1ELb0EPjS7_N6thrust23THRUST_200600_302600_NS5minusIjEEEE10hipError_tPvRmT2_T3_mT4_P12ihipStream_tbEUlT_E_NS1_11comp_targetILNS1_3genE4ELNS1_11target_archE910ELNS1_3gpuE8ELNS1_3repE0EEENS1_30default_config_static_selectorELNS0_4arch9wavefront6targetE1EEEvT1_,comdat
.Lfunc_end385:
	.size	_ZN7rocprim17ROCPRIM_400000_NS6detail17trampoline_kernelINS0_14default_configENS1_35adjacent_difference_config_selectorILb1EjEEZNS1_24adjacent_difference_implIS3_Lb1ELb0EPjS7_N6thrust23THRUST_200600_302600_NS5minusIjEEEE10hipError_tPvRmT2_T3_mT4_P12ihipStream_tbEUlT_E_NS1_11comp_targetILNS1_3genE4ELNS1_11target_archE910ELNS1_3gpuE8ELNS1_3repE0EEENS1_30default_config_static_selectorELNS0_4arch9wavefront6targetE1EEEvT1_, .Lfunc_end385-_ZN7rocprim17ROCPRIM_400000_NS6detail17trampoline_kernelINS0_14default_configENS1_35adjacent_difference_config_selectorILb1EjEEZNS1_24adjacent_difference_implIS3_Lb1ELb0EPjS7_N6thrust23THRUST_200600_302600_NS5minusIjEEEE10hipError_tPvRmT2_T3_mT4_P12ihipStream_tbEUlT_E_NS1_11comp_targetILNS1_3genE4ELNS1_11target_archE910ELNS1_3gpuE8ELNS1_3repE0EEENS1_30default_config_static_selectorELNS0_4arch9wavefront6targetE1EEEvT1_
                                        ; -- End function
	.section	.AMDGPU.csdata,"",@progbits
; Kernel info:
; codeLenInByte = 1964
; NumSgprs: 33
; NumVgprs: 24
; NumAgprs: 0
; TotalNumVgprs: 24
; ScratchSize: 0
; MemoryBound: 0
; FloatMode: 240
; IeeeMode: 1
; LDSByteSize: 10240 bytes/workgroup (compile time only)
; SGPRBlocks: 4
; VGPRBlocks: 2
; NumSGPRsForWavesPerEU: 33
; NumVGPRsForWavesPerEU: 24
; AccumOffset: 24
; Occupancy: 8
; WaveLimiterHint : 1
; COMPUTE_PGM_RSRC2:SCRATCH_EN: 0
; COMPUTE_PGM_RSRC2:USER_SGPR: 6
; COMPUTE_PGM_RSRC2:TRAP_HANDLER: 0
; COMPUTE_PGM_RSRC2:TGID_X_EN: 1
; COMPUTE_PGM_RSRC2:TGID_Y_EN: 0
; COMPUTE_PGM_RSRC2:TGID_Z_EN: 0
; COMPUTE_PGM_RSRC2:TIDIG_COMP_CNT: 0
; COMPUTE_PGM_RSRC3_GFX90A:ACCUM_OFFSET: 5
; COMPUTE_PGM_RSRC3_GFX90A:TG_SPLIT: 0
	.section	.text._ZN7rocprim17ROCPRIM_400000_NS6detail17trampoline_kernelINS0_14default_configENS1_35adjacent_difference_config_selectorILb1EjEEZNS1_24adjacent_difference_implIS3_Lb1ELb0EPjS7_N6thrust23THRUST_200600_302600_NS5minusIjEEEE10hipError_tPvRmT2_T3_mT4_P12ihipStream_tbEUlT_E_NS1_11comp_targetILNS1_3genE3ELNS1_11target_archE908ELNS1_3gpuE7ELNS1_3repE0EEENS1_30default_config_static_selectorELNS0_4arch9wavefront6targetE1EEEvT1_,"axG",@progbits,_ZN7rocprim17ROCPRIM_400000_NS6detail17trampoline_kernelINS0_14default_configENS1_35adjacent_difference_config_selectorILb1EjEEZNS1_24adjacent_difference_implIS3_Lb1ELb0EPjS7_N6thrust23THRUST_200600_302600_NS5minusIjEEEE10hipError_tPvRmT2_T3_mT4_P12ihipStream_tbEUlT_E_NS1_11comp_targetILNS1_3genE3ELNS1_11target_archE908ELNS1_3gpuE7ELNS1_3repE0EEENS1_30default_config_static_selectorELNS0_4arch9wavefront6targetE1EEEvT1_,comdat
	.protected	_ZN7rocprim17ROCPRIM_400000_NS6detail17trampoline_kernelINS0_14default_configENS1_35adjacent_difference_config_selectorILb1EjEEZNS1_24adjacent_difference_implIS3_Lb1ELb0EPjS7_N6thrust23THRUST_200600_302600_NS5minusIjEEEE10hipError_tPvRmT2_T3_mT4_P12ihipStream_tbEUlT_E_NS1_11comp_targetILNS1_3genE3ELNS1_11target_archE908ELNS1_3gpuE7ELNS1_3repE0EEENS1_30default_config_static_selectorELNS0_4arch9wavefront6targetE1EEEvT1_ ; -- Begin function _ZN7rocprim17ROCPRIM_400000_NS6detail17trampoline_kernelINS0_14default_configENS1_35adjacent_difference_config_selectorILb1EjEEZNS1_24adjacent_difference_implIS3_Lb1ELb0EPjS7_N6thrust23THRUST_200600_302600_NS5minusIjEEEE10hipError_tPvRmT2_T3_mT4_P12ihipStream_tbEUlT_E_NS1_11comp_targetILNS1_3genE3ELNS1_11target_archE908ELNS1_3gpuE7ELNS1_3repE0EEENS1_30default_config_static_selectorELNS0_4arch9wavefront6targetE1EEEvT1_
	.globl	_ZN7rocprim17ROCPRIM_400000_NS6detail17trampoline_kernelINS0_14default_configENS1_35adjacent_difference_config_selectorILb1EjEEZNS1_24adjacent_difference_implIS3_Lb1ELb0EPjS7_N6thrust23THRUST_200600_302600_NS5minusIjEEEE10hipError_tPvRmT2_T3_mT4_P12ihipStream_tbEUlT_E_NS1_11comp_targetILNS1_3genE3ELNS1_11target_archE908ELNS1_3gpuE7ELNS1_3repE0EEENS1_30default_config_static_selectorELNS0_4arch9wavefront6targetE1EEEvT1_
	.p2align	8
	.type	_ZN7rocprim17ROCPRIM_400000_NS6detail17trampoline_kernelINS0_14default_configENS1_35adjacent_difference_config_selectorILb1EjEEZNS1_24adjacent_difference_implIS3_Lb1ELb0EPjS7_N6thrust23THRUST_200600_302600_NS5minusIjEEEE10hipError_tPvRmT2_T3_mT4_P12ihipStream_tbEUlT_E_NS1_11comp_targetILNS1_3genE3ELNS1_11target_archE908ELNS1_3gpuE7ELNS1_3repE0EEENS1_30default_config_static_selectorELNS0_4arch9wavefront6targetE1EEEvT1_,@function
_ZN7rocprim17ROCPRIM_400000_NS6detail17trampoline_kernelINS0_14default_configENS1_35adjacent_difference_config_selectorILb1EjEEZNS1_24adjacent_difference_implIS3_Lb1ELb0EPjS7_N6thrust23THRUST_200600_302600_NS5minusIjEEEE10hipError_tPvRmT2_T3_mT4_P12ihipStream_tbEUlT_E_NS1_11comp_targetILNS1_3genE3ELNS1_11target_archE908ELNS1_3gpuE7ELNS1_3repE0EEENS1_30default_config_static_selectorELNS0_4arch9wavefront6targetE1EEEvT1_: ; @_ZN7rocprim17ROCPRIM_400000_NS6detail17trampoline_kernelINS0_14default_configENS1_35adjacent_difference_config_selectorILb1EjEEZNS1_24adjacent_difference_implIS3_Lb1ELb0EPjS7_N6thrust23THRUST_200600_302600_NS5minusIjEEEE10hipError_tPvRmT2_T3_mT4_P12ihipStream_tbEUlT_E_NS1_11comp_targetILNS1_3genE3ELNS1_11target_archE908ELNS1_3gpuE7ELNS1_3repE0EEENS1_30default_config_static_selectorELNS0_4arch9wavefront6targetE1EEEvT1_
; %bb.0:
	.section	.rodata,"a",@progbits
	.p2align	6, 0x0
	.amdhsa_kernel _ZN7rocprim17ROCPRIM_400000_NS6detail17trampoline_kernelINS0_14default_configENS1_35adjacent_difference_config_selectorILb1EjEEZNS1_24adjacent_difference_implIS3_Lb1ELb0EPjS7_N6thrust23THRUST_200600_302600_NS5minusIjEEEE10hipError_tPvRmT2_T3_mT4_P12ihipStream_tbEUlT_E_NS1_11comp_targetILNS1_3genE3ELNS1_11target_archE908ELNS1_3gpuE7ELNS1_3repE0EEENS1_30default_config_static_selectorELNS0_4arch9wavefront6targetE1EEEvT1_
		.amdhsa_group_segment_fixed_size 0
		.amdhsa_private_segment_fixed_size 0
		.amdhsa_kernarg_size 56
		.amdhsa_user_sgpr_count 6
		.amdhsa_user_sgpr_private_segment_buffer 1
		.amdhsa_user_sgpr_dispatch_ptr 0
		.amdhsa_user_sgpr_queue_ptr 0
		.amdhsa_user_sgpr_kernarg_segment_ptr 1
		.amdhsa_user_sgpr_dispatch_id 0
		.amdhsa_user_sgpr_flat_scratch_init 0
		.amdhsa_user_sgpr_kernarg_preload_length 0
		.amdhsa_user_sgpr_kernarg_preload_offset 0
		.amdhsa_user_sgpr_private_segment_size 0
		.amdhsa_uses_dynamic_stack 0
		.amdhsa_system_sgpr_private_segment_wavefront_offset 0
		.amdhsa_system_sgpr_workgroup_id_x 1
		.amdhsa_system_sgpr_workgroup_id_y 0
		.amdhsa_system_sgpr_workgroup_id_z 0
		.amdhsa_system_sgpr_workgroup_info 0
		.amdhsa_system_vgpr_workitem_id 0
		.amdhsa_next_free_vgpr 1
		.amdhsa_next_free_sgpr 0
		.amdhsa_accum_offset 4
		.amdhsa_reserve_vcc 0
		.amdhsa_reserve_flat_scratch 0
		.amdhsa_float_round_mode_32 0
		.amdhsa_float_round_mode_16_64 0
		.amdhsa_float_denorm_mode_32 3
		.amdhsa_float_denorm_mode_16_64 3
		.amdhsa_dx10_clamp 1
		.amdhsa_ieee_mode 1
		.amdhsa_fp16_overflow 0
		.amdhsa_tg_split 0
		.amdhsa_exception_fp_ieee_invalid_op 0
		.amdhsa_exception_fp_denorm_src 0
		.amdhsa_exception_fp_ieee_div_zero 0
		.amdhsa_exception_fp_ieee_overflow 0
		.amdhsa_exception_fp_ieee_underflow 0
		.amdhsa_exception_fp_ieee_inexact 0
		.amdhsa_exception_int_div_zero 0
	.end_amdhsa_kernel
	.section	.text._ZN7rocprim17ROCPRIM_400000_NS6detail17trampoline_kernelINS0_14default_configENS1_35adjacent_difference_config_selectorILb1EjEEZNS1_24adjacent_difference_implIS3_Lb1ELb0EPjS7_N6thrust23THRUST_200600_302600_NS5minusIjEEEE10hipError_tPvRmT2_T3_mT4_P12ihipStream_tbEUlT_E_NS1_11comp_targetILNS1_3genE3ELNS1_11target_archE908ELNS1_3gpuE7ELNS1_3repE0EEENS1_30default_config_static_selectorELNS0_4arch9wavefront6targetE1EEEvT1_,"axG",@progbits,_ZN7rocprim17ROCPRIM_400000_NS6detail17trampoline_kernelINS0_14default_configENS1_35adjacent_difference_config_selectorILb1EjEEZNS1_24adjacent_difference_implIS3_Lb1ELb0EPjS7_N6thrust23THRUST_200600_302600_NS5minusIjEEEE10hipError_tPvRmT2_T3_mT4_P12ihipStream_tbEUlT_E_NS1_11comp_targetILNS1_3genE3ELNS1_11target_archE908ELNS1_3gpuE7ELNS1_3repE0EEENS1_30default_config_static_selectorELNS0_4arch9wavefront6targetE1EEEvT1_,comdat
.Lfunc_end386:
	.size	_ZN7rocprim17ROCPRIM_400000_NS6detail17trampoline_kernelINS0_14default_configENS1_35adjacent_difference_config_selectorILb1EjEEZNS1_24adjacent_difference_implIS3_Lb1ELb0EPjS7_N6thrust23THRUST_200600_302600_NS5minusIjEEEE10hipError_tPvRmT2_T3_mT4_P12ihipStream_tbEUlT_E_NS1_11comp_targetILNS1_3genE3ELNS1_11target_archE908ELNS1_3gpuE7ELNS1_3repE0EEENS1_30default_config_static_selectorELNS0_4arch9wavefront6targetE1EEEvT1_, .Lfunc_end386-_ZN7rocprim17ROCPRIM_400000_NS6detail17trampoline_kernelINS0_14default_configENS1_35adjacent_difference_config_selectorILb1EjEEZNS1_24adjacent_difference_implIS3_Lb1ELb0EPjS7_N6thrust23THRUST_200600_302600_NS5minusIjEEEE10hipError_tPvRmT2_T3_mT4_P12ihipStream_tbEUlT_E_NS1_11comp_targetILNS1_3genE3ELNS1_11target_archE908ELNS1_3gpuE7ELNS1_3repE0EEENS1_30default_config_static_selectorELNS0_4arch9wavefront6targetE1EEEvT1_
                                        ; -- End function
	.section	.AMDGPU.csdata,"",@progbits
; Kernel info:
; codeLenInByte = 0
; NumSgprs: 4
; NumVgprs: 0
; NumAgprs: 0
; TotalNumVgprs: 0
; ScratchSize: 0
; MemoryBound: 0
; FloatMode: 240
; IeeeMode: 1
; LDSByteSize: 0 bytes/workgroup (compile time only)
; SGPRBlocks: 0
; VGPRBlocks: 0
; NumSGPRsForWavesPerEU: 4
; NumVGPRsForWavesPerEU: 1
; AccumOffset: 4
; Occupancy: 8
; WaveLimiterHint : 0
; COMPUTE_PGM_RSRC2:SCRATCH_EN: 0
; COMPUTE_PGM_RSRC2:USER_SGPR: 6
; COMPUTE_PGM_RSRC2:TRAP_HANDLER: 0
; COMPUTE_PGM_RSRC2:TGID_X_EN: 1
; COMPUTE_PGM_RSRC2:TGID_Y_EN: 0
; COMPUTE_PGM_RSRC2:TGID_Z_EN: 0
; COMPUTE_PGM_RSRC2:TIDIG_COMP_CNT: 0
; COMPUTE_PGM_RSRC3_GFX90A:ACCUM_OFFSET: 0
; COMPUTE_PGM_RSRC3_GFX90A:TG_SPLIT: 0
	.section	.text._ZN7rocprim17ROCPRIM_400000_NS6detail17trampoline_kernelINS0_14default_configENS1_35adjacent_difference_config_selectorILb1EjEEZNS1_24adjacent_difference_implIS3_Lb1ELb0EPjS7_N6thrust23THRUST_200600_302600_NS5minusIjEEEE10hipError_tPvRmT2_T3_mT4_P12ihipStream_tbEUlT_E_NS1_11comp_targetILNS1_3genE2ELNS1_11target_archE906ELNS1_3gpuE6ELNS1_3repE0EEENS1_30default_config_static_selectorELNS0_4arch9wavefront6targetE1EEEvT1_,"axG",@progbits,_ZN7rocprim17ROCPRIM_400000_NS6detail17trampoline_kernelINS0_14default_configENS1_35adjacent_difference_config_selectorILb1EjEEZNS1_24adjacent_difference_implIS3_Lb1ELb0EPjS7_N6thrust23THRUST_200600_302600_NS5minusIjEEEE10hipError_tPvRmT2_T3_mT4_P12ihipStream_tbEUlT_E_NS1_11comp_targetILNS1_3genE2ELNS1_11target_archE906ELNS1_3gpuE6ELNS1_3repE0EEENS1_30default_config_static_selectorELNS0_4arch9wavefront6targetE1EEEvT1_,comdat
	.protected	_ZN7rocprim17ROCPRIM_400000_NS6detail17trampoline_kernelINS0_14default_configENS1_35adjacent_difference_config_selectorILb1EjEEZNS1_24adjacent_difference_implIS3_Lb1ELb0EPjS7_N6thrust23THRUST_200600_302600_NS5minusIjEEEE10hipError_tPvRmT2_T3_mT4_P12ihipStream_tbEUlT_E_NS1_11comp_targetILNS1_3genE2ELNS1_11target_archE906ELNS1_3gpuE6ELNS1_3repE0EEENS1_30default_config_static_selectorELNS0_4arch9wavefront6targetE1EEEvT1_ ; -- Begin function _ZN7rocprim17ROCPRIM_400000_NS6detail17trampoline_kernelINS0_14default_configENS1_35adjacent_difference_config_selectorILb1EjEEZNS1_24adjacent_difference_implIS3_Lb1ELb0EPjS7_N6thrust23THRUST_200600_302600_NS5minusIjEEEE10hipError_tPvRmT2_T3_mT4_P12ihipStream_tbEUlT_E_NS1_11comp_targetILNS1_3genE2ELNS1_11target_archE906ELNS1_3gpuE6ELNS1_3repE0EEENS1_30default_config_static_selectorELNS0_4arch9wavefront6targetE1EEEvT1_
	.globl	_ZN7rocprim17ROCPRIM_400000_NS6detail17trampoline_kernelINS0_14default_configENS1_35adjacent_difference_config_selectorILb1EjEEZNS1_24adjacent_difference_implIS3_Lb1ELb0EPjS7_N6thrust23THRUST_200600_302600_NS5minusIjEEEE10hipError_tPvRmT2_T3_mT4_P12ihipStream_tbEUlT_E_NS1_11comp_targetILNS1_3genE2ELNS1_11target_archE906ELNS1_3gpuE6ELNS1_3repE0EEENS1_30default_config_static_selectorELNS0_4arch9wavefront6targetE1EEEvT1_
	.p2align	8
	.type	_ZN7rocprim17ROCPRIM_400000_NS6detail17trampoline_kernelINS0_14default_configENS1_35adjacent_difference_config_selectorILb1EjEEZNS1_24adjacent_difference_implIS3_Lb1ELb0EPjS7_N6thrust23THRUST_200600_302600_NS5minusIjEEEE10hipError_tPvRmT2_T3_mT4_P12ihipStream_tbEUlT_E_NS1_11comp_targetILNS1_3genE2ELNS1_11target_archE906ELNS1_3gpuE6ELNS1_3repE0EEENS1_30default_config_static_selectorELNS0_4arch9wavefront6targetE1EEEvT1_,@function
_ZN7rocprim17ROCPRIM_400000_NS6detail17trampoline_kernelINS0_14default_configENS1_35adjacent_difference_config_selectorILb1EjEEZNS1_24adjacent_difference_implIS3_Lb1ELb0EPjS7_N6thrust23THRUST_200600_302600_NS5minusIjEEEE10hipError_tPvRmT2_T3_mT4_P12ihipStream_tbEUlT_E_NS1_11comp_targetILNS1_3genE2ELNS1_11target_archE906ELNS1_3gpuE6ELNS1_3repE0EEENS1_30default_config_static_selectorELNS0_4arch9wavefront6targetE1EEEvT1_: ; @_ZN7rocprim17ROCPRIM_400000_NS6detail17trampoline_kernelINS0_14default_configENS1_35adjacent_difference_config_selectorILb1EjEEZNS1_24adjacent_difference_implIS3_Lb1ELb0EPjS7_N6thrust23THRUST_200600_302600_NS5minusIjEEEE10hipError_tPvRmT2_T3_mT4_P12ihipStream_tbEUlT_E_NS1_11comp_targetILNS1_3genE2ELNS1_11target_archE906ELNS1_3gpuE6ELNS1_3repE0EEENS1_30default_config_static_selectorELNS0_4arch9wavefront6targetE1EEEvT1_
; %bb.0:
	.section	.rodata,"a",@progbits
	.p2align	6, 0x0
	.amdhsa_kernel _ZN7rocprim17ROCPRIM_400000_NS6detail17trampoline_kernelINS0_14default_configENS1_35adjacent_difference_config_selectorILb1EjEEZNS1_24adjacent_difference_implIS3_Lb1ELb0EPjS7_N6thrust23THRUST_200600_302600_NS5minusIjEEEE10hipError_tPvRmT2_T3_mT4_P12ihipStream_tbEUlT_E_NS1_11comp_targetILNS1_3genE2ELNS1_11target_archE906ELNS1_3gpuE6ELNS1_3repE0EEENS1_30default_config_static_selectorELNS0_4arch9wavefront6targetE1EEEvT1_
		.amdhsa_group_segment_fixed_size 0
		.amdhsa_private_segment_fixed_size 0
		.amdhsa_kernarg_size 56
		.amdhsa_user_sgpr_count 6
		.amdhsa_user_sgpr_private_segment_buffer 1
		.amdhsa_user_sgpr_dispatch_ptr 0
		.amdhsa_user_sgpr_queue_ptr 0
		.amdhsa_user_sgpr_kernarg_segment_ptr 1
		.amdhsa_user_sgpr_dispatch_id 0
		.amdhsa_user_sgpr_flat_scratch_init 0
		.amdhsa_user_sgpr_kernarg_preload_length 0
		.amdhsa_user_sgpr_kernarg_preload_offset 0
		.amdhsa_user_sgpr_private_segment_size 0
		.amdhsa_uses_dynamic_stack 0
		.amdhsa_system_sgpr_private_segment_wavefront_offset 0
		.amdhsa_system_sgpr_workgroup_id_x 1
		.amdhsa_system_sgpr_workgroup_id_y 0
		.amdhsa_system_sgpr_workgroup_id_z 0
		.amdhsa_system_sgpr_workgroup_info 0
		.amdhsa_system_vgpr_workitem_id 0
		.amdhsa_next_free_vgpr 1
		.amdhsa_next_free_sgpr 0
		.amdhsa_accum_offset 4
		.amdhsa_reserve_vcc 0
		.amdhsa_reserve_flat_scratch 0
		.amdhsa_float_round_mode_32 0
		.amdhsa_float_round_mode_16_64 0
		.amdhsa_float_denorm_mode_32 3
		.amdhsa_float_denorm_mode_16_64 3
		.amdhsa_dx10_clamp 1
		.amdhsa_ieee_mode 1
		.amdhsa_fp16_overflow 0
		.amdhsa_tg_split 0
		.amdhsa_exception_fp_ieee_invalid_op 0
		.amdhsa_exception_fp_denorm_src 0
		.amdhsa_exception_fp_ieee_div_zero 0
		.amdhsa_exception_fp_ieee_overflow 0
		.amdhsa_exception_fp_ieee_underflow 0
		.amdhsa_exception_fp_ieee_inexact 0
		.amdhsa_exception_int_div_zero 0
	.end_amdhsa_kernel
	.section	.text._ZN7rocprim17ROCPRIM_400000_NS6detail17trampoline_kernelINS0_14default_configENS1_35adjacent_difference_config_selectorILb1EjEEZNS1_24adjacent_difference_implIS3_Lb1ELb0EPjS7_N6thrust23THRUST_200600_302600_NS5minusIjEEEE10hipError_tPvRmT2_T3_mT4_P12ihipStream_tbEUlT_E_NS1_11comp_targetILNS1_3genE2ELNS1_11target_archE906ELNS1_3gpuE6ELNS1_3repE0EEENS1_30default_config_static_selectorELNS0_4arch9wavefront6targetE1EEEvT1_,"axG",@progbits,_ZN7rocprim17ROCPRIM_400000_NS6detail17trampoline_kernelINS0_14default_configENS1_35adjacent_difference_config_selectorILb1EjEEZNS1_24adjacent_difference_implIS3_Lb1ELb0EPjS7_N6thrust23THRUST_200600_302600_NS5minusIjEEEE10hipError_tPvRmT2_T3_mT4_P12ihipStream_tbEUlT_E_NS1_11comp_targetILNS1_3genE2ELNS1_11target_archE906ELNS1_3gpuE6ELNS1_3repE0EEENS1_30default_config_static_selectorELNS0_4arch9wavefront6targetE1EEEvT1_,comdat
.Lfunc_end387:
	.size	_ZN7rocprim17ROCPRIM_400000_NS6detail17trampoline_kernelINS0_14default_configENS1_35adjacent_difference_config_selectorILb1EjEEZNS1_24adjacent_difference_implIS3_Lb1ELb0EPjS7_N6thrust23THRUST_200600_302600_NS5minusIjEEEE10hipError_tPvRmT2_T3_mT4_P12ihipStream_tbEUlT_E_NS1_11comp_targetILNS1_3genE2ELNS1_11target_archE906ELNS1_3gpuE6ELNS1_3repE0EEENS1_30default_config_static_selectorELNS0_4arch9wavefront6targetE1EEEvT1_, .Lfunc_end387-_ZN7rocprim17ROCPRIM_400000_NS6detail17trampoline_kernelINS0_14default_configENS1_35adjacent_difference_config_selectorILb1EjEEZNS1_24adjacent_difference_implIS3_Lb1ELb0EPjS7_N6thrust23THRUST_200600_302600_NS5minusIjEEEE10hipError_tPvRmT2_T3_mT4_P12ihipStream_tbEUlT_E_NS1_11comp_targetILNS1_3genE2ELNS1_11target_archE906ELNS1_3gpuE6ELNS1_3repE0EEENS1_30default_config_static_selectorELNS0_4arch9wavefront6targetE1EEEvT1_
                                        ; -- End function
	.section	.AMDGPU.csdata,"",@progbits
; Kernel info:
; codeLenInByte = 0
; NumSgprs: 4
; NumVgprs: 0
; NumAgprs: 0
; TotalNumVgprs: 0
; ScratchSize: 0
; MemoryBound: 0
; FloatMode: 240
; IeeeMode: 1
; LDSByteSize: 0 bytes/workgroup (compile time only)
; SGPRBlocks: 0
; VGPRBlocks: 0
; NumSGPRsForWavesPerEU: 4
; NumVGPRsForWavesPerEU: 1
; AccumOffset: 4
; Occupancy: 8
; WaveLimiterHint : 0
; COMPUTE_PGM_RSRC2:SCRATCH_EN: 0
; COMPUTE_PGM_RSRC2:USER_SGPR: 6
; COMPUTE_PGM_RSRC2:TRAP_HANDLER: 0
; COMPUTE_PGM_RSRC2:TGID_X_EN: 1
; COMPUTE_PGM_RSRC2:TGID_Y_EN: 0
; COMPUTE_PGM_RSRC2:TGID_Z_EN: 0
; COMPUTE_PGM_RSRC2:TIDIG_COMP_CNT: 0
; COMPUTE_PGM_RSRC3_GFX90A:ACCUM_OFFSET: 0
; COMPUTE_PGM_RSRC3_GFX90A:TG_SPLIT: 0
	.section	.text._ZN7rocprim17ROCPRIM_400000_NS6detail17trampoline_kernelINS0_14default_configENS1_35adjacent_difference_config_selectorILb1EjEEZNS1_24adjacent_difference_implIS3_Lb1ELb0EPjS7_N6thrust23THRUST_200600_302600_NS5minusIjEEEE10hipError_tPvRmT2_T3_mT4_P12ihipStream_tbEUlT_E_NS1_11comp_targetILNS1_3genE9ELNS1_11target_archE1100ELNS1_3gpuE3ELNS1_3repE0EEENS1_30default_config_static_selectorELNS0_4arch9wavefront6targetE1EEEvT1_,"axG",@progbits,_ZN7rocprim17ROCPRIM_400000_NS6detail17trampoline_kernelINS0_14default_configENS1_35adjacent_difference_config_selectorILb1EjEEZNS1_24adjacent_difference_implIS3_Lb1ELb0EPjS7_N6thrust23THRUST_200600_302600_NS5minusIjEEEE10hipError_tPvRmT2_T3_mT4_P12ihipStream_tbEUlT_E_NS1_11comp_targetILNS1_3genE9ELNS1_11target_archE1100ELNS1_3gpuE3ELNS1_3repE0EEENS1_30default_config_static_selectorELNS0_4arch9wavefront6targetE1EEEvT1_,comdat
	.protected	_ZN7rocprim17ROCPRIM_400000_NS6detail17trampoline_kernelINS0_14default_configENS1_35adjacent_difference_config_selectorILb1EjEEZNS1_24adjacent_difference_implIS3_Lb1ELb0EPjS7_N6thrust23THRUST_200600_302600_NS5minusIjEEEE10hipError_tPvRmT2_T3_mT4_P12ihipStream_tbEUlT_E_NS1_11comp_targetILNS1_3genE9ELNS1_11target_archE1100ELNS1_3gpuE3ELNS1_3repE0EEENS1_30default_config_static_selectorELNS0_4arch9wavefront6targetE1EEEvT1_ ; -- Begin function _ZN7rocprim17ROCPRIM_400000_NS6detail17trampoline_kernelINS0_14default_configENS1_35adjacent_difference_config_selectorILb1EjEEZNS1_24adjacent_difference_implIS3_Lb1ELb0EPjS7_N6thrust23THRUST_200600_302600_NS5minusIjEEEE10hipError_tPvRmT2_T3_mT4_P12ihipStream_tbEUlT_E_NS1_11comp_targetILNS1_3genE9ELNS1_11target_archE1100ELNS1_3gpuE3ELNS1_3repE0EEENS1_30default_config_static_selectorELNS0_4arch9wavefront6targetE1EEEvT1_
	.globl	_ZN7rocprim17ROCPRIM_400000_NS6detail17trampoline_kernelINS0_14default_configENS1_35adjacent_difference_config_selectorILb1EjEEZNS1_24adjacent_difference_implIS3_Lb1ELb0EPjS7_N6thrust23THRUST_200600_302600_NS5minusIjEEEE10hipError_tPvRmT2_T3_mT4_P12ihipStream_tbEUlT_E_NS1_11comp_targetILNS1_3genE9ELNS1_11target_archE1100ELNS1_3gpuE3ELNS1_3repE0EEENS1_30default_config_static_selectorELNS0_4arch9wavefront6targetE1EEEvT1_
	.p2align	8
	.type	_ZN7rocprim17ROCPRIM_400000_NS6detail17trampoline_kernelINS0_14default_configENS1_35adjacent_difference_config_selectorILb1EjEEZNS1_24adjacent_difference_implIS3_Lb1ELb0EPjS7_N6thrust23THRUST_200600_302600_NS5minusIjEEEE10hipError_tPvRmT2_T3_mT4_P12ihipStream_tbEUlT_E_NS1_11comp_targetILNS1_3genE9ELNS1_11target_archE1100ELNS1_3gpuE3ELNS1_3repE0EEENS1_30default_config_static_selectorELNS0_4arch9wavefront6targetE1EEEvT1_,@function
_ZN7rocprim17ROCPRIM_400000_NS6detail17trampoline_kernelINS0_14default_configENS1_35adjacent_difference_config_selectorILb1EjEEZNS1_24adjacent_difference_implIS3_Lb1ELb0EPjS7_N6thrust23THRUST_200600_302600_NS5minusIjEEEE10hipError_tPvRmT2_T3_mT4_P12ihipStream_tbEUlT_E_NS1_11comp_targetILNS1_3genE9ELNS1_11target_archE1100ELNS1_3gpuE3ELNS1_3repE0EEENS1_30default_config_static_selectorELNS0_4arch9wavefront6targetE1EEEvT1_: ; @_ZN7rocprim17ROCPRIM_400000_NS6detail17trampoline_kernelINS0_14default_configENS1_35adjacent_difference_config_selectorILb1EjEEZNS1_24adjacent_difference_implIS3_Lb1ELb0EPjS7_N6thrust23THRUST_200600_302600_NS5minusIjEEEE10hipError_tPvRmT2_T3_mT4_P12ihipStream_tbEUlT_E_NS1_11comp_targetILNS1_3genE9ELNS1_11target_archE1100ELNS1_3gpuE3ELNS1_3repE0EEENS1_30default_config_static_selectorELNS0_4arch9wavefront6targetE1EEEvT1_
; %bb.0:
	.section	.rodata,"a",@progbits
	.p2align	6, 0x0
	.amdhsa_kernel _ZN7rocprim17ROCPRIM_400000_NS6detail17trampoline_kernelINS0_14default_configENS1_35adjacent_difference_config_selectorILb1EjEEZNS1_24adjacent_difference_implIS3_Lb1ELb0EPjS7_N6thrust23THRUST_200600_302600_NS5minusIjEEEE10hipError_tPvRmT2_T3_mT4_P12ihipStream_tbEUlT_E_NS1_11comp_targetILNS1_3genE9ELNS1_11target_archE1100ELNS1_3gpuE3ELNS1_3repE0EEENS1_30default_config_static_selectorELNS0_4arch9wavefront6targetE1EEEvT1_
		.amdhsa_group_segment_fixed_size 0
		.amdhsa_private_segment_fixed_size 0
		.amdhsa_kernarg_size 56
		.amdhsa_user_sgpr_count 6
		.amdhsa_user_sgpr_private_segment_buffer 1
		.amdhsa_user_sgpr_dispatch_ptr 0
		.amdhsa_user_sgpr_queue_ptr 0
		.amdhsa_user_sgpr_kernarg_segment_ptr 1
		.amdhsa_user_sgpr_dispatch_id 0
		.amdhsa_user_sgpr_flat_scratch_init 0
		.amdhsa_user_sgpr_kernarg_preload_length 0
		.amdhsa_user_sgpr_kernarg_preload_offset 0
		.amdhsa_user_sgpr_private_segment_size 0
		.amdhsa_uses_dynamic_stack 0
		.amdhsa_system_sgpr_private_segment_wavefront_offset 0
		.amdhsa_system_sgpr_workgroup_id_x 1
		.amdhsa_system_sgpr_workgroup_id_y 0
		.amdhsa_system_sgpr_workgroup_id_z 0
		.amdhsa_system_sgpr_workgroup_info 0
		.amdhsa_system_vgpr_workitem_id 0
		.amdhsa_next_free_vgpr 1
		.amdhsa_next_free_sgpr 0
		.amdhsa_accum_offset 4
		.amdhsa_reserve_vcc 0
		.amdhsa_reserve_flat_scratch 0
		.amdhsa_float_round_mode_32 0
		.amdhsa_float_round_mode_16_64 0
		.amdhsa_float_denorm_mode_32 3
		.amdhsa_float_denorm_mode_16_64 3
		.amdhsa_dx10_clamp 1
		.amdhsa_ieee_mode 1
		.amdhsa_fp16_overflow 0
		.amdhsa_tg_split 0
		.amdhsa_exception_fp_ieee_invalid_op 0
		.amdhsa_exception_fp_denorm_src 0
		.amdhsa_exception_fp_ieee_div_zero 0
		.amdhsa_exception_fp_ieee_overflow 0
		.amdhsa_exception_fp_ieee_underflow 0
		.amdhsa_exception_fp_ieee_inexact 0
		.amdhsa_exception_int_div_zero 0
	.end_amdhsa_kernel
	.section	.text._ZN7rocprim17ROCPRIM_400000_NS6detail17trampoline_kernelINS0_14default_configENS1_35adjacent_difference_config_selectorILb1EjEEZNS1_24adjacent_difference_implIS3_Lb1ELb0EPjS7_N6thrust23THRUST_200600_302600_NS5minusIjEEEE10hipError_tPvRmT2_T3_mT4_P12ihipStream_tbEUlT_E_NS1_11comp_targetILNS1_3genE9ELNS1_11target_archE1100ELNS1_3gpuE3ELNS1_3repE0EEENS1_30default_config_static_selectorELNS0_4arch9wavefront6targetE1EEEvT1_,"axG",@progbits,_ZN7rocprim17ROCPRIM_400000_NS6detail17trampoline_kernelINS0_14default_configENS1_35adjacent_difference_config_selectorILb1EjEEZNS1_24adjacent_difference_implIS3_Lb1ELb0EPjS7_N6thrust23THRUST_200600_302600_NS5minusIjEEEE10hipError_tPvRmT2_T3_mT4_P12ihipStream_tbEUlT_E_NS1_11comp_targetILNS1_3genE9ELNS1_11target_archE1100ELNS1_3gpuE3ELNS1_3repE0EEENS1_30default_config_static_selectorELNS0_4arch9wavefront6targetE1EEEvT1_,comdat
.Lfunc_end388:
	.size	_ZN7rocprim17ROCPRIM_400000_NS6detail17trampoline_kernelINS0_14default_configENS1_35adjacent_difference_config_selectorILb1EjEEZNS1_24adjacent_difference_implIS3_Lb1ELb0EPjS7_N6thrust23THRUST_200600_302600_NS5minusIjEEEE10hipError_tPvRmT2_T3_mT4_P12ihipStream_tbEUlT_E_NS1_11comp_targetILNS1_3genE9ELNS1_11target_archE1100ELNS1_3gpuE3ELNS1_3repE0EEENS1_30default_config_static_selectorELNS0_4arch9wavefront6targetE1EEEvT1_, .Lfunc_end388-_ZN7rocprim17ROCPRIM_400000_NS6detail17trampoline_kernelINS0_14default_configENS1_35adjacent_difference_config_selectorILb1EjEEZNS1_24adjacent_difference_implIS3_Lb1ELb0EPjS7_N6thrust23THRUST_200600_302600_NS5minusIjEEEE10hipError_tPvRmT2_T3_mT4_P12ihipStream_tbEUlT_E_NS1_11comp_targetILNS1_3genE9ELNS1_11target_archE1100ELNS1_3gpuE3ELNS1_3repE0EEENS1_30default_config_static_selectorELNS0_4arch9wavefront6targetE1EEEvT1_
                                        ; -- End function
	.section	.AMDGPU.csdata,"",@progbits
; Kernel info:
; codeLenInByte = 0
; NumSgprs: 4
; NumVgprs: 0
; NumAgprs: 0
; TotalNumVgprs: 0
; ScratchSize: 0
; MemoryBound: 0
; FloatMode: 240
; IeeeMode: 1
; LDSByteSize: 0 bytes/workgroup (compile time only)
; SGPRBlocks: 0
; VGPRBlocks: 0
; NumSGPRsForWavesPerEU: 4
; NumVGPRsForWavesPerEU: 1
; AccumOffset: 4
; Occupancy: 8
; WaveLimiterHint : 0
; COMPUTE_PGM_RSRC2:SCRATCH_EN: 0
; COMPUTE_PGM_RSRC2:USER_SGPR: 6
; COMPUTE_PGM_RSRC2:TRAP_HANDLER: 0
; COMPUTE_PGM_RSRC2:TGID_X_EN: 1
; COMPUTE_PGM_RSRC2:TGID_Y_EN: 0
; COMPUTE_PGM_RSRC2:TGID_Z_EN: 0
; COMPUTE_PGM_RSRC2:TIDIG_COMP_CNT: 0
; COMPUTE_PGM_RSRC3_GFX90A:ACCUM_OFFSET: 0
; COMPUTE_PGM_RSRC3_GFX90A:TG_SPLIT: 0
	.section	.text._ZN7rocprim17ROCPRIM_400000_NS6detail17trampoline_kernelINS0_14default_configENS1_35adjacent_difference_config_selectorILb1EjEEZNS1_24adjacent_difference_implIS3_Lb1ELb0EPjS7_N6thrust23THRUST_200600_302600_NS5minusIjEEEE10hipError_tPvRmT2_T3_mT4_P12ihipStream_tbEUlT_E_NS1_11comp_targetILNS1_3genE8ELNS1_11target_archE1030ELNS1_3gpuE2ELNS1_3repE0EEENS1_30default_config_static_selectorELNS0_4arch9wavefront6targetE1EEEvT1_,"axG",@progbits,_ZN7rocprim17ROCPRIM_400000_NS6detail17trampoline_kernelINS0_14default_configENS1_35adjacent_difference_config_selectorILb1EjEEZNS1_24adjacent_difference_implIS3_Lb1ELb0EPjS7_N6thrust23THRUST_200600_302600_NS5minusIjEEEE10hipError_tPvRmT2_T3_mT4_P12ihipStream_tbEUlT_E_NS1_11comp_targetILNS1_3genE8ELNS1_11target_archE1030ELNS1_3gpuE2ELNS1_3repE0EEENS1_30default_config_static_selectorELNS0_4arch9wavefront6targetE1EEEvT1_,comdat
	.protected	_ZN7rocprim17ROCPRIM_400000_NS6detail17trampoline_kernelINS0_14default_configENS1_35adjacent_difference_config_selectorILb1EjEEZNS1_24adjacent_difference_implIS3_Lb1ELb0EPjS7_N6thrust23THRUST_200600_302600_NS5minusIjEEEE10hipError_tPvRmT2_T3_mT4_P12ihipStream_tbEUlT_E_NS1_11comp_targetILNS1_3genE8ELNS1_11target_archE1030ELNS1_3gpuE2ELNS1_3repE0EEENS1_30default_config_static_selectorELNS0_4arch9wavefront6targetE1EEEvT1_ ; -- Begin function _ZN7rocprim17ROCPRIM_400000_NS6detail17trampoline_kernelINS0_14default_configENS1_35adjacent_difference_config_selectorILb1EjEEZNS1_24adjacent_difference_implIS3_Lb1ELb0EPjS7_N6thrust23THRUST_200600_302600_NS5minusIjEEEE10hipError_tPvRmT2_T3_mT4_P12ihipStream_tbEUlT_E_NS1_11comp_targetILNS1_3genE8ELNS1_11target_archE1030ELNS1_3gpuE2ELNS1_3repE0EEENS1_30default_config_static_selectorELNS0_4arch9wavefront6targetE1EEEvT1_
	.globl	_ZN7rocprim17ROCPRIM_400000_NS6detail17trampoline_kernelINS0_14default_configENS1_35adjacent_difference_config_selectorILb1EjEEZNS1_24adjacent_difference_implIS3_Lb1ELb0EPjS7_N6thrust23THRUST_200600_302600_NS5minusIjEEEE10hipError_tPvRmT2_T3_mT4_P12ihipStream_tbEUlT_E_NS1_11comp_targetILNS1_3genE8ELNS1_11target_archE1030ELNS1_3gpuE2ELNS1_3repE0EEENS1_30default_config_static_selectorELNS0_4arch9wavefront6targetE1EEEvT1_
	.p2align	8
	.type	_ZN7rocprim17ROCPRIM_400000_NS6detail17trampoline_kernelINS0_14default_configENS1_35adjacent_difference_config_selectorILb1EjEEZNS1_24adjacent_difference_implIS3_Lb1ELb0EPjS7_N6thrust23THRUST_200600_302600_NS5minusIjEEEE10hipError_tPvRmT2_T3_mT4_P12ihipStream_tbEUlT_E_NS1_11comp_targetILNS1_3genE8ELNS1_11target_archE1030ELNS1_3gpuE2ELNS1_3repE0EEENS1_30default_config_static_selectorELNS0_4arch9wavefront6targetE1EEEvT1_,@function
_ZN7rocprim17ROCPRIM_400000_NS6detail17trampoline_kernelINS0_14default_configENS1_35adjacent_difference_config_selectorILb1EjEEZNS1_24adjacent_difference_implIS3_Lb1ELb0EPjS7_N6thrust23THRUST_200600_302600_NS5minusIjEEEE10hipError_tPvRmT2_T3_mT4_P12ihipStream_tbEUlT_E_NS1_11comp_targetILNS1_3genE8ELNS1_11target_archE1030ELNS1_3gpuE2ELNS1_3repE0EEENS1_30default_config_static_selectorELNS0_4arch9wavefront6targetE1EEEvT1_: ; @_ZN7rocprim17ROCPRIM_400000_NS6detail17trampoline_kernelINS0_14default_configENS1_35adjacent_difference_config_selectorILb1EjEEZNS1_24adjacent_difference_implIS3_Lb1ELb0EPjS7_N6thrust23THRUST_200600_302600_NS5minusIjEEEE10hipError_tPvRmT2_T3_mT4_P12ihipStream_tbEUlT_E_NS1_11comp_targetILNS1_3genE8ELNS1_11target_archE1030ELNS1_3gpuE2ELNS1_3repE0EEENS1_30default_config_static_selectorELNS0_4arch9wavefront6targetE1EEEvT1_
; %bb.0:
	.section	.rodata,"a",@progbits
	.p2align	6, 0x0
	.amdhsa_kernel _ZN7rocprim17ROCPRIM_400000_NS6detail17trampoline_kernelINS0_14default_configENS1_35adjacent_difference_config_selectorILb1EjEEZNS1_24adjacent_difference_implIS3_Lb1ELb0EPjS7_N6thrust23THRUST_200600_302600_NS5minusIjEEEE10hipError_tPvRmT2_T3_mT4_P12ihipStream_tbEUlT_E_NS1_11comp_targetILNS1_3genE8ELNS1_11target_archE1030ELNS1_3gpuE2ELNS1_3repE0EEENS1_30default_config_static_selectorELNS0_4arch9wavefront6targetE1EEEvT1_
		.amdhsa_group_segment_fixed_size 0
		.amdhsa_private_segment_fixed_size 0
		.amdhsa_kernarg_size 56
		.amdhsa_user_sgpr_count 6
		.amdhsa_user_sgpr_private_segment_buffer 1
		.amdhsa_user_sgpr_dispatch_ptr 0
		.amdhsa_user_sgpr_queue_ptr 0
		.amdhsa_user_sgpr_kernarg_segment_ptr 1
		.amdhsa_user_sgpr_dispatch_id 0
		.amdhsa_user_sgpr_flat_scratch_init 0
		.amdhsa_user_sgpr_kernarg_preload_length 0
		.amdhsa_user_sgpr_kernarg_preload_offset 0
		.amdhsa_user_sgpr_private_segment_size 0
		.amdhsa_uses_dynamic_stack 0
		.amdhsa_system_sgpr_private_segment_wavefront_offset 0
		.amdhsa_system_sgpr_workgroup_id_x 1
		.amdhsa_system_sgpr_workgroup_id_y 0
		.amdhsa_system_sgpr_workgroup_id_z 0
		.amdhsa_system_sgpr_workgroup_info 0
		.amdhsa_system_vgpr_workitem_id 0
		.amdhsa_next_free_vgpr 1
		.amdhsa_next_free_sgpr 0
		.amdhsa_accum_offset 4
		.amdhsa_reserve_vcc 0
		.amdhsa_reserve_flat_scratch 0
		.amdhsa_float_round_mode_32 0
		.amdhsa_float_round_mode_16_64 0
		.amdhsa_float_denorm_mode_32 3
		.amdhsa_float_denorm_mode_16_64 3
		.amdhsa_dx10_clamp 1
		.amdhsa_ieee_mode 1
		.amdhsa_fp16_overflow 0
		.amdhsa_tg_split 0
		.amdhsa_exception_fp_ieee_invalid_op 0
		.amdhsa_exception_fp_denorm_src 0
		.amdhsa_exception_fp_ieee_div_zero 0
		.amdhsa_exception_fp_ieee_overflow 0
		.amdhsa_exception_fp_ieee_underflow 0
		.amdhsa_exception_fp_ieee_inexact 0
		.amdhsa_exception_int_div_zero 0
	.end_amdhsa_kernel
	.section	.text._ZN7rocprim17ROCPRIM_400000_NS6detail17trampoline_kernelINS0_14default_configENS1_35adjacent_difference_config_selectorILb1EjEEZNS1_24adjacent_difference_implIS3_Lb1ELb0EPjS7_N6thrust23THRUST_200600_302600_NS5minusIjEEEE10hipError_tPvRmT2_T3_mT4_P12ihipStream_tbEUlT_E_NS1_11comp_targetILNS1_3genE8ELNS1_11target_archE1030ELNS1_3gpuE2ELNS1_3repE0EEENS1_30default_config_static_selectorELNS0_4arch9wavefront6targetE1EEEvT1_,"axG",@progbits,_ZN7rocprim17ROCPRIM_400000_NS6detail17trampoline_kernelINS0_14default_configENS1_35adjacent_difference_config_selectorILb1EjEEZNS1_24adjacent_difference_implIS3_Lb1ELb0EPjS7_N6thrust23THRUST_200600_302600_NS5minusIjEEEE10hipError_tPvRmT2_T3_mT4_P12ihipStream_tbEUlT_E_NS1_11comp_targetILNS1_3genE8ELNS1_11target_archE1030ELNS1_3gpuE2ELNS1_3repE0EEENS1_30default_config_static_selectorELNS0_4arch9wavefront6targetE1EEEvT1_,comdat
.Lfunc_end389:
	.size	_ZN7rocprim17ROCPRIM_400000_NS6detail17trampoline_kernelINS0_14default_configENS1_35adjacent_difference_config_selectorILb1EjEEZNS1_24adjacent_difference_implIS3_Lb1ELb0EPjS7_N6thrust23THRUST_200600_302600_NS5minusIjEEEE10hipError_tPvRmT2_T3_mT4_P12ihipStream_tbEUlT_E_NS1_11comp_targetILNS1_3genE8ELNS1_11target_archE1030ELNS1_3gpuE2ELNS1_3repE0EEENS1_30default_config_static_selectorELNS0_4arch9wavefront6targetE1EEEvT1_, .Lfunc_end389-_ZN7rocprim17ROCPRIM_400000_NS6detail17trampoline_kernelINS0_14default_configENS1_35adjacent_difference_config_selectorILb1EjEEZNS1_24adjacent_difference_implIS3_Lb1ELb0EPjS7_N6thrust23THRUST_200600_302600_NS5minusIjEEEE10hipError_tPvRmT2_T3_mT4_P12ihipStream_tbEUlT_E_NS1_11comp_targetILNS1_3genE8ELNS1_11target_archE1030ELNS1_3gpuE2ELNS1_3repE0EEENS1_30default_config_static_selectorELNS0_4arch9wavefront6targetE1EEEvT1_
                                        ; -- End function
	.section	.AMDGPU.csdata,"",@progbits
; Kernel info:
; codeLenInByte = 0
; NumSgprs: 4
; NumVgprs: 0
; NumAgprs: 0
; TotalNumVgprs: 0
; ScratchSize: 0
; MemoryBound: 0
; FloatMode: 240
; IeeeMode: 1
; LDSByteSize: 0 bytes/workgroup (compile time only)
; SGPRBlocks: 0
; VGPRBlocks: 0
; NumSGPRsForWavesPerEU: 4
; NumVGPRsForWavesPerEU: 1
; AccumOffset: 4
; Occupancy: 8
; WaveLimiterHint : 0
; COMPUTE_PGM_RSRC2:SCRATCH_EN: 0
; COMPUTE_PGM_RSRC2:USER_SGPR: 6
; COMPUTE_PGM_RSRC2:TRAP_HANDLER: 0
; COMPUTE_PGM_RSRC2:TGID_X_EN: 1
; COMPUTE_PGM_RSRC2:TGID_Y_EN: 0
; COMPUTE_PGM_RSRC2:TGID_Z_EN: 0
; COMPUTE_PGM_RSRC2:TIDIG_COMP_CNT: 0
; COMPUTE_PGM_RSRC3_GFX90A:ACCUM_OFFSET: 0
; COMPUTE_PGM_RSRC3_GFX90A:TG_SPLIT: 0
	.section	.text._ZN7rocprim17ROCPRIM_400000_NS6detail17trampoline_kernelINS0_14default_configENS1_35adjacent_difference_config_selectorILb0EjEEZNS1_24adjacent_difference_implIS3_Lb0ELb0EPjS7_N6thrust23THRUST_200600_302600_NS4plusIjEEEE10hipError_tPvRmT2_T3_mT4_P12ihipStream_tbEUlT_E_NS1_11comp_targetILNS1_3genE0ELNS1_11target_archE4294967295ELNS1_3gpuE0ELNS1_3repE0EEENS1_30default_config_static_selectorELNS0_4arch9wavefront6targetE1EEEvT1_,"axG",@progbits,_ZN7rocprim17ROCPRIM_400000_NS6detail17trampoline_kernelINS0_14default_configENS1_35adjacent_difference_config_selectorILb0EjEEZNS1_24adjacent_difference_implIS3_Lb0ELb0EPjS7_N6thrust23THRUST_200600_302600_NS4plusIjEEEE10hipError_tPvRmT2_T3_mT4_P12ihipStream_tbEUlT_E_NS1_11comp_targetILNS1_3genE0ELNS1_11target_archE4294967295ELNS1_3gpuE0ELNS1_3repE0EEENS1_30default_config_static_selectorELNS0_4arch9wavefront6targetE1EEEvT1_,comdat
	.protected	_ZN7rocprim17ROCPRIM_400000_NS6detail17trampoline_kernelINS0_14default_configENS1_35adjacent_difference_config_selectorILb0EjEEZNS1_24adjacent_difference_implIS3_Lb0ELb0EPjS7_N6thrust23THRUST_200600_302600_NS4plusIjEEEE10hipError_tPvRmT2_T3_mT4_P12ihipStream_tbEUlT_E_NS1_11comp_targetILNS1_3genE0ELNS1_11target_archE4294967295ELNS1_3gpuE0ELNS1_3repE0EEENS1_30default_config_static_selectorELNS0_4arch9wavefront6targetE1EEEvT1_ ; -- Begin function _ZN7rocprim17ROCPRIM_400000_NS6detail17trampoline_kernelINS0_14default_configENS1_35adjacent_difference_config_selectorILb0EjEEZNS1_24adjacent_difference_implIS3_Lb0ELb0EPjS7_N6thrust23THRUST_200600_302600_NS4plusIjEEEE10hipError_tPvRmT2_T3_mT4_P12ihipStream_tbEUlT_E_NS1_11comp_targetILNS1_3genE0ELNS1_11target_archE4294967295ELNS1_3gpuE0ELNS1_3repE0EEENS1_30default_config_static_selectorELNS0_4arch9wavefront6targetE1EEEvT1_
	.globl	_ZN7rocprim17ROCPRIM_400000_NS6detail17trampoline_kernelINS0_14default_configENS1_35adjacent_difference_config_selectorILb0EjEEZNS1_24adjacent_difference_implIS3_Lb0ELb0EPjS7_N6thrust23THRUST_200600_302600_NS4plusIjEEEE10hipError_tPvRmT2_T3_mT4_P12ihipStream_tbEUlT_E_NS1_11comp_targetILNS1_3genE0ELNS1_11target_archE4294967295ELNS1_3gpuE0ELNS1_3repE0EEENS1_30default_config_static_selectorELNS0_4arch9wavefront6targetE1EEEvT1_
	.p2align	8
	.type	_ZN7rocprim17ROCPRIM_400000_NS6detail17trampoline_kernelINS0_14default_configENS1_35adjacent_difference_config_selectorILb0EjEEZNS1_24adjacent_difference_implIS3_Lb0ELb0EPjS7_N6thrust23THRUST_200600_302600_NS4plusIjEEEE10hipError_tPvRmT2_T3_mT4_P12ihipStream_tbEUlT_E_NS1_11comp_targetILNS1_3genE0ELNS1_11target_archE4294967295ELNS1_3gpuE0ELNS1_3repE0EEENS1_30default_config_static_selectorELNS0_4arch9wavefront6targetE1EEEvT1_,@function
_ZN7rocprim17ROCPRIM_400000_NS6detail17trampoline_kernelINS0_14default_configENS1_35adjacent_difference_config_selectorILb0EjEEZNS1_24adjacent_difference_implIS3_Lb0ELb0EPjS7_N6thrust23THRUST_200600_302600_NS4plusIjEEEE10hipError_tPvRmT2_T3_mT4_P12ihipStream_tbEUlT_E_NS1_11comp_targetILNS1_3genE0ELNS1_11target_archE4294967295ELNS1_3gpuE0ELNS1_3repE0EEENS1_30default_config_static_selectorELNS0_4arch9wavefront6targetE1EEEvT1_: ; @_ZN7rocprim17ROCPRIM_400000_NS6detail17trampoline_kernelINS0_14default_configENS1_35adjacent_difference_config_selectorILb0EjEEZNS1_24adjacent_difference_implIS3_Lb0ELb0EPjS7_N6thrust23THRUST_200600_302600_NS4plusIjEEEE10hipError_tPvRmT2_T3_mT4_P12ihipStream_tbEUlT_E_NS1_11comp_targetILNS1_3genE0ELNS1_11target_archE4294967295ELNS1_3gpuE0ELNS1_3repE0EEENS1_30default_config_static_selectorELNS0_4arch9wavefront6targetE1EEEvT1_
; %bb.0:
	.section	.rodata,"a",@progbits
	.p2align	6, 0x0
	.amdhsa_kernel _ZN7rocprim17ROCPRIM_400000_NS6detail17trampoline_kernelINS0_14default_configENS1_35adjacent_difference_config_selectorILb0EjEEZNS1_24adjacent_difference_implIS3_Lb0ELb0EPjS7_N6thrust23THRUST_200600_302600_NS4plusIjEEEE10hipError_tPvRmT2_T3_mT4_P12ihipStream_tbEUlT_E_NS1_11comp_targetILNS1_3genE0ELNS1_11target_archE4294967295ELNS1_3gpuE0ELNS1_3repE0EEENS1_30default_config_static_selectorELNS0_4arch9wavefront6targetE1EEEvT1_
		.amdhsa_group_segment_fixed_size 0
		.amdhsa_private_segment_fixed_size 0
		.amdhsa_kernarg_size 56
		.amdhsa_user_sgpr_count 6
		.amdhsa_user_sgpr_private_segment_buffer 1
		.amdhsa_user_sgpr_dispatch_ptr 0
		.amdhsa_user_sgpr_queue_ptr 0
		.amdhsa_user_sgpr_kernarg_segment_ptr 1
		.amdhsa_user_sgpr_dispatch_id 0
		.amdhsa_user_sgpr_flat_scratch_init 0
		.amdhsa_user_sgpr_kernarg_preload_length 0
		.amdhsa_user_sgpr_kernarg_preload_offset 0
		.amdhsa_user_sgpr_private_segment_size 0
		.amdhsa_uses_dynamic_stack 0
		.amdhsa_system_sgpr_private_segment_wavefront_offset 0
		.amdhsa_system_sgpr_workgroup_id_x 1
		.amdhsa_system_sgpr_workgroup_id_y 0
		.amdhsa_system_sgpr_workgroup_id_z 0
		.amdhsa_system_sgpr_workgroup_info 0
		.amdhsa_system_vgpr_workitem_id 0
		.amdhsa_next_free_vgpr 1
		.amdhsa_next_free_sgpr 0
		.amdhsa_accum_offset 4
		.amdhsa_reserve_vcc 0
		.amdhsa_reserve_flat_scratch 0
		.amdhsa_float_round_mode_32 0
		.amdhsa_float_round_mode_16_64 0
		.amdhsa_float_denorm_mode_32 3
		.amdhsa_float_denorm_mode_16_64 3
		.amdhsa_dx10_clamp 1
		.amdhsa_ieee_mode 1
		.amdhsa_fp16_overflow 0
		.amdhsa_tg_split 0
		.amdhsa_exception_fp_ieee_invalid_op 0
		.amdhsa_exception_fp_denorm_src 0
		.amdhsa_exception_fp_ieee_div_zero 0
		.amdhsa_exception_fp_ieee_overflow 0
		.amdhsa_exception_fp_ieee_underflow 0
		.amdhsa_exception_fp_ieee_inexact 0
		.amdhsa_exception_int_div_zero 0
	.end_amdhsa_kernel
	.section	.text._ZN7rocprim17ROCPRIM_400000_NS6detail17trampoline_kernelINS0_14default_configENS1_35adjacent_difference_config_selectorILb0EjEEZNS1_24adjacent_difference_implIS3_Lb0ELb0EPjS7_N6thrust23THRUST_200600_302600_NS4plusIjEEEE10hipError_tPvRmT2_T3_mT4_P12ihipStream_tbEUlT_E_NS1_11comp_targetILNS1_3genE0ELNS1_11target_archE4294967295ELNS1_3gpuE0ELNS1_3repE0EEENS1_30default_config_static_selectorELNS0_4arch9wavefront6targetE1EEEvT1_,"axG",@progbits,_ZN7rocprim17ROCPRIM_400000_NS6detail17trampoline_kernelINS0_14default_configENS1_35adjacent_difference_config_selectorILb0EjEEZNS1_24adjacent_difference_implIS3_Lb0ELb0EPjS7_N6thrust23THRUST_200600_302600_NS4plusIjEEEE10hipError_tPvRmT2_T3_mT4_P12ihipStream_tbEUlT_E_NS1_11comp_targetILNS1_3genE0ELNS1_11target_archE4294967295ELNS1_3gpuE0ELNS1_3repE0EEENS1_30default_config_static_selectorELNS0_4arch9wavefront6targetE1EEEvT1_,comdat
.Lfunc_end390:
	.size	_ZN7rocprim17ROCPRIM_400000_NS6detail17trampoline_kernelINS0_14default_configENS1_35adjacent_difference_config_selectorILb0EjEEZNS1_24adjacent_difference_implIS3_Lb0ELb0EPjS7_N6thrust23THRUST_200600_302600_NS4plusIjEEEE10hipError_tPvRmT2_T3_mT4_P12ihipStream_tbEUlT_E_NS1_11comp_targetILNS1_3genE0ELNS1_11target_archE4294967295ELNS1_3gpuE0ELNS1_3repE0EEENS1_30default_config_static_selectorELNS0_4arch9wavefront6targetE1EEEvT1_, .Lfunc_end390-_ZN7rocprim17ROCPRIM_400000_NS6detail17trampoline_kernelINS0_14default_configENS1_35adjacent_difference_config_selectorILb0EjEEZNS1_24adjacent_difference_implIS3_Lb0ELb0EPjS7_N6thrust23THRUST_200600_302600_NS4plusIjEEEE10hipError_tPvRmT2_T3_mT4_P12ihipStream_tbEUlT_E_NS1_11comp_targetILNS1_3genE0ELNS1_11target_archE4294967295ELNS1_3gpuE0ELNS1_3repE0EEENS1_30default_config_static_selectorELNS0_4arch9wavefront6targetE1EEEvT1_
                                        ; -- End function
	.section	.AMDGPU.csdata,"",@progbits
; Kernel info:
; codeLenInByte = 0
; NumSgprs: 4
; NumVgprs: 0
; NumAgprs: 0
; TotalNumVgprs: 0
; ScratchSize: 0
; MemoryBound: 0
; FloatMode: 240
; IeeeMode: 1
; LDSByteSize: 0 bytes/workgroup (compile time only)
; SGPRBlocks: 0
; VGPRBlocks: 0
; NumSGPRsForWavesPerEU: 4
; NumVGPRsForWavesPerEU: 1
; AccumOffset: 4
; Occupancy: 8
; WaveLimiterHint : 0
; COMPUTE_PGM_RSRC2:SCRATCH_EN: 0
; COMPUTE_PGM_RSRC2:USER_SGPR: 6
; COMPUTE_PGM_RSRC2:TRAP_HANDLER: 0
; COMPUTE_PGM_RSRC2:TGID_X_EN: 1
; COMPUTE_PGM_RSRC2:TGID_Y_EN: 0
; COMPUTE_PGM_RSRC2:TGID_Z_EN: 0
; COMPUTE_PGM_RSRC2:TIDIG_COMP_CNT: 0
; COMPUTE_PGM_RSRC3_GFX90A:ACCUM_OFFSET: 0
; COMPUTE_PGM_RSRC3_GFX90A:TG_SPLIT: 0
	.section	.text._ZN7rocprim17ROCPRIM_400000_NS6detail17trampoline_kernelINS0_14default_configENS1_35adjacent_difference_config_selectorILb0EjEEZNS1_24adjacent_difference_implIS3_Lb0ELb0EPjS7_N6thrust23THRUST_200600_302600_NS4plusIjEEEE10hipError_tPvRmT2_T3_mT4_P12ihipStream_tbEUlT_E_NS1_11comp_targetILNS1_3genE10ELNS1_11target_archE1201ELNS1_3gpuE5ELNS1_3repE0EEENS1_30default_config_static_selectorELNS0_4arch9wavefront6targetE1EEEvT1_,"axG",@progbits,_ZN7rocprim17ROCPRIM_400000_NS6detail17trampoline_kernelINS0_14default_configENS1_35adjacent_difference_config_selectorILb0EjEEZNS1_24adjacent_difference_implIS3_Lb0ELb0EPjS7_N6thrust23THRUST_200600_302600_NS4plusIjEEEE10hipError_tPvRmT2_T3_mT4_P12ihipStream_tbEUlT_E_NS1_11comp_targetILNS1_3genE10ELNS1_11target_archE1201ELNS1_3gpuE5ELNS1_3repE0EEENS1_30default_config_static_selectorELNS0_4arch9wavefront6targetE1EEEvT1_,comdat
	.protected	_ZN7rocprim17ROCPRIM_400000_NS6detail17trampoline_kernelINS0_14default_configENS1_35adjacent_difference_config_selectorILb0EjEEZNS1_24adjacent_difference_implIS3_Lb0ELb0EPjS7_N6thrust23THRUST_200600_302600_NS4plusIjEEEE10hipError_tPvRmT2_T3_mT4_P12ihipStream_tbEUlT_E_NS1_11comp_targetILNS1_3genE10ELNS1_11target_archE1201ELNS1_3gpuE5ELNS1_3repE0EEENS1_30default_config_static_selectorELNS0_4arch9wavefront6targetE1EEEvT1_ ; -- Begin function _ZN7rocprim17ROCPRIM_400000_NS6detail17trampoline_kernelINS0_14default_configENS1_35adjacent_difference_config_selectorILb0EjEEZNS1_24adjacent_difference_implIS3_Lb0ELb0EPjS7_N6thrust23THRUST_200600_302600_NS4plusIjEEEE10hipError_tPvRmT2_T3_mT4_P12ihipStream_tbEUlT_E_NS1_11comp_targetILNS1_3genE10ELNS1_11target_archE1201ELNS1_3gpuE5ELNS1_3repE0EEENS1_30default_config_static_selectorELNS0_4arch9wavefront6targetE1EEEvT1_
	.globl	_ZN7rocprim17ROCPRIM_400000_NS6detail17trampoline_kernelINS0_14default_configENS1_35adjacent_difference_config_selectorILb0EjEEZNS1_24adjacent_difference_implIS3_Lb0ELb0EPjS7_N6thrust23THRUST_200600_302600_NS4plusIjEEEE10hipError_tPvRmT2_T3_mT4_P12ihipStream_tbEUlT_E_NS1_11comp_targetILNS1_3genE10ELNS1_11target_archE1201ELNS1_3gpuE5ELNS1_3repE0EEENS1_30default_config_static_selectorELNS0_4arch9wavefront6targetE1EEEvT1_
	.p2align	8
	.type	_ZN7rocprim17ROCPRIM_400000_NS6detail17trampoline_kernelINS0_14default_configENS1_35adjacent_difference_config_selectorILb0EjEEZNS1_24adjacent_difference_implIS3_Lb0ELb0EPjS7_N6thrust23THRUST_200600_302600_NS4plusIjEEEE10hipError_tPvRmT2_T3_mT4_P12ihipStream_tbEUlT_E_NS1_11comp_targetILNS1_3genE10ELNS1_11target_archE1201ELNS1_3gpuE5ELNS1_3repE0EEENS1_30default_config_static_selectorELNS0_4arch9wavefront6targetE1EEEvT1_,@function
_ZN7rocprim17ROCPRIM_400000_NS6detail17trampoline_kernelINS0_14default_configENS1_35adjacent_difference_config_selectorILb0EjEEZNS1_24adjacent_difference_implIS3_Lb0ELb0EPjS7_N6thrust23THRUST_200600_302600_NS4plusIjEEEE10hipError_tPvRmT2_T3_mT4_P12ihipStream_tbEUlT_E_NS1_11comp_targetILNS1_3genE10ELNS1_11target_archE1201ELNS1_3gpuE5ELNS1_3repE0EEENS1_30default_config_static_selectorELNS0_4arch9wavefront6targetE1EEEvT1_: ; @_ZN7rocprim17ROCPRIM_400000_NS6detail17trampoline_kernelINS0_14default_configENS1_35adjacent_difference_config_selectorILb0EjEEZNS1_24adjacent_difference_implIS3_Lb0ELb0EPjS7_N6thrust23THRUST_200600_302600_NS4plusIjEEEE10hipError_tPvRmT2_T3_mT4_P12ihipStream_tbEUlT_E_NS1_11comp_targetILNS1_3genE10ELNS1_11target_archE1201ELNS1_3gpuE5ELNS1_3repE0EEENS1_30default_config_static_selectorELNS0_4arch9wavefront6targetE1EEEvT1_
; %bb.0:
	.section	.rodata,"a",@progbits
	.p2align	6, 0x0
	.amdhsa_kernel _ZN7rocprim17ROCPRIM_400000_NS6detail17trampoline_kernelINS0_14default_configENS1_35adjacent_difference_config_selectorILb0EjEEZNS1_24adjacent_difference_implIS3_Lb0ELb0EPjS7_N6thrust23THRUST_200600_302600_NS4plusIjEEEE10hipError_tPvRmT2_T3_mT4_P12ihipStream_tbEUlT_E_NS1_11comp_targetILNS1_3genE10ELNS1_11target_archE1201ELNS1_3gpuE5ELNS1_3repE0EEENS1_30default_config_static_selectorELNS0_4arch9wavefront6targetE1EEEvT1_
		.amdhsa_group_segment_fixed_size 0
		.amdhsa_private_segment_fixed_size 0
		.amdhsa_kernarg_size 56
		.amdhsa_user_sgpr_count 6
		.amdhsa_user_sgpr_private_segment_buffer 1
		.amdhsa_user_sgpr_dispatch_ptr 0
		.amdhsa_user_sgpr_queue_ptr 0
		.amdhsa_user_sgpr_kernarg_segment_ptr 1
		.amdhsa_user_sgpr_dispatch_id 0
		.amdhsa_user_sgpr_flat_scratch_init 0
		.amdhsa_user_sgpr_kernarg_preload_length 0
		.amdhsa_user_sgpr_kernarg_preload_offset 0
		.amdhsa_user_sgpr_private_segment_size 0
		.amdhsa_uses_dynamic_stack 0
		.amdhsa_system_sgpr_private_segment_wavefront_offset 0
		.amdhsa_system_sgpr_workgroup_id_x 1
		.amdhsa_system_sgpr_workgroup_id_y 0
		.amdhsa_system_sgpr_workgroup_id_z 0
		.amdhsa_system_sgpr_workgroup_info 0
		.amdhsa_system_vgpr_workitem_id 0
		.amdhsa_next_free_vgpr 1
		.amdhsa_next_free_sgpr 0
		.amdhsa_accum_offset 4
		.amdhsa_reserve_vcc 0
		.amdhsa_reserve_flat_scratch 0
		.amdhsa_float_round_mode_32 0
		.amdhsa_float_round_mode_16_64 0
		.amdhsa_float_denorm_mode_32 3
		.amdhsa_float_denorm_mode_16_64 3
		.amdhsa_dx10_clamp 1
		.amdhsa_ieee_mode 1
		.amdhsa_fp16_overflow 0
		.amdhsa_tg_split 0
		.amdhsa_exception_fp_ieee_invalid_op 0
		.amdhsa_exception_fp_denorm_src 0
		.amdhsa_exception_fp_ieee_div_zero 0
		.amdhsa_exception_fp_ieee_overflow 0
		.amdhsa_exception_fp_ieee_underflow 0
		.amdhsa_exception_fp_ieee_inexact 0
		.amdhsa_exception_int_div_zero 0
	.end_amdhsa_kernel
	.section	.text._ZN7rocprim17ROCPRIM_400000_NS6detail17trampoline_kernelINS0_14default_configENS1_35adjacent_difference_config_selectorILb0EjEEZNS1_24adjacent_difference_implIS3_Lb0ELb0EPjS7_N6thrust23THRUST_200600_302600_NS4plusIjEEEE10hipError_tPvRmT2_T3_mT4_P12ihipStream_tbEUlT_E_NS1_11comp_targetILNS1_3genE10ELNS1_11target_archE1201ELNS1_3gpuE5ELNS1_3repE0EEENS1_30default_config_static_selectorELNS0_4arch9wavefront6targetE1EEEvT1_,"axG",@progbits,_ZN7rocprim17ROCPRIM_400000_NS6detail17trampoline_kernelINS0_14default_configENS1_35adjacent_difference_config_selectorILb0EjEEZNS1_24adjacent_difference_implIS3_Lb0ELb0EPjS7_N6thrust23THRUST_200600_302600_NS4plusIjEEEE10hipError_tPvRmT2_T3_mT4_P12ihipStream_tbEUlT_E_NS1_11comp_targetILNS1_3genE10ELNS1_11target_archE1201ELNS1_3gpuE5ELNS1_3repE0EEENS1_30default_config_static_selectorELNS0_4arch9wavefront6targetE1EEEvT1_,comdat
.Lfunc_end391:
	.size	_ZN7rocprim17ROCPRIM_400000_NS6detail17trampoline_kernelINS0_14default_configENS1_35adjacent_difference_config_selectorILb0EjEEZNS1_24adjacent_difference_implIS3_Lb0ELb0EPjS7_N6thrust23THRUST_200600_302600_NS4plusIjEEEE10hipError_tPvRmT2_T3_mT4_P12ihipStream_tbEUlT_E_NS1_11comp_targetILNS1_3genE10ELNS1_11target_archE1201ELNS1_3gpuE5ELNS1_3repE0EEENS1_30default_config_static_selectorELNS0_4arch9wavefront6targetE1EEEvT1_, .Lfunc_end391-_ZN7rocprim17ROCPRIM_400000_NS6detail17trampoline_kernelINS0_14default_configENS1_35adjacent_difference_config_selectorILb0EjEEZNS1_24adjacent_difference_implIS3_Lb0ELb0EPjS7_N6thrust23THRUST_200600_302600_NS4plusIjEEEE10hipError_tPvRmT2_T3_mT4_P12ihipStream_tbEUlT_E_NS1_11comp_targetILNS1_3genE10ELNS1_11target_archE1201ELNS1_3gpuE5ELNS1_3repE0EEENS1_30default_config_static_selectorELNS0_4arch9wavefront6targetE1EEEvT1_
                                        ; -- End function
	.section	.AMDGPU.csdata,"",@progbits
; Kernel info:
; codeLenInByte = 0
; NumSgprs: 4
; NumVgprs: 0
; NumAgprs: 0
; TotalNumVgprs: 0
; ScratchSize: 0
; MemoryBound: 0
; FloatMode: 240
; IeeeMode: 1
; LDSByteSize: 0 bytes/workgroup (compile time only)
; SGPRBlocks: 0
; VGPRBlocks: 0
; NumSGPRsForWavesPerEU: 4
; NumVGPRsForWavesPerEU: 1
; AccumOffset: 4
; Occupancy: 8
; WaveLimiterHint : 0
; COMPUTE_PGM_RSRC2:SCRATCH_EN: 0
; COMPUTE_PGM_RSRC2:USER_SGPR: 6
; COMPUTE_PGM_RSRC2:TRAP_HANDLER: 0
; COMPUTE_PGM_RSRC2:TGID_X_EN: 1
; COMPUTE_PGM_RSRC2:TGID_Y_EN: 0
; COMPUTE_PGM_RSRC2:TGID_Z_EN: 0
; COMPUTE_PGM_RSRC2:TIDIG_COMP_CNT: 0
; COMPUTE_PGM_RSRC3_GFX90A:ACCUM_OFFSET: 0
; COMPUTE_PGM_RSRC3_GFX90A:TG_SPLIT: 0
	.section	.text._ZN7rocprim17ROCPRIM_400000_NS6detail17trampoline_kernelINS0_14default_configENS1_35adjacent_difference_config_selectorILb0EjEEZNS1_24adjacent_difference_implIS3_Lb0ELb0EPjS7_N6thrust23THRUST_200600_302600_NS4plusIjEEEE10hipError_tPvRmT2_T3_mT4_P12ihipStream_tbEUlT_E_NS1_11comp_targetILNS1_3genE5ELNS1_11target_archE942ELNS1_3gpuE9ELNS1_3repE0EEENS1_30default_config_static_selectorELNS0_4arch9wavefront6targetE1EEEvT1_,"axG",@progbits,_ZN7rocprim17ROCPRIM_400000_NS6detail17trampoline_kernelINS0_14default_configENS1_35adjacent_difference_config_selectorILb0EjEEZNS1_24adjacent_difference_implIS3_Lb0ELb0EPjS7_N6thrust23THRUST_200600_302600_NS4plusIjEEEE10hipError_tPvRmT2_T3_mT4_P12ihipStream_tbEUlT_E_NS1_11comp_targetILNS1_3genE5ELNS1_11target_archE942ELNS1_3gpuE9ELNS1_3repE0EEENS1_30default_config_static_selectorELNS0_4arch9wavefront6targetE1EEEvT1_,comdat
	.protected	_ZN7rocprim17ROCPRIM_400000_NS6detail17trampoline_kernelINS0_14default_configENS1_35adjacent_difference_config_selectorILb0EjEEZNS1_24adjacent_difference_implIS3_Lb0ELb0EPjS7_N6thrust23THRUST_200600_302600_NS4plusIjEEEE10hipError_tPvRmT2_T3_mT4_P12ihipStream_tbEUlT_E_NS1_11comp_targetILNS1_3genE5ELNS1_11target_archE942ELNS1_3gpuE9ELNS1_3repE0EEENS1_30default_config_static_selectorELNS0_4arch9wavefront6targetE1EEEvT1_ ; -- Begin function _ZN7rocprim17ROCPRIM_400000_NS6detail17trampoline_kernelINS0_14default_configENS1_35adjacent_difference_config_selectorILb0EjEEZNS1_24adjacent_difference_implIS3_Lb0ELb0EPjS7_N6thrust23THRUST_200600_302600_NS4plusIjEEEE10hipError_tPvRmT2_T3_mT4_P12ihipStream_tbEUlT_E_NS1_11comp_targetILNS1_3genE5ELNS1_11target_archE942ELNS1_3gpuE9ELNS1_3repE0EEENS1_30default_config_static_selectorELNS0_4arch9wavefront6targetE1EEEvT1_
	.globl	_ZN7rocprim17ROCPRIM_400000_NS6detail17trampoline_kernelINS0_14default_configENS1_35adjacent_difference_config_selectorILb0EjEEZNS1_24adjacent_difference_implIS3_Lb0ELb0EPjS7_N6thrust23THRUST_200600_302600_NS4plusIjEEEE10hipError_tPvRmT2_T3_mT4_P12ihipStream_tbEUlT_E_NS1_11comp_targetILNS1_3genE5ELNS1_11target_archE942ELNS1_3gpuE9ELNS1_3repE0EEENS1_30default_config_static_selectorELNS0_4arch9wavefront6targetE1EEEvT1_
	.p2align	8
	.type	_ZN7rocprim17ROCPRIM_400000_NS6detail17trampoline_kernelINS0_14default_configENS1_35adjacent_difference_config_selectorILb0EjEEZNS1_24adjacent_difference_implIS3_Lb0ELb0EPjS7_N6thrust23THRUST_200600_302600_NS4plusIjEEEE10hipError_tPvRmT2_T3_mT4_P12ihipStream_tbEUlT_E_NS1_11comp_targetILNS1_3genE5ELNS1_11target_archE942ELNS1_3gpuE9ELNS1_3repE0EEENS1_30default_config_static_selectorELNS0_4arch9wavefront6targetE1EEEvT1_,@function
_ZN7rocprim17ROCPRIM_400000_NS6detail17trampoline_kernelINS0_14default_configENS1_35adjacent_difference_config_selectorILb0EjEEZNS1_24adjacent_difference_implIS3_Lb0ELb0EPjS7_N6thrust23THRUST_200600_302600_NS4plusIjEEEE10hipError_tPvRmT2_T3_mT4_P12ihipStream_tbEUlT_E_NS1_11comp_targetILNS1_3genE5ELNS1_11target_archE942ELNS1_3gpuE9ELNS1_3repE0EEENS1_30default_config_static_selectorELNS0_4arch9wavefront6targetE1EEEvT1_: ; @_ZN7rocprim17ROCPRIM_400000_NS6detail17trampoline_kernelINS0_14default_configENS1_35adjacent_difference_config_selectorILb0EjEEZNS1_24adjacent_difference_implIS3_Lb0ELb0EPjS7_N6thrust23THRUST_200600_302600_NS4plusIjEEEE10hipError_tPvRmT2_T3_mT4_P12ihipStream_tbEUlT_E_NS1_11comp_targetILNS1_3genE5ELNS1_11target_archE942ELNS1_3gpuE9ELNS1_3repE0EEENS1_30default_config_static_selectorELNS0_4arch9wavefront6targetE1EEEvT1_
; %bb.0:
	.section	.rodata,"a",@progbits
	.p2align	6, 0x0
	.amdhsa_kernel _ZN7rocprim17ROCPRIM_400000_NS6detail17trampoline_kernelINS0_14default_configENS1_35adjacent_difference_config_selectorILb0EjEEZNS1_24adjacent_difference_implIS3_Lb0ELb0EPjS7_N6thrust23THRUST_200600_302600_NS4plusIjEEEE10hipError_tPvRmT2_T3_mT4_P12ihipStream_tbEUlT_E_NS1_11comp_targetILNS1_3genE5ELNS1_11target_archE942ELNS1_3gpuE9ELNS1_3repE0EEENS1_30default_config_static_selectorELNS0_4arch9wavefront6targetE1EEEvT1_
		.amdhsa_group_segment_fixed_size 0
		.amdhsa_private_segment_fixed_size 0
		.amdhsa_kernarg_size 56
		.amdhsa_user_sgpr_count 6
		.amdhsa_user_sgpr_private_segment_buffer 1
		.amdhsa_user_sgpr_dispatch_ptr 0
		.amdhsa_user_sgpr_queue_ptr 0
		.amdhsa_user_sgpr_kernarg_segment_ptr 1
		.amdhsa_user_sgpr_dispatch_id 0
		.amdhsa_user_sgpr_flat_scratch_init 0
		.amdhsa_user_sgpr_kernarg_preload_length 0
		.amdhsa_user_sgpr_kernarg_preload_offset 0
		.amdhsa_user_sgpr_private_segment_size 0
		.amdhsa_uses_dynamic_stack 0
		.amdhsa_system_sgpr_private_segment_wavefront_offset 0
		.amdhsa_system_sgpr_workgroup_id_x 1
		.amdhsa_system_sgpr_workgroup_id_y 0
		.amdhsa_system_sgpr_workgroup_id_z 0
		.amdhsa_system_sgpr_workgroup_info 0
		.amdhsa_system_vgpr_workitem_id 0
		.amdhsa_next_free_vgpr 1
		.amdhsa_next_free_sgpr 0
		.amdhsa_accum_offset 4
		.amdhsa_reserve_vcc 0
		.amdhsa_reserve_flat_scratch 0
		.amdhsa_float_round_mode_32 0
		.amdhsa_float_round_mode_16_64 0
		.amdhsa_float_denorm_mode_32 3
		.amdhsa_float_denorm_mode_16_64 3
		.amdhsa_dx10_clamp 1
		.amdhsa_ieee_mode 1
		.amdhsa_fp16_overflow 0
		.amdhsa_tg_split 0
		.amdhsa_exception_fp_ieee_invalid_op 0
		.amdhsa_exception_fp_denorm_src 0
		.amdhsa_exception_fp_ieee_div_zero 0
		.amdhsa_exception_fp_ieee_overflow 0
		.amdhsa_exception_fp_ieee_underflow 0
		.amdhsa_exception_fp_ieee_inexact 0
		.amdhsa_exception_int_div_zero 0
	.end_amdhsa_kernel
	.section	.text._ZN7rocprim17ROCPRIM_400000_NS6detail17trampoline_kernelINS0_14default_configENS1_35adjacent_difference_config_selectorILb0EjEEZNS1_24adjacent_difference_implIS3_Lb0ELb0EPjS7_N6thrust23THRUST_200600_302600_NS4plusIjEEEE10hipError_tPvRmT2_T3_mT4_P12ihipStream_tbEUlT_E_NS1_11comp_targetILNS1_3genE5ELNS1_11target_archE942ELNS1_3gpuE9ELNS1_3repE0EEENS1_30default_config_static_selectorELNS0_4arch9wavefront6targetE1EEEvT1_,"axG",@progbits,_ZN7rocprim17ROCPRIM_400000_NS6detail17trampoline_kernelINS0_14default_configENS1_35adjacent_difference_config_selectorILb0EjEEZNS1_24adjacent_difference_implIS3_Lb0ELb0EPjS7_N6thrust23THRUST_200600_302600_NS4plusIjEEEE10hipError_tPvRmT2_T3_mT4_P12ihipStream_tbEUlT_E_NS1_11comp_targetILNS1_3genE5ELNS1_11target_archE942ELNS1_3gpuE9ELNS1_3repE0EEENS1_30default_config_static_selectorELNS0_4arch9wavefront6targetE1EEEvT1_,comdat
.Lfunc_end392:
	.size	_ZN7rocprim17ROCPRIM_400000_NS6detail17trampoline_kernelINS0_14default_configENS1_35adjacent_difference_config_selectorILb0EjEEZNS1_24adjacent_difference_implIS3_Lb0ELb0EPjS7_N6thrust23THRUST_200600_302600_NS4plusIjEEEE10hipError_tPvRmT2_T3_mT4_P12ihipStream_tbEUlT_E_NS1_11comp_targetILNS1_3genE5ELNS1_11target_archE942ELNS1_3gpuE9ELNS1_3repE0EEENS1_30default_config_static_selectorELNS0_4arch9wavefront6targetE1EEEvT1_, .Lfunc_end392-_ZN7rocprim17ROCPRIM_400000_NS6detail17trampoline_kernelINS0_14default_configENS1_35adjacent_difference_config_selectorILb0EjEEZNS1_24adjacent_difference_implIS3_Lb0ELb0EPjS7_N6thrust23THRUST_200600_302600_NS4plusIjEEEE10hipError_tPvRmT2_T3_mT4_P12ihipStream_tbEUlT_E_NS1_11comp_targetILNS1_3genE5ELNS1_11target_archE942ELNS1_3gpuE9ELNS1_3repE0EEENS1_30default_config_static_selectorELNS0_4arch9wavefront6targetE1EEEvT1_
                                        ; -- End function
	.section	.AMDGPU.csdata,"",@progbits
; Kernel info:
; codeLenInByte = 0
; NumSgprs: 4
; NumVgprs: 0
; NumAgprs: 0
; TotalNumVgprs: 0
; ScratchSize: 0
; MemoryBound: 0
; FloatMode: 240
; IeeeMode: 1
; LDSByteSize: 0 bytes/workgroup (compile time only)
; SGPRBlocks: 0
; VGPRBlocks: 0
; NumSGPRsForWavesPerEU: 4
; NumVGPRsForWavesPerEU: 1
; AccumOffset: 4
; Occupancy: 8
; WaveLimiterHint : 0
; COMPUTE_PGM_RSRC2:SCRATCH_EN: 0
; COMPUTE_PGM_RSRC2:USER_SGPR: 6
; COMPUTE_PGM_RSRC2:TRAP_HANDLER: 0
; COMPUTE_PGM_RSRC2:TGID_X_EN: 1
; COMPUTE_PGM_RSRC2:TGID_Y_EN: 0
; COMPUTE_PGM_RSRC2:TGID_Z_EN: 0
; COMPUTE_PGM_RSRC2:TIDIG_COMP_CNT: 0
; COMPUTE_PGM_RSRC3_GFX90A:ACCUM_OFFSET: 0
; COMPUTE_PGM_RSRC3_GFX90A:TG_SPLIT: 0
	.section	.text._ZN7rocprim17ROCPRIM_400000_NS6detail17trampoline_kernelINS0_14default_configENS1_35adjacent_difference_config_selectorILb0EjEEZNS1_24adjacent_difference_implIS3_Lb0ELb0EPjS7_N6thrust23THRUST_200600_302600_NS4plusIjEEEE10hipError_tPvRmT2_T3_mT4_P12ihipStream_tbEUlT_E_NS1_11comp_targetILNS1_3genE4ELNS1_11target_archE910ELNS1_3gpuE8ELNS1_3repE0EEENS1_30default_config_static_selectorELNS0_4arch9wavefront6targetE1EEEvT1_,"axG",@progbits,_ZN7rocprim17ROCPRIM_400000_NS6detail17trampoline_kernelINS0_14default_configENS1_35adjacent_difference_config_selectorILb0EjEEZNS1_24adjacent_difference_implIS3_Lb0ELb0EPjS7_N6thrust23THRUST_200600_302600_NS4plusIjEEEE10hipError_tPvRmT2_T3_mT4_P12ihipStream_tbEUlT_E_NS1_11comp_targetILNS1_3genE4ELNS1_11target_archE910ELNS1_3gpuE8ELNS1_3repE0EEENS1_30default_config_static_selectorELNS0_4arch9wavefront6targetE1EEEvT1_,comdat
	.protected	_ZN7rocprim17ROCPRIM_400000_NS6detail17trampoline_kernelINS0_14default_configENS1_35adjacent_difference_config_selectorILb0EjEEZNS1_24adjacent_difference_implIS3_Lb0ELb0EPjS7_N6thrust23THRUST_200600_302600_NS4plusIjEEEE10hipError_tPvRmT2_T3_mT4_P12ihipStream_tbEUlT_E_NS1_11comp_targetILNS1_3genE4ELNS1_11target_archE910ELNS1_3gpuE8ELNS1_3repE0EEENS1_30default_config_static_selectorELNS0_4arch9wavefront6targetE1EEEvT1_ ; -- Begin function _ZN7rocprim17ROCPRIM_400000_NS6detail17trampoline_kernelINS0_14default_configENS1_35adjacent_difference_config_selectorILb0EjEEZNS1_24adjacent_difference_implIS3_Lb0ELb0EPjS7_N6thrust23THRUST_200600_302600_NS4plusIjEEEE10hipError_tPvRmT2_T3_mT4_P12ihipStream_tbEUlT_E_NS1_11comp_targetILNS1_3genE4ELNS1_11target_archE910ELNS1_3gpuE8ELNS1_3repE0EEENS1_30default_config_static_selectorELNS0_4arch9wavefront6targetE1EEEvT1_
	.globl	_ZN7rocprim17ROCPRIM_400000_NS6detail17trampoline_kernelINS0_14default_configENS1_35adjacent_difference_config_selectorILb0EjEEZNS1_24adjacent_difference_implIS3_Lb0ELb0EPjS7_N6thrust23THRUST_200600_302600_NS4plusIjEEEE10hipError_tPvRmT2_T3_mT4_P12ihipStream_tbEUlT_E_NS1_11comp_targetILNS1_3genE4ELNS1_11target_archE910ELNS1_3gpuE8ELNS1_3repE0EEENS1_30default_config_static_selectorELNS0_4arch9wavefront6targetE1EEEvT1_
	.p2align	8
	.type	_ZN7rocprim17ROCPRIM_400000_NS6detail17trampoline_kernelINS0_14default_configENS1_35adjacent_difference_config_selectorILb0EjEEZNS1_24adjacent_difference_implIS3_Lb0ELb0EPjS7_N6thrust23THRUST_200600_302600_NS4plusIjEEEE10hipError_tPvRmT2_T3_mT4_P12ihipStream_tbEUlT_E_NS1_11comp_targetILNS1_3genE4ELNS1_11target_archE910ELNS1_3gpuE8ELNS1_3repE0EEENS1_30default_config_static_selectorELNS0_4arch9wavefront6targetE1EEEvT1_,@function
_ZN7rocprim17ROCPRIM_400000_NS6detail17trampoline_kernelINS0_14default_configENS1_35adjacent_difference_config_selectorILb0EjEEZNS1_24adjacent_difference_implIS3_Lb0ELb0EPjS7_N6thrust23THRUST_200600_302600_NS4plusIjEEEE10hipError_tPvRmT2_T3_mT4_P12ihipStream_tbEUlT_E_NS1_11comp_targetILNS1_3genE4ELNS1_11target_archE910ELNS1_3gpuE8ELNS1_3repE0EEENS1_30default_config_static_selectorELNS0_4arch9wavefront6targetE1EEEvT1_: ; @_ZN7rocprim17ROCPRIM_400000_NS6detail17trampoline_kernelINS0_14default_configENS1_35adjacent_difference_config_selectorILb0EjEEZNS1_24adjacent_difference_implIS3_Lb0ELb0EPjS7_N6thrust23THRUST_200600_302600_NS4plusIjEEEE10hipError_tPvRmT2_T3_mT4_P12ihipStream_tbEUlT_E_NS1_11comp_targetILNS1_3genE4ELNS1_11target_archE910ELNS1_3gpuE8ELNS1_3repE0EEENS1_30default_config_static_selectorELNS0_4arch9wavefront6targetE1EEEvT1_
; %bb.0:
	s_load_dwordx8 s[8:15], s[4:5], 0x0
	s_mov_b32 s2, 0x59999780
	s_movk_i32 s7, 0xa00
	s_load_dwordx2 s[0:1], s[4:5], 0x30
	s_mul_i32 s4, s6, 0xa00
	s_waitcnt lgkmcnt(0)
	s_lshl_b64 s[10:11], s[10:11], 2
	s_add_u32 s20, s8, s10
	s_addc_u32 s21, s9, s11
	s_add_u32 s2, 0xe0, s2
	s_addc_u32 s8, 0, 0
	v_add_co_u32_e64 v1, s[2:3], s2, 2.0
	s_cmp_lg_u64 s[2:3], 0
	s_addc_u32 s2, s8, 0x199999
	v_readfirstlane_b32 s8, v1
	s_mul_hi_u32 s9, s8, 0xfffff600
	s_mul_i32 s3, s2, 0xfffff600
	s_sub_i32 s9, s9, s8
	s_add_i32 s9, s9, s3
	s_mul_i32 s17, s8, 0xfffff600
	s_mul_hi_u32 s3, s8, s9
	s_mul_i32 s16, s8, s9
	s_mul_hi_u32 s8, s8, s17
	s_add_u32 s8, s8, s16
	s_addc_u32 s3, 0, s3
	s_mul_hi_u32 s18, s2, s17
	s_mul_i32 s17, s2, s17
	s_add_u32 s8, s8, s17
	s_mul_hi_u32 s16, s2, s9
	s_addc_u32 s3, s3, s18
	s_addc_u32 s8, s16, 0
	s_mul_i32 s9, s2, s9
	s_add_u32 s3, s3, s9
	s_addc_u32 s8, 0, s8
	v_add_co_u32_e32 v1, vcc, s3, v1
	s_cmp_lg_u64 vcc, 0
	s_addc_u32 s2, s2, s8
	v_readfirstlane_b32 s9, v1
	s_mul_i32 s8, s14, s2
	s_mul_hi_u32 s16, s14, s9
	s_mul_hi_u32 s3, s14, s2
	s_add_u32 s8, s16, s8
	s_addc_u32 s3, 0, s3
	s_mul_hi_u32 s17, s15, s9
	s_mul_i32 s9, s15, s9
	s_add_u32 s8, s8, s9
	s_mul_hi_u32 s16, s15, s2
	s_addc_u32 s3, s3, s17
	s_addc_u32 s8, s16, 0
	s_mul_i32 s2, s15, s2
	s_add_u32 s2, s3, s2
	s_addc_u32 s3, 0, s8
	s_add_u32 s8, s2, 1
	s_addc_u32 s9, s3, 0
	s_add_u32 s16, s2, 2
	s_mul_i32 s18, s3, 0xa00
	s_mul_hi_u32 s19, s2, 0xa00
	s_addc_u32 s17, s3, 0
	s_add_i32 s19, s19, s18
	s_mul_i32 s18, s2, 0xa00
	v_mov_b32_e32 v1, s18
	v_sub_co_u32_e32 v1, vcc, s14, v1
	s_cmp_lg_u64 vcc, 0
	s_subb_u32 s18, s15, s19
	v_subrev_co_u32_e32 v2, vcc, s7, v1
	s_cmp_lg_u64 vcc, 0
	s_subb_u32 s7, s18, 0
	v_readfirstlane_b32 s19, v2
	s_cmpk_gt_u32 s19, 0x9ff
	s_cselect_b32 s19, -1, 0
	s_cmp_eq_u32 s7, 0
	s_cselect_b32 s7, s19, -1
	s_cmp_lg_u32 s7, 0
	s_cselect_b32 s7, s16, s8
	s_cselect_b32 s8, s17, s9
	v_readfirstlane_b32 s9, v1
	s_cmpk_gt_u32 s9, 0x9ff
	s_cselect_b32 s9, -1, 0
	s_cmp_eq_u32 s18, 0
	s_cselect_b32 s9, s9, -1
	s_cmp_lg_u32 s9, 0
	s_cselect_b32 s8, s8, s3
	s_cselect_b32 s7, s7, s2
	s_mul_i32 s2, s8, 0xa00
	s_mul_hi_u32 s3, s7, 0xa00
	s_add_i32 s3, s3, s2
	s_mul_i32 s2, s7, 0xa00
	s_sub_u32 s2, s14, s2
	s_subb_u32 s3, s15, s3
	s_cmp_lg_u64 s[2:3], 0
	s_cselect_b64 s[2:3], -1, 0
	v_cndmask_b32_e64 v1, 0, 1, s[2:3]
	v_readfirstlane_b32 s2, v1
	s_add_u32 s2, s7, s2
	s_addc_u32 s3, s8, 0
	s_add_u32 s6, s0, s6
	s_addc_u32 s7, s1, 0
	s_add_u32 s8, s2, -1
	s_addc_u32 s9, s3, -1
	v_pk_mov_b32 v[2:3], s[8:9], s[8:9] op_sel:[0,1]
	v_cmp_ge_u64_e64 s[0:1], s[6:7], v[2:3]
	s_mov_b32 s5, 0
	s_mov_b64 s[16:17], -1
	s_and_b64 vcc, exec, s[0:1]
	s_mul_i32 s15, s8, 0xfffff600
	s_cbranch_vccz .LBB393_12
; %bb.1:
	s_add_i32 s22, s15, s14
	s_lshl_b64 s[16:17], s[4:5], 2
	s_add_u32 s16, s20, s16
	s_addc_u32 s17, s21, s17
	v_cmp_gt_u32_e32 vcc, s22, v0
                                        ; implicit-def: $vgpr2_vgpr3_vgpr4_vgpr5_vgpr6
	s_and_saveexec_b64 s[18:19], vcc
	s_cbranch_execz .LBB393_3
; %bb.2:
	v_lshlrev_b32_e32 v1, 2, v0
	global_load_dword v2, v1, s[16:17]
.LBB393_3:
	s_or_b64 exec, exec, s[18:19]
	v_or_b32_e32 v1, 0x200, v0
	v_cmp_gt_u32_e32 vcc, s22, v1
	s_and_saveexec_b64 s[18:19], vcc
	s_cbranch_execz .LBB393_5
; %bb.4:
	v_lshlrev_b32_e32 v1, 2, v0
	global_load_dword v3, v1, s[16:17] offset:2048
.LBB393_5:
	s_or_b64 exec, exec, s[18:19]
	v_or_b32_e32 v1, 0x400, v0
	v_cmp_gt_u32_e32 vcc, s22, v1
	s_and_saveexec_b64 s[18:19], vcc
	s_cbranch_execz .LBB393_7
; %bb.6:
	v_lshlrev_b32_e32 v1, 2, v1
	global_load_dword v4, v1, s[16:17]
.LBB393_7:
	s_or_b64 exec, exec, s[18:19]
	v_or_b32_e32 v1, 0x600, v0
	v_cmp_gt_u32_e32 vcc, s22, v1
	s_and_saveexec_b64 s[18:19], vcc
	s_cbranch_execz .LBB393_9
; %bb.8:
	v_lshlrev_b32_e32 v1, 2, v1
	global_load_dword v5, v1, s[16:17]
.LBB393_9:
	s_or_b64 exec, exec, s[18:19]
	v_or_b32_e32 v1, 0x800, v0
	v_cmp_gt_u32_e32 vcc, s22, v1
	s_and_saveexec_b64 s[18:19], vcc
	s_cbranch_execz .LBB393_11
; %bb.10:
	v_lshlrev_b32_e32 v1, 2, v1
	global_load_dword v6, v1, s[16:17]
.LBB393_11:
	s_or_b64 exec, exec, s[18:19]
	v_lshlrev_b32_e32 v1, 2, v0
	s_mov_b64 s[16:17], 0
	s_waitcnt vmcnt(0)
	ds_write2st64_b32 v1, v2, v3 offset1:8
	ds_write2st64_b32 v1, v4, v5 offset0:16 offset1:24
	ds_write_b32 v1, v6 offset:8192
	s_waitcnt lgkmcnt(0)
	s_barrier
.LBB393_12:
	s_and_b64 vcc, exec, s[16:17]
	v_lshlrev_b32_e32 v1, 2, v0
	s_cbranch_vccz .LBB393_14
; %bb.13:
	s_lshl_b64 s[16:17], s[4:5], 2
	s_add_u32 s16, s20, s16
	s_addc_u32 s17, s21, s17
	v_mov_b32_e32 v2, s17
	v_add_co_u32_e32 v4, vcc, s16, v1
	v_addc_co_u32_e32 v5, vcc, 0, v2, vcc
	v_add_co_u32_e32 v2, vcc, 0x1000, v4
	v_addc_co_u32_e32 v3, vcc, 0, v5, vcc
	global_load_dword v6, v1, s[16:17]
	global_load_dword v7, v1, s[16:17] offset:2048
	global_load_dword v8, v[2:3], off
	global_load_dword v9, v[2:3], off offset:2048
	v_add_co_u32_e32 v2, vcc, 0x2000, v4
	v_addc_co_u32_e32 v3, vcc, 0, v5, vcc
	global_load_dword v2, v[2:3], off
	s_waitcnt vmcnt(3)
	ds_write2st64_b32 v1, v6, v7 offset1:8
	s_waitcnt vmcnt(1)
	ds_write2st64_b32 v1, v8, v9 offset0:16 offset1:24
	s_waitcnt vmcnt(0)
	ds_write_b32 v1, v2 offset:8192
	s_waitcnt lgkmcnt(0)
	s_barrier
.LBB393_14:
	v_mul_u32_u24_e32 v2, 5, v0
	v_lshlrev_b32_e32 v3, 2, v2
	ds_read_b32 v2, v3
	ds_read2_b32 v[20:21], v3 offset0:1 offset1:2
	ds_read2_b32 v[22:23], v3 offset0:3 offset1:4
	s_cmp_eq_u64 s[6:7], 0
	s_waitcnt lgkmcnt(0)
	s_barrier
	s_cbranch_scc1 .LBB393_19
; %bb.15:
	s_lshl_b64 s[16:17], s[4:5], 2
	s_add_u32 s5, s20, s16
	s_addc_u32 s17, s21, s17
	s_add_u32 s16, s5, -4
	s_addc_u32 s17, s17, -1
	s_load_dword s5, s[16:17], 0x0
	s_cmp_eq_u64 s[6:7], s[8:9]
	s_cbranch_scc1 .LBB393_20
; %bb.16:
	v_cmp_ne_u32_e32 vcc, 0, v0
	s_waitcnt lgkmcnt(0)
	v_mov_b32_e32 v3, s5
	ds_write_b32 v1, v23
	s_waitcnt lgkmcnt(0)
	s_barrier
	s_and_saveexec_b64 s[8:9], vcc
	s_cbranch_execz .LBB393_18
; %bb.17:
	v_add_u32_e32 v3, -4, v1
	ds_read_b32 v3, v3
.LBB393_18:
	s_or_b64 exec, exec, s[8:9]
	v_add_u32_e32 v8, v23, v22
	v_add_u32_e32 v9, v22, v21
	;; [unrolled: 1-line block ×4, first 2 shown]
	s_cbranch_execz .LBB393_21
	s_branch .LBB393_24
.LBB393_19:
                                        ; implicit-def: $vgpr14_vgpr15_vgpr16_vgpr17_vgpr18
                                        ; implicit-def: $vgpr10_vgpr11_vgpr12_vgpr13_vgpr14
	s_mov_b64 s[6:7], 0
                                        ; implicit-def: $vgpr6_vgpr7_vgpr8_vgpr9_vgpr10
                                        ; implicit-def: $vgpr3
                                        ; implicit-def: $vgpr4_vgpr5_vgpr6_vgpr7_vgpr8
	s_branch .LBB393_25
.LBB393_20:
                                        ; implicit-def: $vgpr14_vgpr15_vgpr16_vgpr17_vgpr18
                                        ; implicit-def: $vgpr10_vgpr11_vgpr12_vgpr13_vgpr14
                                        ; implicit-def: $vgpr3
                                        ; implicit-def: $vgpr6_vgpr7_vgpr8_vgpr9_vgpr10
                                        ; implicit-def: $vgpr4_vgpr5_vgpr6_vgpr7_vgpr8
.LBB393_21:
	s_waitcnt lgkmcnt(0)
	v_mul_u32_u24_e32 v3, 5, v0
	v_cmp_ne_u32_e32 vcc, 0, v0
	v_mov_b32_e32 v4, s5
	ds_write_b32 v1, v23
	s_waitcnt lgkmcnt(0)
	s_barrier
	s_and_saveexec_b64 s[8:9], vcc
	s_cbranch_execz .LBB393_23
; %bb.22:
	v_add_u32_e32 v4, -4, v1
	ds_read_b32 v4, v4
.LBB393_23:
	s_or_b64 exec, exec, s[8:9]
	s_mul_i32 s5, s6, 0xfffff600
	s_add_i32 s5, s5, s14
	v_add_u32_e32 v5, 4, v3
	v_add_u32_e32 v6, v23, v22
	v_cmp_gt_u32_e32 vcc, s5, v5
	v_add_u32_e32 v5, 3, v3
	v_cndmask_b32_e32 v8, v23, v6, vcc
	v_add_u32_e32 v6, v22, v21
	v_cmp_gt_u32_e32 vcc, s5, v5
	v_add_u32_e32 v5, 2, v3
	v_cndmask_b32_e32 v9, v22, v6, vcc
	;; [unrolled: 4-line block ×3, first 2 shown]
	v_add_u32_e32 v6, v20, v2
	v_cmp_gt_u32_e32 vcc, s5, v5
	v_cndmask_b32_e32 v15, v20, v6, vcc
	v_cmp_gt_u32_e32 vcc, s5, v3
	s_waitcnt lgkmcnt(0)
	v_cndmask_b32_e32 v3, 0, v4, vcc
.LBB393_24:
	s_mov_b64 s[6:7], -1
	s_cbranch_execnz .LBB393_33
.LBB393_25:
	s_cmp_lg_u64 s[2:3], 1
	v_add_u32_e32 v9, v22, v21
	v_add_u32_e32 v8, v23, v22
	v_add_u32_e32 v15, v20, v2
	v_add_u32_e32 v12, v21, v20
	v_cmp_ne_u32_e32 vcc, 0, v0
	s_cbranch_scc0 .LBB393_29
; %bb.26:
	ds_write_b32 v1, v23
	s_waitcnt lgkmcnt(0)
	s_barrier
	s_waitcnt lgkmcnt(0)
                                        ; implicit-def: $vgpr3
	s_and_saveexec_b64 s[2:3], vcc
	s_cbranch_execz .LBB393_28
; %bb.27:
	v_add_u32_e32 v3, -4, v1
	ds_read_b32 v3, v3
	s_or_b64 s[6:7], s[6:7], exec
.LBB393_28:
	s_or_b64 exec, exec, s[2:3]
	s_branch .LBB393_33
.LBB393_29:
                                        ; implicit-def: $vgpr3
	s_cbranch_execz .LBB393_33
; %bb.30:
	v_mad_u32_u24 v4, v0, 5, 4
	v_cmp_gt_u32_e32 vcc, s14, v4
	v_mad_u32_u24 v4, v0, 5, 3
	v_cndmask_b32_e32 v8, v23, v8, vcc
	v_cmp_gt_u32_e32 vcc, s14, v4
	v_mad_u32_u24 v4, v0, 5, 2
	v_cndmask_b32_e32 v9, v22, v9, vcc
	v_cmp_gt_u32_e32 vcc, s14, v4
	v_mad_u32_u24 v4, v0, 5, 1
	s_waitcnt lgkmcnt(0)
	v_mul_u32_u24_e32 v3, 5, v0
	v_cndmask_b32_e32 v12, v21, v12, vcc
	v_cmp_gt_u32_e32 vcc, s14, v4
	v_cndmask_b32_e32 v15, v20, v15, vcc
	v_cmp_ne_u32_e32 vcc, 0, v0
	v_cmp_gt_u32_e64 s[2:3], s14, v3
	s_and_b64 s[8:9], vcc, s[2:3]
	ds_write_b32 v1, v23
	s_waitcnt lgkmcnt(0)
	s_barrier
	s_waitcnt lgkmcnt(0)
                                        ; implicit-def: $vgpr3
	s_and_saveexec_b64 s[2:3], s[8:9]
	s_cbranch_execz .LBB393_32
; %bb.31:
	v_add_u32_e32 v3, -4, v1
	ds_read_b32 v3, v3
	s_or_b64 s[6:7], s[6:7], exec
.LBB393_32:
	s_or_b64 exec, exec, s[2:3]
.LBB393_33:
	s_and_saveexec_b64 s[2:3], s[6:7]
	s_cbranch_execz .LBB393_35
; %bb.34:
	s_waitcnt lgkmcnt(0)
	v_add_u32_e32 v2, v3, v2
.LBB393_35:
	s_or_b64 exec, exec, s[2:3]
	s_add_u32 s6, s12, s10
	s_addc_u32 s7, s13, s11
	s_and_b64 vcc, exec, s[0:1]
	s_waitcnt lgkmcnt(0)
	v_mul_u32_u24_e32 v3, 20, v0
	v_lshlrev_b32_e32 v13, 4, v0
	s_barrier
	s_cbranch_vccz .LBB393_45
; %bb.36:
	s_mov_b32 s5, 0
	s_add_i32 s15, s15, s14
	s_lshl_b64 s[0:1], s[4:5], 2
	v_sub_u32_e32 v4, v3, v13
	s_add_u32 s0, s6, s0
	ds_write2_b32 v3, v2, v15 offset1:1
	ds_write2_b32 v3, v12, v9 offset0:2 offset1:3
	ds_write_b32 v3, v8 offset:16
	s_waitcnt lgkmcnt(0)
	s_barrier
	ds_read2st64_b32 v[10:11], v4 offset0:8 offset1:16
	ds_read2st64_b32 v[4:5], v4 offset0:24 offset1:32
	s_addc_u32 s1, s7, s1
	v_mov_b32_e32 v7, s1
	v_add_co_u32_e32 v6, vcc, s0, v1
	v_addc_co_u32_e32 v7, vcc, 0, v7, vcc
	v_cmp_gt_u32_e32 vcc, s15, v0
	s_and_saveexec_b64 s[0:1], vcc
	s_cbranch_execz .LBB393_38
; %bb.37:
	v_sub_u32_e32 v14, 0, v13
	v_add_u32_e32 v14, v3, v14
	ds_read_b32 v14, v14
	s_waitcnt lgkmcnt(0)
	global_store_dword v[6:7], v14, off
.LBB393_38:
	s_or_b64 exec, exec, s[0:1]
	v_or_b32_e32 v14, 0x200, v0
	v_cmp_gt_u32_e32 vcc, s15, v14
	s_and_saveexec_b64 s[0:1], vcc
	s_cbranch_execz .LBB393_40
; %bb.39:
	s_waitcnt lgkmcnt(1)
	global_store_dword v[6:7], v10, off offset:2048
.LBB393_40:
	s_or_b64 exec, exec, s[0:1]
	s_waitcnt lgkmcnt(1)
	v_or_b32_e32 v10, 0x400, v0
	v_cmp_gt_u32_e32 vcc, s15, v10
	s_and_saveexec_b64 s[0:1], vcc
	s_cbranch_execz .LBB393_42
; %bb.41:
	v_add_co_u32_e32 v16, vcc, 0x1000, v6
	v_addc_co_u32_e32 v17, vcc, 0, v7, vcc
	global_store_dword v[16:17], v11, off
.LBB393_42:
	s_or_b64 exec, exec, s[0:1]
	v_or_b32_e32 v10, 0x600, v0
	v_cmp_gt_u32_e32 vcc, s15, v10
	s_and_saveexec_b64 s[0:1], vcc
	s_cbranch_execz .LBB393_44
; %bb.43:
	v_add_co_u32_e32 v10, vcc, 0x1000, v6
	v_addc_co_u32_e32 v11, vcc, 0, v7, vcc
	s_waitcnt lgkmcnt(0)
	global_store_dword v[10:11], v4, off offset:2048
.LBB393_44:
	s_or_b64 exec, exec, s[0:1]
	v_or_b32_e32 v0, 0x800, v0
	v_cmp_gt_u32_e64 s[0:1], s15, v0
	s_branch .LBB393_47
.LBB393_45:
	s_mov_b64 s[0:1], 0
                                        ; implicit-def: $vgpr5
                                        ; implicit-def: $vgpr6_vgpr7
	s_cbranch_execz .LBB393_47
; %bb.46:
	s_mov_b32 s5, 0
	s_lshl_b64 s[2:3], s[4:5], 2
	s_add_u32 s2, s6, s2
	s_addc_u32 s3, s7, s3
	v_sub_u32_e32 v0, v3, v13
	ds_write2_b32 v3, v2, v15 offset1:1
	ds_write2_b32 v3, v12, v9 offset0:2 offset1:3
	ds_write_b32 v3, v8 offset:16
	s_waitcnt lgkmcnt(0)
	s_barrier
	ds_read2st64_b32 v[2:3], v0 offset1:8
	ds_read2st64_b32 v[8:9], v0 offset0:16 offset1:24
	ds_read_b32 v5, v0 offset:8192
	v_mov_b32_e32 v0, s3
	v_add_co_u32_e32 v6, vcc, s2, v1
	v_addc_co_u32_e32 v7, vcc, 0, v0, vcc
	v_add_co_u32_e32 v0, vcc, 0x1000, v6
	s_waitcnt lgkmcnt(2)
	global_store_dword v1, v2, s[2:3]
	global_store_dword v1, v3, s[2:3] offset:2048
	v_addc_co_u32_e32 v1, vcc, 0, v7, vcc
	s_or_b64 s[0:1], s[0:1], exec
	s_waitcnt lgkmcnt(1)
	global_store_dword v[0:1], v8, off
	global_store_dword v[0:1], v9, off offset:2048
.LBB393_47:
	s_and_saveexec_b64 s[2:3], s[0:1]
	s_cbranch_execnz .LBB393_49
; %bb.48:
	s_endpgm
.LBB393_49:
	v_add_co_u32_e32 v0, vcc, 0x2000, v6
	v_addc_co_u32_e32 v1, vcc, 0, v7, vcc
	s_waitcnt lgkmcnt(0)
	global_store_dword v[0:1], v5, off
	s_endpgm
	.section	.rodata,"a",@progbits
	.p2align	6, 0x0
	.amdhsa_kernel _ZN7rocprim17ROCPRIM_400000_NS6detail17trampoline_kernelINS0_14default_configENS1_35adjacent_difference_config_selectorILb0EjEEZNS1_24adjacent_difference_implIS3_Lb0ELb0EPjS7_N6thrust23THRUST_200600_302600_NS4plusIjEEEE10hipError_tPvRmT2_T3_mT4_P12ihipStream_tbEUlT_E_NS1_11comp_targetILNS1_3genE4ELNS1_11target_archE910ELNS1_3gpuE8ELNS1_3repE0EEENS1_30default_config_static_selectorELNS0_4arch9wavefront6targetE1EEEvT1_
		.amdhsa_group_segment_fixed_size 10240
		.amdhsa_private_segment_fixed_size 0
		.amdhsa_kernarg_size 56
		.amdhsa_user_sgpr_count 6
		.amdhsa_user_sgpr_private_segment_buffer 1
		.amdhsa_user_sgpr_dispatch_ptr 0
		.amdhsa_user_sgpr_queue_ptr 0
		.amdhsa_user_sgpr_kernarg_segment_ptr 1
		.amdhsa_user_sgpr_dispatch_id 0
		.amdhsa_user_sgpr_flat_scratch_init 0
		.amdhsa_user_sgpr_kernarg_preload_length 0
		.amdhsa_user_sgpr_kernarg_preload_offset 0
		.amdhsa_user_sgpr_private_segment_size 0
		.amdhsa_uses_dynamic_stack 0
		.amdhsa_system_sgpr_private_segment_wavefront_offset 0
		.amdhsa_system_sgpr_workgroup_id_x 1
		.amdhsa_system_sgpr_workgroup_id_y 0
		.amdhsa_system_sgpr_workgroup_id_z 0
		.amdhsa_system_sgpr_workgroup_info 0
		.amdhsa_system_vgpr_workitem_id 0
		.amdhsa_next_free_vgpr 24
		.amdhsa_next_free_sgpr 23
		.amdhsa_accum_offset 24
		.amdhsa_reserve_vcc 1
		.amdhsa_reserve_flat_scratch 0
		.amdhsa_float_round_mode_32 0
		.amdhsa_float_round_mode_16_64 0
		.amdhsa_float_denorm_mode_32 3
		.amdhsa_float_denorm_mode_16_64 3
		.amdhsa_dx10_clamp 1
		.amdhsa_ieee_mode 1
		.amdhsa_fp16_overflow 0
		.amdhsa_tg_split 0
		.amdhsa_exception_fp_ieee_invalid_op 0
		.amdhsa_exception_fp_denorm_src 0
		.amdhsa_exception_fp_ieee_div_zero 0
		.amdhsa_exception_fp_ieee_overflow 0
		.amdhsa_exception_fp_ieee_underflow 0
		.amdhsa_exception_fp_ieee_inexact 0
		.amdhsa_exception_int_div_zero 0
	.end_amdhsa_kernel
	.section	.text._ZN7rocprim17ROCPRIM_400000_NS6detail17trampoline_kernelINS0_14default_configENS1_35adjacent_difference_config_selectorILb0EjEEZNS1_24adjacent_difference_implIS3_Lb0ELb0EPjS7_N6thrust23THRUST_200600_302600_NS4plusIjEEEE10hipError_tPvRmT2_T3_mT4_P12ihipStream_tbEUlT_E_NS1_11comp_targetILNS1_3genE4ELNS1_11target_archE910ELNS1_3gpuE8ELNS1_3repE0EEENS1_30default_config_static_selectorELNS0_4arch9wavefront6targetE1EEEvT1_,"axG",@progbits,_ZN7rocprim17ROCPRIM_400000_NS6detail17trampoline_kernelINS0_14default_configENS1_35adjacent_difference_config_selectorILb0EjEEZNS1_24adjacent_difference_implIS3_Lb0ELb0EPjS7_N6thrust23THRUST_200600_302600_NS4plusIjEEEE10hipError_tPvRmT2_T3_mT4_P12ihipStream_tbEUlT_E_NS1_11comp_targetILNS1_3genE4ELNS1_11target_archE910ELNS1_3gpuE8ELNS1_3repE0EEENS1_30default_config_static_selectorELNS0_4arch9wavefront6targetE1EEEvT1_,comdat
.Lfunc_end393:
	.size	_ZN7rocprim17ROCPRIM_400000_NS6detail17trampoline_kernelINS0_14default_configENS1_35adjacent_difference_config_selectorILb0EjEEZNS1_24adjacent_difference_implIS3_Lb0ELb0EPjS7_N6thrust23THRUST_200600_302600_NS4plusIjEEEE10hipError_tPvRmT2_T3_mT4_P12ihipStream_tbEUlT_E_NS1_11comp_targetILNS1_3genE4ELNS1_11target_archE910ELNS1_3gpuE8ELNS1_3repE0EEENS1_30default_config_static_selectorELNS0_4arch9wavefront6targetE1EEEvT1_, .Lfunc_end393-_ZN7rocprim17ROCPRIM_400000_NS6detail17trampoline_kernelINS0_14default_configENS1_35adjacent_difference_config_selectorILb0EjEEZNS1_24adjacent_difference_implIS3_Lb0ELb0EPjS7_N6thrust23THRUST_200600_302600_NS4plusIjEEEE10hipError_tPvRmT2_T3_mT4_P12ihipStream_tbEUlT_E_NS1_11comp_targetILNS1_3genE4ELNS1_11target_archE910ELNS1_3gpuE8ELNS1_3repE0EEENS1_30default_config_static_selectorELNS0_4arch9wavefront6targetE1EEEvT1_
                                        ; -- End function
	.section	.AMDGPU.csdata,"",@progbits
; Kernel info:
; codeLenInByte = 1944
; NumSgprs: 27
; NumVgprs: 24
; NumAgprs: 0
; TotalNumVgprs: 24
; ScratchSize: 0
; MemoryBound: 0
; FloatMode: 240
; IeeeMode: 1
; LDSByteSize: 10240 bytes/workgroup (compile time only)
; SGPRBlocks: 3
; VGPRBlocks: 2
; NumSGPRsForWavesPerEU: 27
; NumVGPRsForWavesPerEU: 24
; AccumOffset: 24
; Occupancy: 8
; WaveLimiterHint : 1
; COMPUTE_PGM_RSRC2:SCRATCH_EN: 0
; COMPUTE_PGM_RSRC2:USER_SGPR: 6
; COMPUTE_PGM_RSRC2:TRAP_HANDLER: 0
; COMPUTE_PGM_RSRC2:TGID_X_EN: 1
; COMPUTE_PGM_RSRC2:TGID_Y_EN: 0
; COMPUTE_PGM_RSRC2:TGID_Z_EN: 0
; COMPUTE_PGM_RSRC2:TIDIG_COMP_CNT: 0
; COMPUTE_PGM_RSRC3_GFX90A:ACCUM_OFFSET: 5
; COMPUTE_PGM_RSRC3_GFX90A:TG_SPLIT: 0
	.section	.text._ZN7rocprim17ROCPRIM_400000_NS6detail17trampoline_kernelINS0_14default_configENS1_35adjacent_difference_config_selectorILb0EjEEZNS1_24adjacent_difference_implIS3_Lb0ELb0EPjS7_N6thrust23THRUST_200600_302600_NS4plusIjEEEE10hipError_tPvRmT2_T3_mT4_P12ihipStream_tbEUlT_E_NS1_11comp_targetILNS1_3genE3ELNS1_11target_archE908ELNS1_3gpuE7ELNS1_3repE0EEENS1_30default_config_static_selectorELNS0_4arch9wavefront6targetE1EEEvT1_,"axG",@progbits,_ZN7rocprim17ROCPRIM_400000_NS6detail17trampoline_kernelINS0_14default_configENS1_35adjacent_difference_config_selectorILb0EjEEZNS1_24adjacent_difference_implIS3_Lb0ELb0EPjS7_N6thrust23THRUST_200600_302600_NS4plusIjEEEE10hipError_tPvRmT2_T3_mT4_P12ihipStream_tbEUlT_E_NS1_11comp_targetILNS1_3genE3ELNS1_11target_archE908ELNS1_3gpuE7ELNS1_3repE0EEENS1_30default_config_static_selectorELNS0_4arch9wavefront6targetE1EEEvT1_,comdat
	.protected	_ZN7rocprim17ROCPRIM_400000_NS6detail17trampoline_kernelINS0_14default_configENS1_35adjacent_difference_config_selectorILb0EjEEZNS1_24adjacent_difference_implIS3_Lb0ELb0EPjS7_N6thrust23THRUST_200600_302600_NS4plusIjEEEE10hipError_tPvRmT2_T3_mT4_P12ihipStream_tbEUlT_E_NS1_11comp_targetILNS1_3genE3ELNS1_11target_archE908ELNS1_3gpuE7ELNS1_3repE0EEENS1_30default_config_static_selectorELNS0_4arch9wavefront6targetE1EEEvT1_ ; -- Begin function _ZN7rocprim17ROCPRIM_400000_NS6detail17trampoline_kernelINS0_14default_configENS1_35adjacent_difference_config_selectorILb0EjEEZNS1_24adjacent_difference_implIS3_Lb0ELb0EPjS7_N6thrust23THRUST_200600_302600_NS4plusIjEEEE10hipError_tPvRmT2_T3_mT4_P12ihipStream_tbEUlT_E_NS1_11comp_targetILNS1_3genE3ELNS1_11target_archE908ELNS1_3gpuE7ELNS1_3repE0EEENS1_30default_config_static_selectorELNS0_4arch9wavefront6targetE1EEEvT1_
	.globl	_ZN7rocprim17ROCPRIM_400000_NS6detail17trampoline_kernelINS0_14default_configENS1_35adjacent_difference_config_selectorILb0EjEEZNS1_24adjacent_difference_implIS3_Lb0ELb0EPjS7_N6thrust23THRUST_200600_302600_NS4plusIjEEEE10hipError_tPvRmT2_T3_mT4_P12ihipStream_tbEUlT_E_NS1_11comp_targetILNS1_3genE3ELNS1_11target_archE908ELNS1_3gpuE7ELNS1_3repE0EEENS1_30default_config_static_selectorELNS0_4arch9wavefront6targetE1EEEvT1_
	.p2align	8
	.type	_ZN7rocprim17ROCPRIM_400000_NS6detail17trampoline_kernelINS0_14default_configENS1_35adjacent_difference_config_selectorILb0EjEEZNS1_24adjacent_difference_implIS3_Lb0ELb0EPjS7_N6thrust23THRUST_200600_302600_NS4plusIjEEEE10hipError_tPvRmT2_T3_mT4_P12ihipStream_tbEUlT_E_NS1_11comp_targetILNS1_3genE3ELNS1_11target_archE908ELNS1_3gpuE7ELNS1_3repE0EEENS1_30default_config_static_selectorELNS0_4arch9wavefront6targetE1EEEvT1_,@function
_ZN7rocprim17ROCPRIM_400000_NS6detail17trampoline_kernelINS0_14default_configENS1_35adjacent_difference_config_selectorILb0EjEEZNS1_24adjacent_difference_implIS3_Lb0ELb0EPjS7_N6thrust23THRUST_200600_302600_NS4plusIjEEEE10hipError_tPvRmT2_T3_mT4_P12ihipStream_tbEUlT_E_NS1_11comp_targetILNS1_3genE3ELNS1_11target_archE908ELNS1_3gpuE7ELNS1_3repE0EEENS1_30default_config_static_selectorELNS0_4arch9wavefront6targetE1EEEvT1_: ; @_ZN7rocprim17ROCPRIM_400000_NS6detail17trampoline_kernelINS0_14default_configENS1_35adjacent_difference_config_selectorILb0EjEEZNS1_24adjacent_difference_implIS3_Lb0ELb0EPjS7_N6thrust23THRUST_200600_302600_NS4plusIjEEEE10hipError_tPvRmT2_T3_mT4_P12ihipStream_tbEUlT_E_NS1_11comp_targetILNS1_3genE3ELNS1_11target_archE908ELNS1_3gpuE7ELNS1_3repE0EEENS1_30default_config_static_selectorELNS0_4arch9wavefront6targetE1EEEvT1_
; %bb.0:
	.section	.rodata,"a",@progbits
	.p2align	6, 0x0
	.amdhsa_kernel _ZN7rocprim17ROCPRIM_400000_NS6detail17trampoline_kernelINS0_14default_configENS1_35adjacent_difference_config_selectorILb0EjEEZNS1_24adjacent_difference_implIS3_Lb0ELb0EPjS7_N6thrust23THRUST_200600_302600_NS4plusIjEEEE10hipError_tPvRmT2_T3_mT4_P12ihipStream_tbEUlT_E_NS1_11comp_targetILNS1_3genE3ELNS1_11target_archE908ELNS1_3gpuE7ELNS1_3repE0EEENS1_30default_config_static_selectorELNS0_4arch9wavefront6targetE1EEEvT1_
		.amdhsa_group_segment_fixed_size 0
		.amdhsa_private_segment_fixed_size 0
		.amdhsa_kernarg_size 56
		.amdhsa_user_sgpr_count 6
		.amdhsa_user_sgpr_private_segment_buffer 1
		.amdhsa_user_sgpr_dispatch_ptr 0
		.amdhsa_user_sgpr_queue_ptr 0
		.amdhsa_user_sgpr_kernarg_segment_ptr 1
		.amdhsa_user_sgpr_dispatch_id 0
		.amdhsa_user_sgpr_flat_scratch_init 0
		.amdhsa_user_sgpr_kernarg_preload_length 0
		.amdhsa_user_sgpr_kernarg_preload_offset 0
		.amdhsa_user_sgpr_private_segment_size 0
		.amdhsa_uses_dynamic_stack 0
		.amdhsa_system_sgpr_private_segment_wavefront_offset 0
		.amdhsa_system_sgpr_workgroup_id_x 1
		.amdhsa_system_sgpr_workgroup_id_y 0
		.amdhsa_system_sgpr_workgroup_id_z 0
		.amdhsa_system_sgpr_workgroup_info 0
		.amdhsa_system_vgpr_workitem_id 0
		.amdhsa_next_free_vgpr 1
		.amdhsa_next_free_sgpr 0
		.amdhsa_accum_offset 4
		.amdhsa_reserve_vcc 0
		.amdhsa_reserve_flat_scratch 0
		.amdhsa_float_round_mode_32 0
		.amdhsa_float_round_mode_16_64 0
		.amdhsa_float_denorm_mode_32 3
		.amdhsa_float_denorm_mode_16_64 3
		.amdhsa_dx10_clamp 1
		.amdhsa_ieee_mode 1
		.amdhsa_fp16_overflow 0
		.amdhsa_tg_split 0
		.amdhsa_exception_fp_ieee_invalid_op 0
		.amdhsa_exception_fp_denorm_src 0
		.amdhsa_exception_fp_ieee_div_zero 0
		.amdhsa_exception_fp_ieee_overflow 0
		.amdhsa_exception_fp_ieee_underflow 0
		.amdhsa_exception_fp_ieee_inexact 0
		.amdhsa_exception_int_div_zero 0
	.end_amdhsa_kernel
	.section	.text._ZN7rocprim17ROCPRIM_400000_NS6detail17trampoline_kernelINS0_14default_configENS1_35adjacent_difference_config_selectorILb0EjEEZNS1_24adjacent_difference_implIS3_Lb0ELb0EPjS7_N6thrust23THRUST_200600_302600_NS4plusIjEEEE10hipError_tPvRmT2_T3_mT4_P12ihipStream_tbEUlT_E_NS1_11comp_targetILNS1_3genE3ELNS1_11target_archE908ELNS1_3gpuE7ELNS1_3repE0EEENS1_30default_config_static_selectorELNS0_4arch9wavefront6targetE1EEEvT1_,"axG",@progbits,_ZN7rocprim17ROCPRIM_400000_NS6detail17trampoline_kernelINS0_14default_configENS1_35adjacent_difference_config_selectorILb0EjEEZNS1_24adjacent_difference_implIS3_Lb0ELb0EPjS7_N6thrust23THRUST_200600_302600_NS4plusIjEEEE10hipError_tPvRmT2_T3_mT4_P12ihipStream_tbEUlT_E_NS1_11comp_targetILNS1_3genE3ELNS1_11target_archE908ELNS1_3gpuE7ELNS1_3repE0EEENS1_30default_config_static_selectorELNS0_4arch9wavefront6targetE1EEEvT1_,comdat
.Lfunc_end394:
	.size	_ZN7rocprim17ROCPRIM_400000_NS6detail17trampoline_kernelINS0_14default_configENS1_35adjacent_difference_config_selectorILb0EjEEZNS1_24adjacent_difference_implIS3_Lb0ELb0EPjS7_N6thrust23THRUST_200600_302600_NS4plusIjEEEE10hipError_tPvRmT2_T3_mT4_P12ihipStream_tbEUlT_E_NS1_11comp_targetILNS1_3genE3ELNS1_11target_archE908ELNS1_3gpuE7ELNS1_3repE0EEENS1_30default_config_static_selectorELNS0_4arch9wavefront6targetE1EEEvT1_, .Lfunc_end394-_ZN7rocprim17ROCPRIM_400000_NS6detail17trampoline_kernelINS0_14default_configENS1_35adjacent_difference_config_selectorILb0EjEEZNS1_24adjacent_difference_implIS3_Lb0ELb0EPjS7_N6thrust23THRUST_200600_302600_NS4plusIjEEEE10hipError_tPvRmT2_T3_mT4_P12ihipStream_tbEUlT_E_NS1_11comp_targetILNS1_3genE3ELNS1_11target_archE908ELNS1_3gpuE7ELNS1_3repE0EEENS1_30default_config_static_selectorELNS0_4arch9wavefront6targetE1EEEvT1_
                                        ; -- End function
	.section	.AMDGPU.csdata,"",@progbits
; Kernel info:
; codeLenInByte = 0
; NumSgprs: 4
; NumVgprs: 0
; NumAgprs: 0
; TotalNumVgprs: 0
; ScratchSize: 0
; MemoryBound: 0
; FloatMode: 240
; IeeeMode: 1
; LDSByteSize: 0 bytes/workgroup (compile time only)
; SGPRBlocks: 0
; VGPRBlocks: 0
; NumSGPRsForWavesPerEU: 4
; NumVGPRsForWavesPerEU: 1
; AccumOffset: 4
; Occupancy: 8
; WaveLimiterHint : 0
; COMPUTE_PGM_RSRC2:SCRATCH_EN: 0
; COMPUTE_PGM_RSRC2:USER_SGPR: 6
; COMPUTE_PGM_RSRC2:TRAP_HANDLER: 0
; COMPUTE_PGM_RSRC2:TGID_X_EN: 1
; COMPUTE_PGM_RSRC2:TGID_Y_EN: 0
; COMPUTE_PGM_RSRC2:TGID_Z_EN: 0
; COMPUTE_PGM_RSRC2:TIDIG_COMP_CNT: 0
; COMPUTE_PGM_RSRC3_GFX90A:ACCUM_OFFSET: 0
; COMPUTE_PGM_RSRC3_GFX90A:TG_SPLIT: 0
	.section	.text._ZN7rocprim17ROCPRIM_400000_NS6detail17trampoline_kernelINS0_14default_configENS1_35adjacent_difference_config_selectorILb0EjEEZNS1_24adjacent_difference_implIS3_Lb0ELb0EPjS7_N6thrust23THRUST_200600_302600_NS4plusIjEEEE10hipError_tPvRmT2_T3_mT4_P12ihipStream_tbEUlT_E_NS1_11comp_targetILNS1_3genE2ELNS1_11target_archE906ELNS1_3gpuE6ELNS1_3repE0EEENS1_30default_config_static_selectorELNS0_4arch9wavefront6targetE1EEEvT1_,"axG",@progbits,_ZN7rocprim17ROCPRIM_400000_NS6detail17trampoline_kernelINS0_14default_configENS1_35adjacent_difference_config_selectorILb0EjEEZNS1_24adjacent_difference_implIS3_Lb0ELb0EPjS7_N6thrust23THRUST_200600_302600_NS4plusIjEEEE10hipError_tPvRmT2_T3_mT4_P12ihipStream_tbEUlT_E_NS1_11comp_targetILNS1_3genE2ELNS1_11target_archE906ELNS1_3gpuE6ELNS1_3repE0EEENS1_30default_config_static_selectorELNS0_4arch9wavefront6targetE1EEEvT1_,comdat
	.protected	_ZN7rocprim17ROCPRIM_400000_NS6detail17trampoline_kernelINS0_14default_configENS1_35adjacent_difference_config_selectorILb0EjEEZNS1_24adjacent_difference_implIS3_Lb0ELb0EPjS7_N6thrust23THRUST_200600_302600_NS4plusIjEEEE10hipError_tPvRmT2_T3_mT4_P12ihipStream_tbEUlT_E_NS1_11comp_targetILNS1_3genE2ELNS1_11target_archE906ELNS1_3gpuE6ELNS1_3repE0EEENS1_30default_config_static_selectorELNS0_4arch9wavefront6targetE1EEEvT1_ ; -- Begin function _ZN7rocprim17ROCPRIM_400000_NS6detail17trampoline_kernelINS0_14default_configENS1_35adjacent_difference_config_selectorILb0EjEEZNS1_24adjacent_difference_implIS3_Lb0ELb0EPjS7_N6thrust23THRUST_200600_302600_NS4plusIjEEEE10hipError_tPvRmT2_T3_mT4_P12ihipStream_tbEUlT_E_NS1_11comp_targetILNS1_3genE2ELNS1_11target_archE906ELNS1_3gpuE6ELNS1_3repE0EEENS1_30default_config_static_selectorELNS0_4arch9wavefront6targetE1EEEvT1_
	.globl	_ZN7rocprim17ROCPRIM_400000_NS6detail17trampoline_kernelINS0_14default_configENS1_35adjacent_difference_config_selectorILb0EjEEZNS1_24adjacent_difference_implIS3_Lb0ELb0EPjS7_N6thrust23THRUST_200600_302600_NS4plusIjEEEE10hipError_tPvRmT2_T3_mT4_P12ihipStream_tbEUlT_E_NS1_11comp_targetILNS1_3genE2ELNS1_11target_archE906ELNS1_3gpuE6ELNS1_3repE0EEENS1_30default_config_static_selectorELNS0_4arch9wavefront6targetE1EEEvT1_
	.p2align	8
	.type	_ZN7rocprim17ROCPRIM_400000_NS6detail17trampoline_kernelINS0_14default_configENS1_35adjacent_difference_config_selectorILb0EjEEZNS1_24adjacent_difference_implIS3_Lb0ELb0EPjS7_N6thrust23THRUST_200600_302600_NS4plusIjEEEE10hipError_tPvRmT2_T3_mT4_P12ihipStream_tbEUlT_E_NS1_11comp_targetILNS1_3genE2ELNS1_11target_archE906ELNS1_3gpuE6ELNS1_3repE0EEENS1_30default_config_static_selectorELNS0_4arch9wavefront6targetE1EEEvT1_,@function
_ZN7rocprim17ROCPRIM_400000_NS6detail17trampoline_kernelINS0_14default_configENS1_35adjacent_difference_config_selectorILb0EjEEZNS1_24adjacent_difference_implIS3_Lb0ELb0EPjS7_N6thrust23THRUST_200600_302600_NS4plusIjEEEE10hipError_tPvRmT2_T3_mT4_P12ihipStream_tbEUlT_E_NS1_11comp_targetILNS1_3genE2ELNS1_11target_archE906ELNS1_3gpuE6ELNS1_3repE0EEENS1_30default_config_static_selectorELNS0_4arch9wavefront6targetE1EEEvT1_: ; @_ZN7rocprim17ROCPRIM_400000_NS6detail17trampoline_kernelINS0_14default_configENS1_35adjacent_difference_config_selectorILb0EjEEZNS1_24adjacent_difference_implIS3_Lb0ELb0EPjS7_N6thrust23THRUST_200600_302600_NS4plusIjEEEE10hipError_tPvRmT2_T3_mT4_P12ihipStream_tbEUlT_E_NS1_11comp_targetILNS1_3genE2ELNS1_11target_archE906ELNS1_3gpuE6ELNS1_3repE0EEENS1_30default_config_static_selectorELNS0_4arch9wavefront6targetE1EEEvT1_
; %bb.0:
	.section	.rodata,"a",@progbits
	.p2align	6, 0x0
	.amdhsa_kernel _ZN7rocprim17ROCPRIM_400000_NS6detail17trampoline_kernelINS0_14default_configENS1_35adjacent_difference_config_selectorILb0EjEEZNS1_24adjacent_difference_implIS3_Lb0ELb0EPjS7_N6thrust23THRUST_200600_302600_NS4plusIjEEEE10hipError_tPvRmT2_T3_mT4_P12ihipStream_tbEUlT_E_NS1_11comp_targetILNS1_3genE2ELNS1_11target_archE906ELNS1_3gpuE6ELNS1_3repE0EEENS1_30default_config_static_selectorELNS0_4arch9wavefront6targetE1EEEvT1_
		.amdhsa_group_segment_fixed_size 0
		.amdhsa_private_segment_fixed_size 0
		.amdhsa_kernarg_size 56
		.amdhsa_user_sgpr_count 6
		.amdhsa_user_sgpr_private_segment_buffer 1
		.amdhsa_user_sgpr_dispatch_ptr 0
		.amdhsa_user_sgpr_queue_ptr 0
		.amdhsa_user_sgpr_kernarg_segment_ptr 1
		.amdhsa_user_sgpr_dispatch_id 0
		.amdhsa_user_sgpr_flat_scratch_init 0
		.amdhsa_user_sgpr_kernarg_preload_length 0
		.amdhsa_user_sgpr_kernarg_preload_offset 0
		.amdhsa_user_sgpr_private_segment_size 0
		.amdhsa_uses_dynamic_stack 0
		.amdhsa_system_sgpr_private_segment_wavefront_offset 0
		.amdhsa_system_sgpr_workgroup_id_x 1
		.amdhsa_system_sgpr_workgroup_id_y 0
		.amdhsa_system_sgpr_workgroup_id_z 0
		.amdhsa_system_sgpr_workgroup_info 0
		.amdhsa_system_vgpr_workitem_id 0
		.amdhsa_next_free_vgpr 1
		.amdhsa_next_free_sgpr 0
		.amdhsa_accum_offset 4
		.amdhsa_reserve_vcc 0
		.amdhsa_reserve_flat_scratch 0
		.amdhsa_float_round_mode_32 0
		.amdhsa_float_round_mode_16_64 0
		.amdhsa_float_denorm_mode_32 3
		.amdhsa_float_denorm_mode_16_64 3
		.amdhsa_dx10_clamp 1
		.amdhsa_ieee_mode 1
		.amdhsa_fp16_overflow 0
		.amdhsa_tg_split 0
		.amdhsa_exception_fp_ieee_invalid_op 0
		.amdhsa_exception_fp_denorm_src 0
		.amdhsa_exception_fp_ieee_div_zero 0
		.amdhsa_exception_fp_ieee_overflow 0
		.amdhsa_exception_fp_ieee_underflow 0
		.amdhsa_exception_fp_ieee_inexact 0
		.amdhsa_exception_int_div_zero 0
	.end_amdhsa_kernel
	.section	.text._ZN7rocprim17ROCPRIM_400000_NS6detail17trampoline_kernelINS0_14default_configENS1_35adjacent_difference_config_selectorILb0EjEEZNS1_24adjacent_difference_implIS3_Lb0ELb0EPjS7_N6thrust23THRUST_200600_302600_NS4plusIjEEEE10hipError_tPvRmT2_T3_mT4_P12ihipStream_tbEUlT_E_NS1_11comp_targetILNS1_3genE2ELNS1_11target_archE906ELNS1_3gpuE6ELNS1_3repE0EEENS1_30default_config_static_selectorELNS0_4arch9wavefront6targetE1EEEvT1_,"axG",@progbits,_ZN7rocprim17ROCPRIM_400000_NS6detail17trampoline_kernelINS0_14default_configENS1_35adjacent_difference_config_selectorILb0EjEEZNS1_24adjacent_difference_implIS3_Lb0ELb0EPjS7_N6thrust23THRUST_200600_302600_NS4plusIjEEEE10hipError_tPvRmT2_T3_mT4_P12ihipStream_tbEUlT_E_NS1_11comp_targetILNS1_3genE2ELNS1_11target_archE906ELNS1_3gpuE6ELNS1_3repE0EEENS1_30default_config_static_selectorELNS0_4arch9wavefront6targetE1EEEvT1_,comdat
.Lfunc_end395:
	.size	_ZN7rocprim17ROCPRIM_400000_NS6detail17trampoline_kernelINS0_14default_configENS1_35adjacent_difference_config_selectorILb0EjEEZNS1_24adjacent_difference_implIS3_Lb0ELb0EPjS7_N6thrust23THRUST_200600_302600_NS4plusIjEEEE10hipError_tPvRmT2_T3_mT4_P12ihipStream_tbEUlT_E_NS1_11comp_targetILNS1_3genE2ELNS1_11target_archE906ELNS1_3gpuE6ELNS1_3repE0EEENS1_30default_config_static_selectorELNS0_4arch9wavefront6targetE1EEEvT1_, .Lfunc_end395-_ZN7rocprim17ROCPRIM_400000_NS6detail17trampoline_kernelINS0_14default_configENS1_35adjacent_difference_config_selectorILb0EjEEZNS1_24adjacent_difference_implIS3_Lb0ELb0EPjS7_N6thrust23THRUST_200600_302600_NS4plusIjEEEE10hipError_tPvRmT2_T3_mT4_P12ihipStream_tbEUlT_E_NS1_11comp_targetILNS1_3genE2ELNS1_11target_archE906ELNS1_3gpuE6ELNS1_3repE0EEENS1_30default_config_static_selectorELNS0_4arch9wavefront6targetE1EEEvT1_
                                        ; -- End function
	.section	.AMDGPU.csdata,"",@progbits
; Kernel info:
; codeLenInByte = 0
; NumSgprs: 4
; NumVgprs: 0
; NumAgprs: 0
; TotalNumVgprs: 0
; ScratchSize: 0
; MemoryBound: 0
; FloatMode: 240
; IeeeMode: 1
; LDSByteSize: 0 bytes/workgroup (compile time only)
; SGPRBlocks: 0
; VGPRBlocks: 0
; NumSGPRsForWavesPerEU: 4
; NumVGPRsForWavesPerEU: 1
; AccumOffset: 4
; Occupancy: 8
; WaveLimiterHint : 0
; COMPUTE_PGM_RSRC2:SCRATCH_EN: 0
; COMPUTE_PGM_RSRC2:USER_SGPR: 6
; COMPUTE_PGM_RSRC2:TRAP_HANDLER: 0
; COMPUTE_PGM_RSRC2:TGID_X_EN: 1
; COMPUTE_PGM_RSRC2:TGID_Y_EN: 0
; COMPUTE_PGM_RSRC2:TGID_Z_EN: 0
; COMPUTE_PGM_RSRC2:TIDIG_COMP_CNT: 0
; COMPUTE_PGM_RSRC3_GFX90A:ACCUM_OFFSET: 0
; COMPUTE_PGM_RSRC3_GFX90A:TG_SPLIT: 0
	.section	.text._ZN7rocprim17ROCPRIM_400000_NS6detail17trampoline_kernelINS0_14default_configENS1_35adjacent_difference_config_selectorILb0EjEEZNS1_24adjacent_difference_implIS3_Lb0ELb0EPjS7_N6thrust23THRUST_200600_302600_NS4plusIjEEEE10hipError_tPvRmT2_T3_mT4_P12ihipStream_tbEUlT_E_NS1_11comp_targetILNS1_3genE9ELNS1_11target_archE1100ELNS1_3gpuE3ELNS1_3repE0EEENS1_30default_config_static_selectorELNS0_4arch9wavefront6targetE1EEEvT1_,"axG",@progbits,_ZN7rocprim17ROCPRIM_400000_NS6detail17trampoline_kernelINS0_14default_configENS1_35adjacent_difference_config_selectorILb0EjEEZNS1_24adjacent_difference_implIS3_Lb0ELb0EPjS7_N6thrust23THRUST_200600_302600_NS4plusIjEEEE10hipError_tPvRmT2_T3_mT4_P12ihipStream_tbEUlT_E_NS1_11comp_targetILNS1_3genE9ELNS1_11target_archE1100ELNS1_3gpuE3ELNS1_3repE0EEENS1_30default_config_static_selectorELNS0_4arch9wavefront6targetE1EEEvT1_,comdat
	.protected	_ZN7rocprim17ROCPRIM_400000_NS6detail17trampoline_kernelINS0_14default_configENS1_35adjacent_difference_config_selectorILb0EjEEZNS1_24adjacent_difference_implIS3_Lb0ELb0EPjS7_N6thrust23THRUST_200600_302600_NS4plusIjEEEE10hipError_tPvRmT2_T3_mT4_P12ihipStream_tbEUlT_E_NS1_11comp_targetILNS1_3genE9ELNS1_11target_archE1100ELNS1_3gpuE3ELNS1_3repE0EEENS1_30default_config_static_selectorELNS0_4arch9wavefront6targetE1EEEvT1_ ; -- Begin function _ZN7rocprim17ROCPRIM_400000_NS6detail17trampoline_kernelINS0_14default_configENS1_35adjacent_difference_config_selectorILb0EjEEZNS1_24adjacent_difference_implIS3_Lb0ELb0EPjS7_N6thrust23THRUST_200600_302600_NS4plusIjEEEE10hipError_tPvRmT2_T3_mT4_P12ihipStream_tbEUlT_E_NS1_11comp_targetILNS1_3genE9ELNS1_11target_archE1100ELNS1_3gpuE3ELNS1_3repE0EEENS1_30default_config_static_selectorELNS0_4arch9wavefront6targetE1EEEvT1_
	.globl	_ZN7rocprim17ROCPRIM_400000_NS6detail17trampoline_kernelINS0_14default_configENS1_35adjacent_difference_config_selectorILb0EjEEZNS1_24adjacent_difference_implIS3_Lb0ELb0EPjS7_N6thrust23THRUST_200600_302600_NS4plusIjEEEE10hipError_tPvRmT2_T3_mT4_P12ihipStream_tbEUlT_E_NS1_11comp_targetILNS1_3genE9ELNS1_11target_archE1100ELNS1_3gpuE3ELNS1_3repE0EEENS1_30default_config_static_selectorELNS0_4arch9wavefront6targetE1EEEvT1_
	.p2align	8
	.type	_ZN7rocprim17ROCPRIM_400000_NS6detail17trampoline_kernelINS0_14default_configENS1_35adjacent_difference_config_selectorILb0EjEEZNS1_24adjacent_difference_implIS3_Lb0ELb0EPjS7_N6thrust23THRUST_200600_302600_NS4plusIjEEEE10hipError_tPvRmT2_T3_mT4_P12ihipStream_tbEUlT_E_NS1_11comp_targetILNS1_3genE9ELNS1_11target_archE1100ELNS1_3gpuE3ELNS1_3repE0EEENS1_30default_config_static_selectorELNS0_4arch9wavefront6targetE1EEEvT1_,@function
_ZN7rocprim17ROCPRIM_400000_NS6detail17trampoline_kernelINS0_14default_configENS1_35adjacent_difference_config_selectorILb0EjEEZNS1_24adjacent_difference_implIS3_Lb0ELb0EPjS7_N6thrust23THRUST_200600_302600_NS4plusIjEEEE10hipError_tPvRmT2_T3_mT4_P12ihipStream_tbEUlT_E_NS1_11comp_targetILNS1_3genE9ELNS1_11target_archE1100ELNS1_3gpuE3ELNS1_3repE0EEENS1_30default_config_static_selectorELNS0_4arch9wavefront6targetE1EEEvT1_: ; @_ZN7rocprim17ROCPRIM_400000_NS6detail17trampoline_kernelINS0_14default_configENS1_35adjacent_difference_config_selectorILb0EjEEZNS1_24adjacent_difference_implIS3_Lb0ELb0EPjS7_N6thrust23THRUST_200600_302600_NS4plusIjEEEE10hipError_tPvRmT2_T3_mT4_P12ihipStream_tbEUlT_E_NS1_11comp_targetILNS1_3genE9ELNS1_11target_archE1100ELNS1_3gpuE3ELNS1_3repE0EEENS1_30default_config_static_selectorELNS0_4arch9wavefront6targetE1EEEvT1_
; %bb.0:
	.section	.rodata,"a",@progbits
	.p2align	6, 0x0
	.amdhsa_kernel _ZN7rocprim17ROCPRIM_400000_NS6detail17trampoline_kernelINS0_14default_configENS1_35adjacent_difference_config_selectorILb0EjEEZNS1_24adjacent_difference_implIS3_Lb0ELb0EPjS7_N6thrust23THRUST_200600_302600_NS4plusIjEEEE10hipError_tPvRmT2_T3_mT4_P12ihipStream_tbEUlT_E_NS1_11comp_targetILNS1_3genE9ELNS1_11target_archE1100ELNS1_3gpuE3ELNS1_3repE0EEENS1_30default_config_static_selectorELNS0_4arch9wavefront6targetE1EEEvT1_
		.amdhsa_group_segment_fixed_size 0
		.amdhsa_private_segment_fixed_size 0
		.amdhsa_kernarg_size 56
		.amdhsa_user_sgpr_count 6
		.amdhsa_user_sgpr_private_segment_buffer 1
		.amdhsa_user_sgpr_dispatch_ptr 0
		.amdhsa_user_sgpr_queue_ptr 0
		.amdhsa_user_sgpr_kernarg_segment_ptr 1
		.amdhsa_user_sgpr_dispatch_id 0
		.amdhsa_user_sgpr_flat_scratch_init 0
		.amdhsa_user_sgpr_kernarg_preload_length 0
		.amdhsa_user_sgpr_kernarg_preload_offset 0
		.amdhsa_user_sgpr_private_segment_size 0
		.amdhsa_uses_dynamic_stack 0
		.amdhsa_system_sgpr_private_segment_wavefront_offset 0
		.amdhsa_system_sgpr_workgroup_id_x 1
		.amdhsa_system_sgpr_workgroup_id_y 0
		.amdhsa_system_sgpr_workgroup_id_z 0
		.amdhsa_system_sgpr_workgroup_info 0
		.amdhsa_system_vgpr_workitem_id 0
		.amdhsa_next_free_vgpr 1
		.amdhsa_next_free_sgpr 0
		.amdhsa_accum_offset 4
		.amdhsa_reserve_vcc 0
		.amdhsa_reserve_flat_scratch 0
		.amdhsa_float_round_mode_32 0
		.amdhsa_float_round_mode_16_64 0
		.amdhsa_float_denorm_mode_32 3
		.amdhsa_float_denorm_mode_16_64 3
		.amdhsa_dx10_clamp 1
		.amdhsa_ieee_mode 1
		.amdhsa_fp16_overflow 0
		.amdhsa_tg_split 0
		.amdhsa_exception_fp_ieee_invalid_op 0
		.amdhsa_exception_fp_denorm_src 0
		.amdhsa_exception_fp_ieee_div_zero 0
		.amdhsa_exception_fp_ieee_overflow 0
		.amdhsa_exception_fp_ieee_underflow 0
		.amdhsa_exception_fp_ieee_inexact 0
		.amdhsa_exception_int_div_zero 0
	.end_amdhsa_kernel
	.section	.text._ZN7rocprim17ROCPRIM_400000_NS6detail17trampoline_kernelINS0_14default_configENS1_35adjacent_difference_config_selectorILb0EjEEZNS1_24adjacent_difference_implIS3_Lb0ELb0EPjS7_N6thrust23THRUST_200600_302600_NS4plusIjEEEE10hipError_tPvRmT2_T3_mT4_P12ihipStream_tbEUlT_E_NS1_11comp_targetILNS1_3genE9ELNS1_11target_archE1100ELNS1_3gpuE3ELNS1_3repE0EEENS1_30default_config_static_selectorELNS0_4arch9wavefront6targetE1EEEvT1_,"axG",@progbits,_ZN7rocprim17ROCPRIM_400000_NS6detail17trampoline_kernelINS0_14default_configENS1_35adjacent_difference_config_selectorILb0EjEEZNS1_24adjacent_difference_implIS3_Lb0ELb0EPjS7_N6thrust23THRUST_200600_302600_NS4plusIjEEEE10hipError_tPvRmT2_T3_mT4_P12ihipStream_tbEUlT_E_NS1_11comp_targetILNS1_3genE9ELNS1_11target_archE1100ELNS1_3gpuE3ELNS1_3repE0EEENS1_30default_config_static_selectorELNS0_4arch9wavefront6targetE1EEEvT1_,comdat
.Lfunc_end396:
	.size	_ZN7rocprim17ROCPRIM_400000_NS6detail17trampoline_kernelINS0_14default_configENS1_35adjacent_difference_config_selectorILb0EjEEZNS1_24adjacent_difference_implIS3_Lb0ELb0EPjS7_N6thrust23THRUST_200600_302600_NS4plusIjEEEE10hipError_tPvRmT2_T3_mT4_P12ihipStream_tbEUlT_E_NS1_11comp_targetILNS1_3genE9ELNS1_11target_archE1100ELNS1_3gpuE3ELNS1_3repE0EEENS1_30default_config_static_selectorELNS0_4arch9wavefront6targetE1EEEvT1_, .Lfunc_end396-_ZN7rocprim17ROCPRIM_400000_NS6detail17trampoline_kernelINS0_14default_configENS1_35adjacent_difference_config_selectorILb0EjEEZNS1_24adjacent_difference_implIS3_Lb0ELb0EPjS7_N6thrust23THRUST_200600_302600_NS4plusIjEEEE10hipError_tPvRmT2_T3_mT4_P12ihipStream_tbEUlT_E_NS1_11comp_targetILNS1_3genE9ELNS1_11target_archE1100ELNS1_3gpuE3ELNS1_3repE0EEENS1_30default_config_static_selectorELNS0_4arch9wavefront6targetE1EEEvT1_
                                        ; -- End function
	.section	.AMDGPU.csdata,"",@progbits
; Kernel info:
; codeLenInByte = 0
; NumSgprs: 4
; NumVgprs: 0
; NumAgprs: 0
; TotalNumVgprs: 0
; ScratchSize: 0
; MemoryBound: 0
; FloatMode: 240
; IeeeMode: 1
; LDSByteSize: 0 bytes/workgroup (compile time only)
; SGPRBlocks: 0
; VGPRBlocks: 0
; NumSGPRsForWavesPerEU: 4
; NumVGPRsForWavesPerEU: 1
; AccumOffset: 4
; Occupancy: 8
; WaveLimiterHint : 0
; COMPUTE_PGM_RSRC2:SCRATCH_EN: 0
; COMPUTE_PGM_RSRC2:USER_SGPR: 6
; COMPUTE_PGM_RSRC2:TRAP_HANDLER: 0
; COMPUTE_PGM_RSRC2:TGID_X_EN: 1
; COMPUTE_PGM_RSRC2:TGID_Y_EN: 0
; COMPUTE_PGM_RSRC2:TGID_Z_EN: 0
; COMPUTE_PGM_RSRC2:TIDIG_COMP_CNT: 0
; COMPUTE_PGM_RSRC3_GFX90A:ACCUM_OFFSET: 0
; COMPUTE_PGM_RSRC3_GFX90A:TG_SPLIT: 0
	.section	.text._ZN7rocprim17ROCPRIM_400000_NS6detail17trampoline_kernelINS0_14default_configENS1_35adjacent_difference_config_selectorILb0EjEEZNS1_24adjacent_difference_implIS3_Lb0ELb0EPjS7_N6thrust23THRUST_200600_302600_NS4plusIjEEEE10hipError_tPvRmT2_T3_mT4_P12ihipStream_tbEUlT_E_NS1_11comp_targetILNS1_3genE8ELNS1_11target_archE1030ELNS1_3gpuE2ELNS1_3repE0EEENS1_30default_config_static_selectorELNS0_4arch9wavefront6targetE1EEEvT1_,"axG",@progbits,_ZN7rocprim17ROCPRIM_400000_NS6detail17trampoline_kernelINS0_14default_configENS1_35adjacent_difference_config_selectorILb0EjEEZNS1_24adjacent_difference_implIS3_Lb0ELb0EPjS7_N6thrust23THRUST_200600_302600_NS4plusIjEEEE10hipError_tPvRmT2_T3_mT4_P12ihipStream_tbEUlT_E_NS1_11comp_targetILNS1_3genE8ELNS1_11target_archE1030ELNS1_3gpuE2ELNS1_3repE0EEENS1_30default_config_static_selectorELNS0_4arch9wavefront6targetE1EEEvT1_,comdat
	.protected	_ZN7rocprim17ROCPRIM_400000_NS6detail17trampoline_kernelINS0_14default_configENS1_35adjacent_difference_config_selectorILb0EjEEZNS1_24adjacent_difference_implIS3_Lb0ELb0EPjS7_N6thrust23THRUST_200600_302600_NS4plusIjEEEE10hipError_tPvRmT2_T3_mT4_P12ihipStream_tbEUlT_E_NS1_11comp_targetILNS1_3genE8ELNS1_11target_archE1030ELNS1_3gpuE2ELNS1_3repE0EEENS1_30default_config_static_selectorELNS0_4arch9wavefront6targetE1EEEvT1_ ; -- Begin function _ZN7rocprim17ROCPRIM_400000_NS6detail17trampoline_kernelINS0_14default_configENS1_35adjacent_difference_config_selectorILb0EjEEZNS1_24adjacent_difference_implIS3_Lb0ELb0EPjS7_N6thrust23THRUST_200600_302600_NS4plusIjEEEE10hipError_tPvRmT2_T3_mT4_P12ihipStream_tbEUlT_E_NS1_11comp_targetILNS1_3genE8ELNS1_11target_archE1030ELNS1_3gpuE2ELNS1_3repE0EEENS1_30default_config_static_selectorELNS0_4arch9wavefront6targetE1EEEvT1_
	.globl	_ZN7rocprim17ROCPRIM_400000_NS6detail17trampoline_kernelINS0_14default_configENS1_35adjacent_difference_config_selectorILb0EjEEZNS1_24adjacent_difference_implIS3_Lb0ELb0EPjS7_N6thrust23THRUST_200600_302600_NS4plusIjEEEE10hipError_tPvRmT2_T3_mT4_P12ihipStream_tbEUlT_E_NS1_11comp_targetILNS1_3genE8ELNS1_11target_archE1030ELNS1_3gpuE2ELNS1_3repE0EEENS1_30default_config_static_selectorELNS0_4arch9wavefront6targetE1EEEvT1_
	.p2align	8
	.type	_ZN7rocprim17ROCPRIM_400000_NS6detail17trampoline_kernelINS0_14default_configENS1_35adjacent_difference_config_selectorILb0EjEEZNS1_24adjacent_difference_implIS3_Lb0ELb0EPjS7_N6thrust23THRUST_200600_302600_NS4plusIjEEEE10hipError_tPvRmT2_T3_mT4_P12ihipStream_tbEUlT_E_NS1_11comp_targetILNS1_3genE8ELNS1_11target_archE1030ELNS1_3gpuE2ELNS1_3repE0EEENS1_30default_config_static_selectorELNS0_4arch9wavefront6targetE1EEEvT1_,@function
_ZN7rocprim17ROCPRIM_400000_NS6detail17trampoline_kernelINS0_14default_configENS1_35adjacent_difference_config_selectorILb0EjEEZNS1_24adjacent_difference_implIS3_Lb0ELb0EPjS7_N6thrust23THRUST_200600_302600_NS4plusIjEEEE10hipError_tPvRmT2_T3_mT4_P12ihipStream_tbEUlT_E_NS1_11comp_targetILNS1_3genE8ELNS1_11target_archE1030ELNS1_3gpuE2ELNS1_3repE0EEENS1_30default_config_static_selectorELNS0_4arch9wavefront6targetE1EEEvT1_: ; @_ZN7rocprim17ROCPRIM_400000_NS6detail17trampoline_kernelINS0_14default_configENS1_35adjacent_difference_config_selectorILb0EjEEZNS1_24adjacent_difference_implIS3_Lb0ELb0EPjS7_N6thrust23THRUST_200600_302600_NS4plusIjEEEE10hipError_tPvRmT2_T3_mT4_P12ihipStream_tbEUlT_E_NS1_11comp_targetILNS1_3genE8ELNS1_11target_archE1030ELNS1_3gpuE2ELNS1_3repE0EEENS1_30default_config_static_selectorELNS0_4arch9wavefront6targetE1EEEvT1_
; %bb.0:
	.section	.rodata,"a",@progbits
	.p2align	6, 0x0
	.amdhsa_kernel _ZN7rocprim17ROCPRIM_400000_NS6detail17trampoline_kernelINS0_14default_configENS1_35adjacent_difference_config_selectorILb0EjEEZNS1_24adjacent_difference_implIS3_Lb0ELb0EPjS7_N6thrust23THRUST_200600_302600_NS4plusIjEEEE10hipError_tPvRmT2_T3_mT4_P12ihipStream_tbEUlT_E_NS1_11comp_targetILNS1_3genE8ELNS1_11target_archE1030ELNS1_3gpuE2ELNS1_3repE0EEENS1_30default_config_static_selectorELNS0_4arch9wavefront6targetE1EEEvT1_
		.amdhsa_group_segment_fixed_size 0
		.amdhsa_private_segment_fixed_size 0
		.amdhsa_kernarg_size 56
		.amdhsa_user_sgpr_count 6
		.amdhsa_user_sgpr_private_segment_buffer 1
		.amdhsa_user_sgpr_dispatch_ptr 0
		.amdhsa_user_sgpr_queue_ptr 0
		.amdhsa_user_sgpr_kernarg_segment_ptr 1
		.amdhsa_user_sgpr_dispatch_id 0
		.amdhsa_user_sgpr_flat_scratch_init 0
		.amdhsa_user_sgpr_kernarg_preload_length 0
		.amdhsa_user_sgpr_kernarg_preload_offset 0
		.amdhsa_user_sgpr_private_segment_size 0
		.amdhsa_uses_dynamic_stack 0
		.amdhsa_system_sgpr_private_segment_wavefront_offset 0
		.amdhsa_system_sgpr_workgroup_id_x 1
		.amdhsa_system_sgpr_workgroup_id_y 0
		.amdhsa_system_sgpr_workgroup_id_z 0
		.amdhsa_system_sgpr_workgroup_info 0
		.amdhsa_system_vgpr_workitem_id 0
		.amdhsa_next_free_vgpr 1
		.amdhsa_next_free_sgpr 0
		.amdhsa_accum_offset 4
		.amdhsa_reserve_vcc 0
		.amdhsa_reserve_flat_scratch 0
		.amdhsa_float_round_mode_32 0
		.amdhsa_float_round_mode_16_64 0
		.amdhsa_float_denorm_mode_32 3
		.amdhsa_float_denorm_mode_16_64 3
		.amdhsa_dx10_clamp 1
		.amdhsa_ieee_mode 1
		.amdhsa_fp16_overflow 0
		.amdhsa_tg_split 0
		.amdhsa_exception_fp_ieee_invalid_op 0
		.amdhsa_exception_fp_denorm_src 0
		.amdhsa_exception_fp_ieee_div_zero 0
		.amdhsa_exception_fp_ieee_overflow 0
		.amdhsa_exception_fp_ieee_underflow 0
		.amdhsa_exception_fp_ieee_inexact 0
		.amdhsa_exception_int_div_zero 0
	.end_amdhsa_kernel
	.section	.text._ZN7rocprim17ROCPRIM_400000_NS6detail17trampoline_kernelINS0_14default_configENS1_35adjacent_difference_config_selectorILb0EjEEZNS1_24adjacent_difference_implIS3_Lb0ELb0EPjS7_N6thrust23THRUST_200600_302600_NS4plusIjEEEE10hipError_tPvRmT2_T3_mT4_P12ihipStream_tbEUlT_E_NS1_11comp_targetILNS1_3genE8ELNS1_11target_archE1030ELNS1_3gpuE2ELNS1_3repE0EEENS1_30default_config_static_selectorELNS0_4arch9wavefront6targetE1EEEvT1_,"axG",@progbits,_ZN7rocprim17ROCPRIM_400000_NS6detail17trampoline_kernelINS0_14default_configENS1_35adjacent_difference_config_selectorILb0EjEEZNS1_24adjacent_difference_implIS3_Lb0ELb0EPjS7_N6thrust23THRUST_200600_302600_NS4plusIjEEEE10hipError_tPvRmT2_T3_mT4_P12ihipStream_tbEUlT_E_NS1_11comp_targetILNS1_3genE8ELNS1_11target_archE1030ELNS1_3gpuE2ELNS1_3repE0EEENS1_30default_config_static_selectorELNS0_4arch9wavefront6targetE1EEEvT1_,comdat
.Lfunc_end397:
	.size	_ZN7rocprim17ROCPRIM_400000_NS6detail17trampoline_kernelINS0_14default_configENS1_35adjacent_difference_config_selectorILb0EjEEZNS1_24adjacent_difference_implIS3_Lb0ELb0EPjS7_N6thrust23THRUST_200600_302600_NS4plusIjEEEE10hipError_tPvRmT2_T3_mT4_P12ihipStream_tbEUlT_E_NS1_11comp_targetILNS1_3genE8ELNS1_11target_archE1030ELNS1_3gpuE2ELNS1_3repE0EEENS1_30default_config_static_selectorELNS0_4arch9wavefront6targetE1EEEvT1_, .Lfunc_end397-_ZN7rocprim17ROCPRIM_400000_NS6detail17trampoline_kernelINS0_14default_configENS1_35adjacent_difference_config_selectorILb0EjEEZNS1_24adjacent_difference_implIS3_Lb0ELb0EPjS7_N6thrust23THRUST_200600_302600_NS4plusIjEEEE10hipError_tPvRmT2_T3_mT4_P12ihipStream_tbEUlT_E_NS1_11comp_targetILNS1_3genE8ELNS1_11target_archE1030ELNS1_3gpuE2ELNS1_3repE0EEENS1_30default_config_static_selectorELNS0_4arch9wavefront6targetE1EEEvT1_
                                        ; -- End function
	.section	.AMDGPU.csdata,"",@progbits
; Kernel info:
; codeLenInByte = 0
; NumSgprs: 4
; NumVgprs: 0
; NumAgprs: 0
; TotalNumVgprs: 0
; ScratchSize: 0
; MemoryBound: 0
; FloatMode: 240
; IeeeMode: 1
; LDSByteSize: 0 bytes/workgroup (compile time only)
; SGPRBlocks: 0
; VGPRBlocks: 0
; NumSGPRsForWavesPerEU: 4
; NumVGPRsForWavesPerEU: 1
; AccumOffset: 4
; Occupancy: 8
; WaveLimiterHint : 0
; COMPUTE_PGM_RSRC2:SCRATCH_EN: 0
; COMPUTE_PGM_RSRC2:USER_SGPR: 6
; COMPUTE_PGM_RSRC2:TRAP_HANDLER: 0
; COMPUTE_PGM_RSRC2:TGID_X_EN: 1
; COMPUTE_PGM_RSRC2:TGID_Y_EN: 0
; COMPUTE_PGM_RSRC2:TGID_Z_EN: 0
; COMPUTE_PGM_RSRC2:TIDIG_COMP_CNT: 0
; COMPUTE_PGM_RSRC3_GFX90A:ACCUM_OFFSET: 0
; COMPUTE_PGM_RSRC3_GFX90A:TG_SPLIT: 0
	.section	.text._ZN7rocprim17ROCPRIM_400000_NS6detail17trampoline_kernelINS0_14default_configENS1_25transform_config_selectorIjLb0EEEZNS1_14transform_implILb0ES3_S5_NS0_18transform_iteratorINS0_17counting_iteratorImlEEZNS1_24adjacent_difference_implIS3_Lb1ELb0EPjSB_N6thrust23THRUST_200600_302600_NS4plusIjEEEE10hipError_tPvRmT2_T3_mT4_P12ihipStream_tbEUlmE_jEESB_NS0_8identityIvEEEESG_SJ_SK_mSL_SN_bEUlT_E_NS1_11comp_targetILNS1_3genE0ELNS1_11target_archE4294967295ELNS1_3gpuE0ELNS1_3repE0EEENS1_30default_config_static_selectorELNS0_4arch9wavefront6targetE1EEEvT1_,"axG",@progbits,_ZN7rocprim17ROCPRIM_400000_NS6detail17trampoline_kernelINS0_14default_configENS1_25transform_config_selectorIjLb0EEEZNS1_14transform_implILb0ES3_S5_NS0_18transform_iteratorINS0_17counting_iteratorImlEEZNS1_24adjacent_difference_implIS3_Lb1ELb0EPjSB_N6thrust23THRUST_200600_302600_NS4plusIjEEEE10hipError_tPvRmT2_T3_mT4_P12ihipStream_tbEUlmE_jEESB_NS0_8identityIvEEEESG_SJ_SK_mSL_SN_bEUlT_E_NS1_11comp_targetILNS1_3genE0ELNS1_11target_archE4294967295ELNS1_3gpuE0ELNS1_3repE0EEENS1_30default_config_static_selectorELNS0_4arch9wavefront6targetE1EEEvT1_,comdat
	.protected	_ZN7rocprim17ROCPRIM_400000_NS6detail17trampoline_kernelINS0_14default_configENS1_25transform_config_selectorIjLb0EEEZNS1_14transform_implILb0ES3_S5_NS0_18transform_iteratorINS0_17counting_iteratorImlEEZNS1_24adjacent_difference_implIS3_Lb1ELb0EPjSB_N6thrust23THRUST_200600_302600_NS4plusIjEEEE10hipError_tPvRmT2_T3_mT4_P12ihipStream_tbEUlmE_jEESB_NS0_8identityIvEEEESG_SJ_SK_mSL_SN_bEUlT_E_NS1_11comp_targetILNS1_3genE0ELNS1_11target_archE4294967295ELNS1_3gpuE0ELNS1_3repE0EEENS1_30default_config_static_selectorELNS0_4arch9wavefront6targetE1EEEvT1_ ; -- Begin function _ZN7rocprim17ROCPRIM_400000_NS6detail17trampoline_kernelINS0_14default_configENS1_25transform_config_selectorIjLb0EEEZNS1_14transform_implILb0ES3_S5_NS0_18transform_iteratorINS0_17counting_iteratorImlEEZNS1_24adjacent_difference_implIS3_Lb1ELb0EPjSB_N6thrust23THRUST_200600_302600_NS4plusIjEEEE10hipError_tPvRmT2_T3_mT4_P12ihipStream_tbEUlmE_jEESB_NS0_8identityIvEEEESG_SJ_SK_mSL_SN_bEUlT_E_NS1_11comp_targetILNS1_3genE0ELNS1_11target_archE4294967295ELNS1_3gpuE0ELNS1_3repE0EEENS1_30default_config_static_selectorELNS0_4arch9wavefront6targetE1EEEvT1_
	.globl	_ZN7rocprim17ROCPRIM_400000_NS6detail17trampoline_kernelINS0_14default_configENS1_25transform_config_selectorIjLb0EEEZNS1_14transform_implILb0ES3_S5_NS0_18transform_iteratorINS0_17counting_iteratorImlEEZNS1_24adjacent_difference_implIS3_Lb1ELb0EPjSB_N6thrust23THRUST_200600_302600_NS4plusIjEEEE10hipError_tPvRmT2_T3_mT4_P12ihipStream_tbEUlmE_jEESB_NS0_8identityIvEEEESG_SJ_SK_mSL_SN_bEUlT_E_NS1_11comp_targetILNS1_3genE0ELNS1_11target_archE4294967295ELNS1_3gpuE0ELNS1_3repE0EEENS1_30default_config_static_selectorELNS0_4arch9wavefront6targetE1EEEvT1_
	.p2align	8
	.type	_ZN7rocprim17ROCPRIM_400000_NS6detail17trampoline_kernelINS0_14default_configENS1_25transform_config_selectorIjLb0EEEZNS1_14transform_implILb0ES3_S5_NS0_18transform_iteratorINS0_17counting_iteratorImlEEZNS1_24adjacent_difference_implIS3_Lb1ELb0EPjSB_N6thrust23THRUST_200600_302600_NS4plusIjEEEE10hipError_tPvRmT2_T3_mT4_P12ihipStream_tbEUlmE_jEESB_NS0_8identityIvEEEESG_SJ_SK_mSL_SN_bEUlT_E_NS1_11comp_targetILNS1_3genE0ELNS1_11target_archE4294967295ELNS1_3gpuE0ELNS1_3repE0EEENS1_30default_config_static_selectorELNS0_4arch9wavefront6targetE1EEEvT1_,@function
_ZN7rocprim17ROCPRIM_400000_NS6detail17trampoline_kernelINS0_14default_configENS1_25transform_config_selectorIjLb0EEEZNS1_14transform_implILb0ES3_S5_NS0_18transform_iteratorINS0_17counting_iteratorImlEEZNS1_24adjacent_difference_implIS3_Lb1ELb0EPjSB_N6thrust23THRUST_200600_302600_NS4plusIjEEEE10hipError_tPvRmT2_T3_mT4_P12ihipStream_tbEUlmE_jEESB_NS0_8identityIvEEEESG_SJ_SK_mSL_SN_bEUlT_E_NS1_11comp_targetILNS1_3genE0ELNS1_11target_archE4294967295ELNS1_3gpuE0ELNS1_3repE0EEENS1_30default_config_static_selectorELNS0_4arch9wavefront6targetE1EEEvT1_: ; @_ZN7rocprim17ROCPRIM_400000_NS6detail17trampoline_kernelINS0_14default_configENS1_25transform_config_selectorIjLb0EEEZNS1_14transform_implILb0ES3_S5_NS0_18transform_iteratorINS0_17counting_iteratorImlEEZNS1_24adjacent_difference_implIS3_Lb1ELb0EPjSB_N6thrust23THRUST_200600_302600_NS4plusIjEEEE10hipError_tPvRmT2_T3_mT4_P12ihipStream_tbEUlmE_jEESB_NS0_8identityIvEEEESG_SJ_SK_mSL_SN_bEUlT_E_NS1_11comp_targetILNS1_3genE0ELNS1_11target_archE4294967295ELNS1_3gpuE0ELNS1_3repE0EEENS1_30default_config_static_selectorELNS0_4arch9wavefront6targetE1EEEvT1_
; %bb.0:
	.section	.rodata,"a",@progbits
	.p2align	6, 0x0
	.amdhsa_kernel _ZN7rocprim17ROCPRIM_400000_NS6detail17trampoline_kernelINS0_14default_configENS1_25transform_config_selectorIjLb0EEEZNS1_14transform_implILb0ES3_S5_NS0_18transform_iteratorINS0_17counting_iteratorImlEEZNS1_24adjacent_difference_implIS3_Lb1ELb0EPjSB_N6thrust23THRUST_200600_302600_NS4plusIjEEEE10hipError_tPvRmT2_T3_mT4_P12ihipStream_tbEUlmE_jEESB_NS0_8identityIvEEEESG_SJ_SK_mSL_SN_bEUlT_E_NS1_11comp_targetILNS1_3genE0ELNS1_11target_archE4294967295ELNS1_3gpuE0ELNS1_3repE0EEENS1_30default_config_static_selectorELNS0_4arch9wavefront6targetE1EEEvT1_
		.amdhsa_group_segment_fixed_size 0
		.amdhsa_private_segment_fixed_size 0
		.amdhsa_kernarg_size 56
		.amdhsa_user_sgpr_count 6
		.amdhsa_user_sgpr_private_segment_buffer 1
		.amdhsa_user_sgpr_dispatch_ptr 0
		.amdhsa_user_sgpr_queue_ptr 0
		.amdhsa_user_sgpr_kernarg_segment_ptr 1
		.amdhsa_user_sgpr_dispatch_id 0
		.amdhsa_user_sgpr_flat_scratch_init 0
		.amdhsa_user_sgpr_kernarg_preload_length 0
		.amdhsa_user_sgpr_kernarg_preload_offset 0
		.amdhsa_user_sgpr_private_segment_size 0
		.amdhsa_uses_dynamic_stack 0
		.amdhsa_system_sgpr_private_segment_wavefront_offset 0
		.amdhsa_system_sgpr_workgroup_id_x 1
		.amdhsa_system_sgpr_workgroup_id_y 0
		.amdhsa_system_sgpr_workgroup_id_z 0
		.amdhsa_system_sgpr_workgroup_info 0
		.amdhsa_system_vgpr_workitem_id 0
		.amdhsa_next_free_vgpr 1
		.amdhsa_next_free_sgpr 0
		.amdhsa_accum_offset 4
		.amdhsa_reserve_vcc 0
		.amdhsa_reserve_flat_scratch 0
		.amdhsa_float_round_mode_32 0
		.amdhsa_float_round_mode_16_64 0
		.amdhsa_float_denorm_mode_32 3
		.amdhsa_float_denorm_mode_16_64 3
		.amdhsa_dx10_clamp 1
		.amdhsa_ieee_mode 1
		.amdhsa_fp16_overflow 0
		.amdhsa_tg_split 0
		.amdhsa_exception_fp_ieee_invalid_op 0
		.amdhsa_exception_fp_denorm_src 0
		.amdhsa_exception_fp_ieee_div_zero 0
		.amdhsa_exception_fp_ieee_overflow 0
		.amdhsa_exception_fp_ieee_underflow 0
		.amdhsa_exception_fp_ieee_inexact 0
		.amdhsa_exception_int_div_zero 0
	.end_amdhsa_kernel
	.section	.text._ZN7rocprim17ROCPRIM_400000_NS6detail17trampoline_kernelINS0_14default_configENS1_25transform_config_selectorIjLb0EEEZNS1_14transform_implILb0ES3_S5_NS0_18transform_iteratorINS0_17counting_iteratorImlEEZNS1_24adjacent_difference_implIS3_Lb1ELb0EPjSB_N6thrust23THRUST_200600_302600_NS4plusIjEEEE10hipError_tPvRmT2_T3_mT4_P12ihipStream_tbEUlmE_jEESB_NS0_8identityIvEEEESG_SJ_SK_mSL_SN_bEUlT_E_NS1_11comp_targetILNS1_3genE0ELNS1_11target_archE4294967295ELNS1_3gpuE0ELNS1_3repE0EEENS1_30default_config_static_selectorELNS0_4arch9wavefront6targetE1EEEvT1_,"axG",@progbits,_ZN7rocprim17ROCPRIM_400000_NS6detail17trampoline_kernelINS0_14default_configENS1_25transform_config_selectorIjLb0EEEZNS1_14transform_implILb0ES3_S5_NS0_18transform_iteratorINS0_17counting_iteratorImlEEZNS1_24adjacent_difference_implIS3_Lb1ELb0EPjSB_N6thrust23THRUST_200600_302600_NS4plusIjEEEE10hipError_tPvRmT2_T3_mT4_P12ihipStream_tbEUlmE_jEESB_NS0_8identityIvEEEESG_SJ_SK_mSL_SN_bEUlT_E_NS1_11comp_targetILNS1_3genE0ELNS1_11target_archE4294967295ELNS1_3gpuE0ELNS1_3repE0EEENS1_30default_config_static_selectorELNS0_4arch9wavefront6targetE1EEEvT1_,comdat
.Lfunc_end398:
	.size	_ZN7rocprim17ROCPRIM_400000_NS6detail17trampoline_kernelINS0_14default_configENS1_25transform_config_selectorIjLb0EEEZNS1_14transform_implILb0ES3_S5_NS0_18transform_iteratorINS0_17counting_iteratorImlEEZNS1_24adjacent_difference_implIS3_Lb1ELb0EPjSB_N6thrust23THRUST_200600_302600_NS4plusIjEEEE10hipError_tPvRmT2_T3_mT4_P12ihipStream_tbEUlmE_jEESB_NS0_8identityIvEEEESG_SJ_SK_mSL_SN_bEUlT_E_NS1_11comp_targetILNS1_3genE0ELNS1_11target_archE4294967295ELNS1_3gpuE0ELNS1_3repE0EEENS1_30default_config_static_selectorELNS0_4arch9wavefront6targetE1EEEvT1_, .Lfunc_end398-_ZN7rocprim17ROCPRIM_400000_NS6detail17trampoline_kernelINS0_14default_configENS1_25transform_config_selectorIjLb0EEEZNS1_14transform_implILb0ES3_S5_NS0_18transform_iteratorINS0_17counting_iteratorImlEEZNS1_24adjacent_difference_implIS3_Lb1ELb0EPjSB_N6thrust23THRUST_200600_302600_NS4plusIjEEEE10hipError_tPvRmT2_T3_mT4_P12ihipStream_tbEUlmE_jEESB_NS0_8identityIvEEEESG_SJ_SK_mSL_SN_bEUlT_E_NS1_11comp_targetILNS1_3genE0ELNS1_11target_archE4294967295ELNS1_3gpuE0ELNS1_3repE0EEENS1_30default_config_static_selectorELNS0_4arch9wavefront6targetE1EEEvT1_
                                        ; -- End function
	.section	.AMDGPU.csdata,"",@progbits
; Kernel info:
; codeLenInByte = 0
; NumSgprs: 4
; NumVgprs: 0
; NumAgprs: 0
; TotalNumVgprs: 0
; ScratchSize: 0
; MemoryBound: 0
; FloatMode: 240
; IeeeMode: 1
; LDSByteSize: 0 bytes/workgroup (compile time only)
; SGPRBlocks: 0
; VGPRBlocks: 0
; NumSGPRsForWavesPerEU: 4
; NumVGPRsForWavesPerEU: 1
; AccumOffset: 4
; Occupancy: 8
; WaveLimiterHint : 0
; COMPUTE_PGM_RSRC2:SCRATCH_EN: 0
; COMPUTE_PGM_RSRC2:USER_SGPR: 6
; COMPUTE_PGM_RSRC2:TRAP_HANDLER: 0
; COMPUTE_PGM_RSRC2:TGID_X_EN: 1
; COMPUTE_PGM_RSRC2:TGID_Y_EN: 0
; COMPUTE_PGM_RSRC2:TGID_Z_EN: 0
; COMPUTE_PGM_RSRC2:TIDIG_COMP_CNT: 0
; COMPUTE_PGM_RSRC3_GFX90A:ACCUM_OFFSET: 0
; COMPUTE_PGM_RSRC3_GFX90A:TG_SPLIT: 0
	.section	.text._ZN7rocprim17ROCPRIM_400000_NS6detail17trampoline_kernelINS0_14default_configENS1_25transform_config_selectorIjLb0EEEZNS1_14transform_implILb0ES3_S5_NS0_18transform_iteratorINS0_17counting_iteratorImlEEZNS1_24adjacent_difference_implIS3_Lb1ELb0EPjSB_N6thrust23THRUST_200600_302600_NS4plusIjEEEE10hipError_tPvRmT2_T3_mT4_P12ihipStream_tbEUlmE_jEESB_NS0_8identityIvEEEESG_SJ_SK_mSL_SN_bEUlT_E_NS1_11comp_targetILNS1_3genE5ELNS1_11target_archE942ELNS1_3gpuE9ELNS1_3repE0EEENS1_30default_config_static_selectorELNS0_4arch9wavefront6targetE1EEEvT1_,"axG",@progbits,_ZN7rocprim17ROCPRIM_400000_NS6detail17trampoline_kernelINS0_14default_configENS1_25transform_config_selectorIjLb0EEEZNS1_14transform_implILb0ES3_S5_NS0_18transform_iteratorINS0_17counting_iteratorImlEEZNS1_24adjacent_difference_implIS3_Lb1ELb0EPjSB_N6thrust23THRUST_200600_302600_NS4plusIjEEEE10hipError_tPvRmT2_T3_mT4_P12ihipStream_tbEUlmE_jEESB_NS0_8identityIvEEEESG_SJ_SK_mSL_SN_bEUlT_E_NS1_11comp_targetILNS1_3genE5ELNS1_11target_archE942ELNS1_3gpuE9ELNS1_3repE0EEENS1_30default_config_static_selectorELNS0_4arch9wavefront6targetE1EEEvT1_,comdat
	.protected	_ZN7rocprim17ROCPRIM_400000_NS6detail17trampoline_kernelINS0_14default_configENS1_25transform_config_selectorIjLb0EEEZNS1_14transform_implILb0ES3_S5_NS0_18transform_iteratorINS0_17counting_iteratorImlEEZNS1_24adjacent_difference_implIS3_Lb1ELb0EPjSB_N6thrust23THRUST_200600_302600_NS4plusIjEEEE10hipError_tPvRmT2_T3_mT4_P12ihipStream_tbEUlmE_jEESB_NS0_8identityIvEEEESG_SJ_SK_mSL_SN_bEUlT_E_NS1_11comp_targetILNS1_3genE5ELNS1_11target_archE942ELNS1_3gpuE9ELNS1_3repE0EEENS1_30default_config_static_selectorELNS0_4arch9wavefront6targetE1EEEvT1_ ; -- Begin function _ZN7rocprim17ROCPRIM_400000_NS6detail17trampoline_kernelINS0_14default_configENS1_25transform_config_selectorIjLb0EEEZNS1_14transform_implILb0ES3_S5_NS0_18transform_iteratorINS0_17counting_iteratorImlEEZNS1_24adjacent_difference_implIS3_Lb1ELb0EPjSB_N6thrust23THRUST_200600_302600_NS4plusIjEEEE10hipError_tPvRmT2_T3_mT4_P12ihipStream_tbEUlmE_jEESB_NS0_8identityIvEEEESG_SJ_SK_mSL_SN_bEUlT_E_NS1_11comp_targetILNS1_3genE5ELNS1_11target_archE942ELNS1_3gpuE9ELNS1_3repE0EEENS1_30default_config_static_selectorELNS0_4arch9wavefront6targetE1EEEvT1_
	.globl	_ZN7rocprim17ROCPRIM_400000_NS6detail17trampoline_kernelINS0_14default_configENS1_25transform_config_selectorIjLb0EEEZNS1_14transform_implILb0ES3_S5_NS0_18transform_iteratorINS0_17counting_iteratorImlEEZNS1_24adjacent_difference_implIS3_Lb1ELb0EPjSB_N6thrust23THRUST_200600_302600_NS4plusIjEEEE10hipError_tPvRmT2_T3_mT4_P12ihipStream_tbEUlmE_jEESB_NS0_8identityIvEEEESG_SJ_SK_mSL_SN_bEUlT_E_NS1_11comp_targetILNS1_3genE5ELNS1_11target_archE942ELNS1_3gpuE9ELNS1_3repE0EEENS1_30default_config_static_selectorELNS0_4arch9wavefront6targetE1EEEvT1_
	.p2align	8
	.type	_ZN7rocprim17ROCPRIM_400000_NS6detail17trampoline_kernelINS0_14default_configENS1_25transform_config_selectorIjLb0EEEZNS1_14transform_implILb0ES3_S5_NS0_18transform_iteratorINS0_17counting_iteratorImlEEZNS1_24adjacent_difference_implIS3_Lb1ELb0EPjSB_N6thrust23THRUST_200600_302600_NS4plusIjEEEE10hipError_tPvRmT2_T3_mT4_P12ihipStream_tbEUlmE_jEESB_NS0_8identityIvEEEESG_SJ_SK_mSL_SN_bEUlT_E_NS1_11comp_targetILNS1_3genE5ELNS1_11target_archE942ELNS1_3gpuE9ELNS1_3repE0EEENS1_30default_config_static_selectorELNS0_4arch9wavefront6targetE1EEEvT1_,@function
_ZN7rocprim17ROCPRIM_400000_NS6detail17trampoline_kernelINS0_14default_configENS1_25transform_config_selectorIjLb0EEEZNS1_14transform_implILb0ES3_S5_NS0_18transform_iteratorINS0_17counting_iteratorImlEEZNS1_24adjacent_difference_implIS3_Lb1ELb0EPjSB_N6thrust23THRUST_200600_302600_NS4plusIjEEEE10hipError_tPvRmT2_T3_mT4_P12ihipStream_tbEUlmE_jEESB_NS0_8identityIvEEEESG_SJ_SK_mSL_SN_bEUlT_E_NS1_11comp_targetILNS1_3genE5ELNS1_11target_archE942ELNS1_3gpuE9ELNS1_3repE0EEENS1_30default_config_static_selectorELNS0_4arch9wavefront6targetE1EEEvT1_: ; @_ZN7rocprim17ROCPRIM_400000_NS6detail17trampoline_kernelINS0_14default_configENS1_25transform_config_selectorIjLb0EEEZNS1_14transform_implILb0ES3_S5_NS0_18transform_iteratorINS0_17counting_iteratorImlEEZNS1_24adjacent_difference_implIS3_Lb1ELb0EPjSB_N6thrust23THRUST_200600_302600_NS4plusIjEEEE10hipError_tPvRmT2_T3_mT4_P12ihipStream_tbEUlmE_jEESB_NS0_8identityIvEEEESG_SJ_SK_mSL_SN_bEUlT_E_NS1_11comp_targetILNS1_3genE5ELNS1_11target_archE942ELNS1_3gpuE9ELNS1_3repE0EEENS1_30default_config_static_selectorELNS0_4arch9wavefront6targetE1EEEvT1_
; %bb.0:
	.section	.rodata,"a",@progbits
	.p2align	6, 0x0
	.amdhsa_kernel _ZN7rocprim17ROCPRIM_400000_NS6detail17trampoline_kernelINS0_14default_configENS1_25transform_config_selectorIjLb0EEEZNS1_14transform_implILb0ES3_S5_NS0_18transform_iteratorINS0_17counting_iteratorImlEEZNS1_24adjacent_difference_implIS3_Lb1ELb0EPjSB_N6thrust23THRUST_200600_302600_NS4plusIjEEEE10hipError_tPvRmT2_T3_mT4_P12ihipStream_tbEUlmE_jEESB_NS0_8identityIvEEEESG_SJ_SK_mSL_SN_bEUlT_E_NS1_11comp_targetILNS1_3genE5ELNS1_11target_archE942ELNS1_3gpuE9ELNS1_3repE0EEENS1_30default_config_static_selectorELNS0_4arch9wavefront6targetE1EEEvT1_
		.amdhsa_group_segment_fixed_size 0
		.amdhsa_private_segment_fixed_size 0
		.amdhsa_kernarg_size 56
		.amdhsa_user_sgpr_count 6
		.amdhsa_user_sgpr_private_segment_buffer 1
		.amdhsa_user_sgpr_dispatch_ptr 0
		.amdhsa_user_sgpr_queue_ptr 0
		.amdhsa_user_sgpr_kernarg_segment_ptr 1
		.amdhsa_user_sgpr_dispatch_id 0
		.amdhsa_user_sgpr_flat_scratch_init 0
		.amdhsa_user_sgpr_kernarg_preload_length 0
		.amdhsa_user_sgpr_kernarg_preload_offset 0
		.amdhsa_user_sgpr_private_segment_size 0
		.amdhsa_uses_dynamic_stack 0
		.amdhsa_system_sgpr_private_segment_wavefront_offset 0
		.amdhsa_system_sgpr_workgroup_id_x 1
		.amdhsa_system_sgpr_workgroup_id_y 0
		.amdhsa_system_sgpr_workgroup_id_z 0
		.amdhsa_system_sgpr_workgroup_info 0
		.amdhsa_system_vgpr_workitem_id 0
		.amdhsa_next_free_vgpr 1
		.amdhsa_next_free_sgpr 0
		.amdhsa_accum_offset 4
		.amdhsa_reserve_vcc 0
		.amdhsa_reserve_flat_scratch 0
		.amdhsa_float_round_mode_32 0
		.amdhsa_float_round_mode_16_64 0
		.amdhsa_float_denorm_mode_32 3
		.amdhsa_float_denorm_mode_16_64 3
		.amdhsa_dx10_clamp 1
		.amdhsa_ieee_mode 1
		.amdhsa_fp16_overflow 0
		.amdhsa_tg_split 0
		.amdhsa_exception_fp_ieee_invalid_op 0
		.amdhsa_exception_fp_denorm_src 0
		.amdhsa_exception_fp_ieee_div_zero 0
		.amdhsa_exception_fp_ieee_overflow 0
		.amdhsa_exception_fp_ieee_underflow 0
		.amdhsa_exception_fp_ieee_inexact 0
		.amdhsa_exception_int_div_zero 0
	.end_amdhsa_kernel
	.section	.text._ZN7rocprim17ROCPRIM_400000_NS6detail17trampoline_kernelINS0_14default_configENS1_25transform_config_selectorIjLb0EEEZNS1_14transform_implILb0ES3_S5_NS0_18transform_iteratorINS0_17counting_iteratorImlEEZNS1_24adjacent_difference_implIS3_Lb1ELb0EPjSB_N6thrust23THRUST_200600_302600_NS4plusIjEEEE10hipError_tPvRmT2_T3_mT4_P12ihipStream_tbEUlmE_jEESB_NS0_8identityIvEEEESG_SJ_SK_mSL_SN_bEUlT_E_NS1_11comp_targetILNS1_3genE5ELNS1_11target_archE942ELNS1_3gpuE9ELNS1_3repE0EEENS1_30default_config_static_selectorELNS0_4arch9wavefront6targetE1EEEvT1_,"axG",@progbits,_ZN7rocprim17ROCPRIM_400000_NS6detail17trampoline_kernelINS0_14default_configENS1_25transform_config_selectorIjLb0EEEZNS1_14transform_implILb0ES3_S5_NS0_18transform_iteratorINS0_17counting_iteratorImlEEZNS1_24adjacent_difference_implIS3_Lb1ELb0EPjSB_N6thrust23THRUST_200600_302600_NS4plusIjEEEE10hipError_tPvRmT2_T3_mT4_P12ihipStream_tbEUlmE_jEESB_NS0_8identityIvEEEESG_SJ_SK_mSL_SN_bEUlT_E_NS1_11comp_targetILNS1_3genE5ELNS1_11target_archE942ELNS1_3gpuE9ELNS1_3repE0EEENS1_30default_config_static_selectorELNS0_4arch9wavefront6targetE1EEEvT1_,comdat
.Lfunc_end399:
	.size	_ZN7rocprim17ROCPRIM_400000_NS6detail17trampoline_kernelINS0_14default_configENS1_25transform_config_selectorIjLb0EEEZNS1_14transform_implILb0ES3_S5_NS0_18transform_iteratorINS0_17counting_iteratorImlEEZNS1_24adjacent_difference_implIS3_Lb1ELb0EPjSB_N6thrust23THRUST_200600_302600_NS4plusIjEEEE10hipError_tPvRmT2_T3_mT4_P12ihipStream_tbEUlmE_jEESB_NS0_8identityIvEEEESG_SJ_SK_mSL_SN_bEUlT_E_NS1_11comp_targetILNS1_3genE5ELNS1_11target_archE942ELNS1_3gpuE9ELNS1_3repE0EEENS1_30default_config_static_selectorELNS0_4arch9wavefront6targetE1EEEvT1_, .Lfunc_end399-_ZN7rocprim17ROCPRIM_400000_NS6detail17trampoline_kernelINS0_14default_configENS1_25transform_config_selectorIjLb0EEEZNS1_14transform_implILb0ES3_S5_NS0_18transform_iteratorINS0_17counting_iteratorImlEEZNS1_24adjacent_difference_implIS3_Lb1ELb0EPjSB_N6thrust23THRUST_200600_302600_NS4plusIjEEEE10hipError_tPvRmT2_T3_mT4_P12ihipStream_tbEUlmE_jEESB_NS0_8identityIvEEEESG_SJ_SK_mSL_SN_bEUlT_E_NS1_11comp_targetILNS1_3genE5ELNS1_11target_archE942ELNS1_3gpuE9ELNS1_3repE0EEENS1_30default_config_static_selectorELNS0_4arch9wavefront6targetE1EEEvT1_
                                        ; -- End function
	.section	.AMDGPU.csdata,"",@progbits
; Kernel info:
; codeLenInByte = 0
; NumSgprs: 4
; NumVgprs: 0
; NumAgprs: 0
; TotalNumVgprs: 0
; ScratchSize: 0
; MemoryBound: 0
; FloatMode: 240
; IeeeMode: 1
; LDSByteSize: 0 bytes/workgroup (compile time only)
; SGPRBlocks: 0
; VGPRBlocks: 0
; NumSGPRsForWavesPerEU: 4
; NumVGPRsForWavesPerEU: 1
; AccumOffset: 4
; Occupancy: 8
; WaveLimiterHint : 0
; COMPUTE_PGM_RSRC2:SCRATCH_EN: 0
; COMPUTE_PGM_RSRC2:USER_SGPR: 6
; COMPUTE_PGM_RSRC2:TRAP_HANDLER: 0
; COMPUTE_PGM_RSRC2:TGID_X_EN: 1
; COMPUTE_PGM_RSRC2:TGID_Y_EN: 0
; COMPUTE_PGM_RSRC2:TGID_Z_EN: 0
; COMPUTE_PGM_RSRC2:TIDIG_COMP_CNT: 0
; COMPUTE_PGM_RSRC3_GFX90A:ACCUM_OFFSET: 0
; COMPUTE_PGM_RSRC3_GFX90A:TG_SPLIT: 0
	.section	.text._ZN7rocprim17ROCPRIM_400000_NS6detail17trampoline_kernelINS0_14default_configENS1_25transform_config_selectorIjLb0EEEZNS1_14transform_implILb0ES3_S5_NS0_18transform_iteratorINS0_17counting_iteratorImlEEZNS1_24adjacent_difference_implIS3_Lb1ELb0EPjSB_N6thrust23THRUST_200600_302600_NS4plusIjEEEE10hipError_tPvRmT2_T3_mT4_P12ihipStream_tbEUlmE_jEESB_NS0_8identityIvEEEESG_SJ_SK_mSL_SN_bEUlT_E_NS1_11comp_targetILNS1_3genE4ELNS1_11target_archE910ELNS1_3gpuE8ELNS1_3repE0EEENS1_30default_config_static_selectorELNS0_4arch9wavefront6targetE1EEEvT1_,"axG",@progbits,_ZN7rocprim17ROCPRIM_400000_NS6detail17trampoline_kernelINS0_14default_configENS1_25transform_config_selectorIjLb0EEEZNS1_14transform_implILb0ES3_S5_NS0_18transform_iteratorINS0_17counting_iteratorImlEEZNS1_24adjacent_difference_implIS3_Lb1ELb0EPjSB_N6thrust23THRUST_200600_302600_NS4plusIjEEEE10hipError_tPvRmT2_T3_mT4_P12ihipStream_tbEUlmE_jEESB_NS0_8identityIvEEEESG_SJ_SK_mSL_SN_bEUlT_E_NS1_11comp_targetILNS1_3genE4ELNS1_11target_archE910ELNS1_3gpuE8ELNS1_3repE0EEENS1_30default_config_static_selectorELNS0_4arch9wavefront6targetE1EEEvT1_,comdat
	.protected	_ZN7rocprim17ROCPRIM_400000_NS6detail17trampoline_kernelINS0_14default_configENS1_25transform_config_selectorIjLb0EEEZNS1_14transform_implILb0ES3_S5_NS0_18transform_iteratorINS0_17counting_iteratorImlEEZNS1_24adjacent_difference_implIS3_Lb1ELb0EPjSB_N6thrust23THRUST_200600_302600_NS4plusIjEEEE10hipError_tPvRmT2_T3_mT4_P12ihipStream_tbEUlmE_jEESB_NS0_8identityIvEEEESG_SJ_SK_mSL_SN_bEUlT_E_NS1_11comp_targetILNS1_3genE4ELNS1_11target_archE910ELNS1_3gpuE8ELNS1_3repE0EEENS1_30default_config_static_selectorELNS0_4arch9wavefront6targetE1EEEvT1_ ; -- Begin function _ZN7rocprim17ROCPRIM_400000_NS6detail17trampoline_kernelINS0_14default_configENS1_25transform_config_selectorIjLb0EEEZNS1_14transform_implILb0ES3_S5_NS0_18transform_iteratorINS0_17counting_iteratorImlEEZNS1_24adjacent_difference_implIS3_Lb1ELb0EPjSB_N6thrust23THRUST_200600_302600_NS4plusIjEEEE10hipError_tPvRmT2_T3_mT4_P12ihipStream_tbEUlmE_jEESB_NS0_8identityIvEEEESG_SJ_SK_mSL_SN_bEUlT_E_NS1_11comp_targetILNS1_3genE4ELNS1_11target_archE910ELNS1_3gpuE8ELNS1_3repE0EEENS1_30default_config_static_selectorELNS0_4arch9wavefront6targetE1EEEvT1_
	.globl	_ZN7rocprim17ROCPRIM_400000_NS6detail17trampoline_kernelINS0_14default_configENS1_25transform_config_selectorIjLb0EEEZNS1_14transform_implILb0ES3_S5_NS0_18transform_iteratorINS0_17counting_iteratorImlEEZNS1_24adjacent_difference_implIS3_Lb1ELb0EPjSB_N6thrust23THRUST_200600_302600_NS4plusIjEEEE10hipError_tPvRmT2_T3_mT4_P12ihipStream_tbEUlmE_jEESB_NS0_8identityIvEEEESG_SJ_SK_mSL_SN_bEUlT_E_NS1_11comp_targetILNS1_3genE4ELNS1_11target_archE910ELNS1_3gpuE8ELNS1_3repE0EEENS1_30default_config_static_selectorELNS0_4arch9wavefront6targetE1EEEvT1_
	.p2align	8
	.type	_ZN7rocprim17ROCPRIM_400000_NS6detail17trampoline_kernelINS0_14default_configENS1_25transform_config_selectorIjLb0EEEZNS1_14transform_implILb0ES3_S5_NS0_18transform_iteratorINS0_17counting_iteratorImlEEZNS1_24adjacent_difference_implIS3_Lb1ELb0EPjSB_N6thrust23THRUST_200600_302600_NS4plusIjEEEE10hipError_tPvRmT2_T3_mT4_P12ihipStream_tbEUlmE_jEESB_NS0_8identityIvEEEESG_SJ_SK_mSL_SN_bEUlT_E_NS1_11comp_targetILNS1_3genE4ELNS1_11target_archE910ELNS1_3gpuE8ELNS1_3repE0EEENS1_30default_config_static_selectorELNS0_4arch9wavefront6targetE1EEEvT1_,@function
_ZN7rocprim17ROCPRIM_400000_NS6detail17trampoline_kernelINS0_14default_configENS1_25transform_config_selectorIjLb0EEEZNS1_14transform_implILb0ES3_S5_NS0_18transform_iteratorINS0_17counting_iteratorImlEEZNS1_24adjacent_difference_implIS3_Lb1ELb0EPjSB_N6thrust23THRUST_200600_302600_NS4plusIjEEEE10hipError_tPvRmT2_T3_mT4_P12ihipStream_tbEUlmE_jEESB_NS0_8identityIvEEEESG_SJ_SK_mSL_SN_bEUlT_E_NS1_11comp_targetILNS1_3genE4ELNS1_11target_archE910ELNS1_3gpuE8ELNS1_3repE0EEENS1_30default_config_static_selectorELNS0_4arch9wavefront6targetE1EEEvT1_: ; @_ZN7rocprim17ROCPRIM_400000_NS6detail17trampoline_kernelINS0_14default_configENS1_25transform_config_selectorIjLb0EEEZNS1_14transform_implILb0ES3_S5_NS0_18transform_iteratorINS0_17counting_iteratorImlEEZNS1_24adjacent_difference_implIS3_Lb1ELb0EPjSB_N6thrust23THRUST_200600_302600_NS4plusIjEEEE10hipError_tPvRmT2_T3_mT4_P12ihipStream_tbEUlmE_jEESB_NS0_8identityIvEEEESG_SJ_SK_mSL_SN_bEUlT_E_NS1_11comp_targetILNS1_3genE4ELNS1_11target_archE910ELNS1_3gpuE8ELNS1_3repE0EEENS1_30default_config_static_selectorELNS0_4arch9wavefront6targetE1EEEvT1_
; %bb.0:
	s_load_dwordx4 s[0:3], s[4:5], 0x18
	s_load_dwordx2 s[14:15], s[4:5], 0x28
	s_load_dwordx4 s[8:11], s[4:5], 0x0
	s_load_dword s12, s[4:5], 0x10
	s_waitcnt lgkmcnt(0)
	s_load_dword s3, s[4:5], 0x38
                                        ; kill: killed $sgpr4_sgpr5
	s_lshl_b64 s[4:5], s[0:1], 2
	s_add_u32 s14, s14, s4
	s_addc_u32 s15, s15, s5
	s_lshl_b32 s4, s6, 11
	s_waitcnt lgkmcnt(0)
	s_add_i32 s3, s3, -1
	s_add_u32 s7, s8, s4
	s_addc_u32 s8, s9, 0
	s_add_u32 s16, s7, s0
	s_addc_u32 s17, s8, s1
	s_mov_b32 s5, 0
	s_cmp_lg_u32 s6, s3
	v_lshlrev_b32_e32 v1, 2, v0
	s_cbranch_scc0 .LBB400_2
; %bb.1:
	v_mov_b32_e32 v2, s17
	v_add_co_u32_e32 v3, vcc, s16, v0
	v_addc_co_u32_e32 v5, vcc, 0, v2, vcc
	v_mad_u64_u32 v[2:3], s[0:1], v3, s12, 0
	v_mov_b32_e32 v4, v3
	v_mad_u64_u32 v[4:5], s[0:1], v5, s12, v[4:5]
	v_mov_b32_e32 v3, v4
	v_lshlrev_b64 v[2:3], 2, v[2:3]
	s_mov_b32 s13, s5
	v_mov_b32_e32 v4, s11
	v_add_co_u32_e32 v2, vcc, s10, v2
	v_addc_co_u32_e32 v3, vcc, v4, v3, vcc
	s_lshl_b64 s[0:1], s[12:13], 12
	global_load_dword v6, v[2:3], off
	v_mov_b32_e32 v4, s1
	v_add_co_u32_e32 v2, vcc, s0, v2
	v_addc_co_u32_e32 v3, vcc, v3, v4, vcc
	global_load_dword v3, v[2:3], off
	s_lshl_b64 s[6:7], s[4:5], 2
	s_add_u32 s6, s14, s6
	s_addc_u32 s7, s15, s7
	v_mov_b32_e32 v2, s7
	v_add_co_u32_e32 v4, vcc, s6, v1
	v_addc_co_u32_e32 v5, vcc, 0, v2, vcc
	s_waitcnt vmcnt(1)
	global_store_dword v1, v6, s[6:7]
	s_mov_b64 s[6:7], -1
	s_cbranch_execz .LBB400_3
	s_branch .LBB400_12
.LBB400_2:
	s_mov_b64 s[6:7], 0
                                        ; implicit-def: $vgpr3
                                        ; implicit-def: $vgpr4_vgpr5
.LBB400_3:
	s_sub_i32 s8, s2, s4
	v_cmp_gt_u32_e32 vcc, s8, v0
                                        ; implicit-def: $vgpr2_vgpr3
	s_and_saveexec_b64 s[2:3], vcc
	s_cbranch_execz .LBB400_5
; %bb.4:
	v_mov_b32_e32 v2, s17
	s_waitcnt vmcnt(1)
	v_add_co_u32_e64 v3, s[0:1], s16, v0
	v_addc_co_u32_e64 v5, s[0:1], 0, v2, s[0:1]
	v_mad_u64_u32 v[2:3], s[0:1], v3, s12, 0
	v_mov_b32_e32 v4, v3
	v_mad_u64_u32 v[4:5], s[0:1], v5, s12, v[4:5]
	v_mov_b32_e32 v3, v4
	v_lshlrev_b64 v[2:3], 2, v[2:3]
	v_mov_b32_e32 v4, s11
	v_add_co_u32_e64 v2, s[0:1], s10, v2
	v_addc_co_u32_e64 v3, s[0:1], v4, v3, s[0:1]
	global_load_dword v2, v[2:3], off
.LBB400_5:
	s_or_b64 exec, exec, s[2:3]
	v_or_b32_e32 v0, 0x400, v0
	v_cmp_gt_u32_e64 s[0:1], s8, v0
	s_and_saveexec_b64 s[8:9], s[0:1]
	s_cbranch_execz .LBB400_7
; %bb.6:
	s_waitcnt vmcnt(1)
	v_mov_b32_e32 v3, s17
	v_add_co_u32_e64 v0, s[2:3], s16, v0
	v_addc_co_u32_e64 v3, s[2:3], 0, v3, s[2:3]
	v_mad_u64_u32 v[4:5], s[2:3], v0, s12, 0
	v_mov_b32_e32 v0, v5
	v_mad_u64_u32 v[6:7], s[2:3], v3, s12, v[0:1]
	v_mov_b32_e32 v5, v6
	v_lshlrev_b64 v[4:5], 2, v[4:5]
	v_mov_b32_e32 v0, s11
	v_add_co_u32_e64 v4, s[2:3], s10, v4
	v_addc_co_u32_e64 v5, s[2:3], v0, v5, s[2:3]
	global_load_dword v3, v[4:5], off
.LBB400_7:
	s_or_b64 exec, exec, s[8:9]
	s_lshl_b64 s[2:3], s[4:5], 2
	s_add_u32 s2, s14, s2
	s_addc_u32 s3, s15, s3
	v_mov_b32_e32 v0, s3
	v_add_co_u32_e64 v4, s[2:3], s2, v1
	v_addc_co_u32_e64 v5, s[2:3], 0, v0, s[2:3]
	s_and_saveexec_b64 s[2:3], vcc
	s_cbranch_execz .LBB400_9
; %bb.8:
	s_waitcnt vmcnt(0)
	global_store_dword v[4:5], v2, off
.LBB400_9:
	s_or_b64 exec, exec, s[2:3]
	s_and_saveexec_b64 s[2:3], s[0:1]
; %bb.10:
	s_or_b64 s[6:7], s[6:7], exec
; %bb.11:
	s_or_b64 exec, exec, s[2:3]
.LBB400_12:
	s_and_saveexec_b64 s[0:1], s[6:7]
	s_cbranch_execnz .LBB400_14
; %bb.13:
	s_endpgm
.LBB400_14:
	v_add_co_u32_e32 v0, vcc, 0x1000, v4
	v_addc_co_u32_e32 v1, vcc, 0, v5, vcc
	s_waitcnt vmcnt(0)
	global_store_dword v[0:1], v3, off
	s_endpgm
	.section	.rodata,"a",@progbits
	.p2align	6, 0x0
	.amdhsa_kernel _ZN7rocprim17ROCPRIM_400000_NS6detail17trampoline_kernelINS0_14default_configENS1_25transform_config_selectorIjLb0EEEZNS1_14transform_implILb0ES3_S5_NS0_18transform_iteratorINS0_17counting_iteratorImlEEZNS1_24adjacent_difference_implIS3_Lb1ELb0EPjSB_N6thrust23THRUST_200600_302600_NS4plusIjEEEE10hipError_tPvRmT2_T3_mT4_P12ihipStream_tbEUlmE_jEESB_NS0_8identityIvEEEESG_SJ_SK_mSL_SN_bEUlT_E_NS1_11comp_targetILNS1_3genE4ELNS1_11target_archE910ELNS1_3gpuE8ELNS1_3repE0EEENS1_30default_config_static_selectorELNS0_4arch9wavefront6targetE1EEEvT1_
		.amdhsa_group_segment_fixed_size 0
		.amdhsa_private_segment_fixed_size 0
		.amdhsa_kernarg_size 312
		.amdhsa_user_sgpr_count 6
		.amdhsa_user_sgpr_private_segment_buffer 1
		.amdhsa_user_sgpr_dispatch_ptr 0
		.amdhsa_user_sgpr_queue_ptr 0
		.amdhsa_user_sgpr_kernarg_segment_ptr 1
		.amdhsa_user_sgpr_dispatch_id 0
		.amdhsa_user_sgpr_flat_scratch_init 0
		.amdhsa_user_sgpr_kernarg_preload_length 0
		.amdhsa_user_sgpr_kernarg_preload_offset 0
		.amdhsa_user_sgpr_private_segment_size 0
		.amdhsa_uses_dynamic_stack 0
		.amdhsa_system_sgpr_private_segment_wavefront_offset 0
		.amdhsa_system_sgpr_workgroup_id_x 1
		.amdhsa_system_sgpr_workgroup_id_y 0
		.amdhsa_system_sgpr_workgroup_id_z 0
		.amdhsa_system_sgpr_workgroup_info 0
		.amdhsa_system_vgpr_workitem_id 0
		.amdhsa_next_free_vgpr 8
		.amdhsa_next_free_sgpr 18
		.amdhsa_accum_offset 8
		.amdhsa_reserve_vcc 1
		.amdhsa_reserve_flat_scratch 0
		.amdhsa_float_round_mode_32 0
		.amdhsa_float_round_mode_16_64 0
		.amdhsa_float_denorm_mode_32 3
		.amdhsa_float_denorm_mode_16_64 3
		.amdhsa_dx10_clamp 1
		.amdhsa_ieee_mode 1
		.amdhsa_fp16_overflow 0
		.amdhsa_tg_split 0
		.amdhsa_exception_fp_ieee_invalid_op 0
		.amdhsa_exception_fp_denorm_src 0
		.amdhsa_exception_fp_ieee_div_zero 0
		.amdhsa_exception_fp_ieee_overflow 0
		.amdhsa_exception_fp_ieee_underflow 0
		.amdhsa_exception_fp_ieee_inexact 0
		.amdhsa_exception_int_div_zero 0
	.end_amdhsa_kernel
	.section	.text._ZN7rocprim17ROCPRIM_400000_NS6detail17trampoline_kernelINS0_14default_configENS1_25transform_config_selectorIjLb0EEEZNS1_14transform_implILb0ES3_S5_NS0_18transform_iteratorINS0_17counting_iteratorImlEEZNS1_24adjacent_difference_implIS3_Lb1ELb0EPjSB_N6thrust23THRUST_200600_302600_NS4plusIjEEEE10hipError_tPvRmT2_T3_mT4_P12ihipStream_tbEUlmE_jEESB_NS0_8identityIvEEEESG_SJ_SK_mSL_SN_bEUlT_E_NS1_11comp_targetILNS1_3genE4ELNS1_11target_archE910ELNS1_3gpuE8ELNS1_3repE0EEENS1_30default_config_static_selectorELNS0_4arch9wavefront6targetE1EEEvT1_,"axG",@progbits,_ZN7rocprim17ROCPRIM_400000_NS6detail17trampoline_kernelINS0_14default_configENS1_25transform_config_selectorIjLb0EEEZNS1_14transform_implILb0ES3_S5_NS0_18transform_iteratorINS0_17counting_iteratorImlEEZNS1_24adjacent_difference_implIS3_Lb1ELb0EPjSB_N6thrust23THRUST_200600_302600_NS4plusIjEEEE10hipError_tPvRmT2_T3_mT4_P12ihipStream_tbEUlmE_jEESB_NS0_8identityIvEEEESG_SJ_SK_mSL_SN_bEUlT_E_NS1_11comp_targetILNS1_3genE4ELNS1_11target_archE910ELNS1_3gpuE8ELNS1_3repE0EEENS1_30default_config_static_selectorELNS0_4arch9wavefront6targetE1EEEvT1_,comdat
.Lfunc_end400:
	.size	_ZN7rocprim17ROCPRIM_400000_NS6detail17trampoline_kernelINS0_14default_configENS1_25transform_config_selectorIjLb0EEEZNS1_14transform_implILb0ES3_S5_NS0_18transform_iteratorINS0_17counting_iteratorImlEEZNS1_24adjacent_difference_implIS3_Lb1ELb0EPjSB_N6thrust23THRUST_200600_302600_NS4plusIjEEEE10hipError_tPvRmT2_T3_mT4_P12ihipStream_tbEUlmE_jEESB_NS0_8identityIvEEEESG_SJ_SK_mSL_SN_bEUlT_E_NS1_11comp_targetILNS1_3genE4ELNS1_11target_archE910ELNS1_3gpuE8ELNS1_3repE0EEENS1_30default_config_static_selectorELNS0_4arch9wavefront6targetE1EEEvT1_, .Lfunc_end400-_ZN7rocprim17ROCPRIM_400000_NS6detail17trampoline_kernelINS0_14default_configENS1_25transform_config_selectorIjLb0EEEZNS1_14transform_implILb0ES3_S5_NS0_18transform_iteratorINS0_17counting_iteratorImlEEZNS1_24adjacent_difference_implIS3_Lb1ELb0EPjSB_N6thrust23THRUST_200600_302600_NS4plusIjEEEE10hipError_tPvRmT2_T3_mT4_P12ihipStream_tbEUlmE_jEESB_NS0_8identityIvEEEESG_SJ_SK_mSL_SN_bEUlT_E_NS1_11comp_targetILNS1_3genE4ELNS1_11target_archE910ELNS1_3gpuE8ELNS1_3repE0EEENS1_30default_config_static_selectorELNS0_4arch9wavefront6targetE1EEEvT1_
                                        ; -- End function
	.section	.AMDGPU.csdata,"",@progbits
; Kernel info:
; codeLenInByte = 568
; NumSgprs: 22
; NumVgprs: 8
; NumAgprs: 0
; TotalNumVgprs: 8
; ScratchSize: 0
; MemoryBound: 0
; FloatMode: 240
; IeeeMode: 1
; LDSByteSize: 0 bytes/workgroup (compile time only)
; SGPRBlocks: 2
; VGPRBlocks: 0
; NumSGPRsForWavesPerEU: 22
; NumVGPRsForWavesPerEU: 8
; AccumOffset: 8
; Occupancy: 8
; WaveLimiterHint : 0
; COMPUTE_PGM_RSRC2:SCRATCH_EN: 0
; COMPUTE_PGM_RSRC2:USER_SGPR: 6
; COMPUTE_PGM_RSRC2:TRAP_HANDLER: 0
; COMPUTE_PGM_RSRC2:TGID_X_EN: 1
; COMPUTE_PGM_RSRC2:TGID_Y_EN: 0
; COMPUTE_PGM_RSRC2:TGID_Z_EN: 0
; COMPUTE_PGM_RSRC2:TIDIG_COMP_CNT: 0
; COMPUTE_PGM_RSRC3_GFX90A:ACCUM_OFFSET: 1
; COMPUTE_PGM_RSRC3_GFX90A:TG_SPLIT: 0
	.section	.text._ZN7rocprim17ROCPRIM_400000_NS6detail17trampoline_kernelINS0_14default_configENS1_25transform_config_selectorIjLb0EEEZNS1_14transform_implILb0ES3_S5_NS0_18transform_iteratorINS0_17counting_iteratorImlEEZNS1_24adjacent_difference_implIS3_Lb1ELb0EPjSB_N6thrust23THRUST_200600_302600_NS4plusIjEEEE10hipError_tPvRmT2_T3_mT4_P12ihipStream_tbEUlmE_jEESB_NS0_8identityIvEEEESG_SJ_SK_mSL_SN_bEUlT_E_NS1_11comp_targetILNS1_3genE3ELNS1_11target_archE908ELNS1_3gpuE7ELNS1_3repE0EEENS1_30default_config_static_selectorELNS0_4arch9wavefront6targetE1EEEvT1_,"axG",@progbits,_ZN7rocprim17ROCPRIM_400000_NS6detail17trampoline_kernelINS0_14default_configENS1_25transform_config_selectorIjLb0EEEZNS1_14transform_implILb0ES3_S5_NS0_18transform_iteratorINS0_17counting_iteratorImlEEZNS1_24adjacent_difference_implIS3_Lb1ELb0EPjSB_N6thrust23THRUST_200600_302600_NS4plusIjEEEE10hipError_tPvRmT2_T3_mT4_P12ihipStream_tbEUlmE_jEESB_NS0_8identityIvEEEESG_SJ_SK_mSL_SN_bEUlT_E_NS1_11comp_targetILNS1_3genE3ELNS1_11target_archE908ELNS1_3gpuE7ELNS1_3repE0EEENS1_30default_config_static_selectorELNS0_4arch9wavefront6targetE1EEEvT1_,comdat
	.protected	_ZN7rocprim17ROCPRIM_400000_NS6detail17trampoline_kernelINS0_14default_configENS1_25transform_config_selectorIjLb0EEEZNS1_14transform_implILb0ES3_S5_NS0_18transform_iteratorINS0_17counting_iteratorImlEEZNS1_24adjacent_difference_implIS3_Lb1ELb0EPjSB_N6thrust23THRUST_200600_302600_NS4plusIjEEEE10hipError_tPvRmT2_T3_mT4_P12ihipStream_tbEUlmE_jEESB_NS0_8identityIvEEEESG_SJ_SK_mSL_SN_bEUlT_E_NS1_11comp_targetILNS1_3genE3ELNS1_11target_archE908ELNS1_3gpuE7ELNS1_3repE0EEENS1_30default_config_static_selectorELNS0_4arch9wavefront6targetE1EEEvT1_ ; -- Begin function _ZN7rocprim17ROCPRIM_400000_NS6detail17trampoline_kernelINS0_14default_configENS1_25transform_config_selectorIjLb0EEEZNS1_14transform_implILb0ES3_S5_NS0_18transform_iteratorINS0_17counting_iteratorImlEEZNS1_24adjacent_difference_implIS3_Lb1ELb0EPjSB_N6thrust23THRUST_200600_302600_NS4plusIjEEEE10hipError_tPvRmT2_T3_mT4_P12ihipStream_tbEUlmE_jEESB_NS0_8identityIvEEEESG_SJ_SK_mSL_SN_bEUlT_E_NS1_11comp_targetILNS1_3genE3ELNS1_11target_archE908ELNS1_3gpuE7ELNS1_3repE0EEENS1_30default_config_static_selectorELNS0_4arch9wavefront6targetE1EEEvT1_
	.globl	_ZN7rocprim17ROCPRIM_400000_NS6detail17trampoline_kernelINS0_14default_configENS1_25transform_config_selectorIjLb0EEEZNS1_14transform_implILb0ES3_S5_NS0_18transform_iteratorINS0_17counting_iteratorImlEEZNS1_24adjacent_difference_implIS3_Lb1ELb0EPjSB_N6thrust23THRUST_200600_302600_NS4plusIjEEEE10hipError_tPvRmT2_T3_mT4_P12ihipStream_tbEUlmE_jEESB_NS0_8identityIvEEEESG_SJ_SK_mSL_SN_bEUlT_E_NS1_11comp_targetILNS1_3genE3ELNS1_11target_archE908ELNS1_3gpuE7ELNS1_3repE0EEENS1_30default_config_static_selectorELNS0_4arch9wavefront6targetE1EEEvT1_
	.p2align	8
	.type	_ZN7rocprim17ROCPRIM_400000_NS6detail17trampoline_kernelINS0_14default_configENS1_25transform_config_selectorIjLb0EEEZNS1_14transform_implILb0ES3_S5_NS0_18transform_iteratorINS0_17counting_iteratorImlEEZNS1_24adjacent_difference_implIS3_Lb1ELb0EPjSB_N6thrust23THRUST_200600_302600_NS4plusIjEEEE10hipError_tPvRmT2_T3_mT4_P12ihipStream_tbEUlmE_jEESB_NS0_8identityIvEEEESG_SJ_SK_mSL_SN_bEUlT_E_NS1_11comp_targetILNS1_3genE3ELNS1_11target_archE908ELNS1_3gpuE7ELNS1_3repE0EEENS1_30default_config_static_selectorELNS0_4arch9wavefront6targetE1EEEvT1_,@function
_ZN7rocprim17ROCPRIM_400000_NS6detail17trampoline_kernelINS0_14default_configENS1_25transform_config_selectorIjLb0EEEZNS1_14transform_implILb0ES3_S5_NS0_18transform_iteratorINS0_17counting_iteratorImlEEZNS1_24adjacent_difference_implIS3_Lb1ELb0EPjSB_N6thrust23THRUST_200600_302600_NS4plusIjEEEE10hipError_tPvRmT2_T3_mT4_P12ihipStream_tbEUlmE_jEESB_NS0_8identityIvEEEESG_SJ_SK_mSL_SN_bEUlT_E_NS1_11comp_targetILNS1_3genE3ELNS1_11target_archE908ELNS1_3gpuE7ELNS1_3repE0EEENS1_30default_config_static_selectorELNS0_4arch9wavefront6targetE1EEEvT1_: ; @_ZN7rocprim17ROCPRIM_400000_NS6detail17trampoline_kernelINS0_14default_configENS1_25transform_config_selectorIjLb0EEEZNS1_14transform_implILb0ES3_S5_NS0_18transform_iteratorINS0_17counting_iteratorImlEEZNS1_24adjacent_difference_implIS3_Lb1ELb0EPjSB_N6thrust23THRUST_200600_302600_NS4plusIjEEEE10hipError_tPvRmT2_T3_mT4_P12ihipStream_tbEUlmE_jEESB_NS0_8identityIvEEEESG_SJ_SK_mSL_SN_bEUlT_E_NS1_11comp_targetILNS1_3genE3ELNS1_11target_archE908ELNS1_3gpuE7ELNS1_3repE0EEENS1_30default_config_static_selectorELNS0_4arch9wavefront6targetE1EEEvT1_
; %bb.0:
	.section	.rodata,"a",@progbits
	.p2align	6, 0x0
	.amdhsa_kernel _ZN7rocprim17ROCPRIM_400000_NS6detail17trampoline_kernelINS0_14default_configENS1_25transform_config_selectorIjLb0EEEZNS1_14transform_implILb0ES3_S5_NS0_18transform_iteratorINS0_17counting_iteratorImlEEZNS1_24adjacent_difference_implIS3_Lb1ELb0EPjSB_N6thrust23THRUST_200600_302600_NS4plusIjEEEE10hipError_tPvRmT2_T3_mT4_P12ihipStream_tbEUlmE_jEESB_NS0_8identityIvEEEESG_SJ_SK_mSL_SN_bEUlT_E_NS1_11comp_targetILNS1_3genE3ELNS1_11target_archE908ELNS1_3gpuE7ELNS1_3repE0EEENS1_30default_config_static_selectorELNS0_4arch9wavefront6targetE1EEEvT1_
		.amdhsa_group_segment_fixed_size 0
		.amdhsa_private_segment_fixed_size 0
		.amdhsa_kernarg_size 56
		.amdhsa_user_sgpr_count 6
		.amdhsa_user_sgpr_private_segment_buffer 1
		.amdhsa_user_sgpr_dispatch_ptr 0
		.amdhsa_user_sgpr_queue_ptr 0
		.amdhsa_user_sgpr_kernarg_segment_ptr 1
		.amdhsa_user_sgpr_dispatch_id 0
		.amdhsa_user_sgpr_flat_scratch_init 0
		.amdhsa_user_sgpr_kernarg_preload_length 0
		.amdhsa_user_sgpr_kernarg_preload_offset 0
		.amdhsa_user_sgpr_private_segment_size 0
		.amdhsa_uses_dynamic_stack 0
		.amdhsa_system_sgpr_private_segment_wavefront_offset 0
		.amdhsa_system_sgpr_workgroup_id_x 1
		.amdhsa_system_sgpr_workgroup_id_y 0
		.amdhsa_system_sgpr_workgroup_id_z 0
		.amdhsa_system_sgpr_workgroup_info 0
		.amdhsa_system_vgpr_workitem_id 0
		.amdhsa_next_free_vgpr 1
		.amdhsa_next_free_sgpr 0
		.amdhsa_accum_offset 4
		.amdhsa_reserve_vcc 0
		.amdhsa_reserve_flat_scratch 0
		.amdhsa_float_round_mode_32 0
		.amdhsa_float_round_mode_16_64 0
		.amdhsa_float_denorm_mode_32 3
		.amdhsa_float_denorm_mode_16_64 3
		.amdhsa_dx10_clamp 1
		.amdhsa_ieee_mode 1
		.amdhsa_fp16_overflow 0
		.amdhsa_tg_split 0
		.amdhsa_exception_fp_ieee_invalid_op 0
		.amdhsa_exception_fp_denorm_src 0
		.amdhsa_exception_fp_ieee_div_zero 0
		.amdhsa_exception_fp_ieee_overflow 0
		.amdhsa_exception_fp_ieee_underflow 0
		.amdhsa_exception_fp_ieee_inexact 0
		.amdhsa_exception_int_div_zero 0
	.end_amdhsa_kernel
	.section	.text._ZN7rocprim17ROCPRIM_400000_NS6detail17trampoline_kernelINS0_14default_configENS1_25transform_config_selectorIjLb0EEEZNS1_14transform_implILb0ES3_S5_NS0_18transform_iteratorINS0_17counting_iteratorImlEEZNS1_24adjacent_difference_implIS3_Lb1ELb0EPjSB_N6thrust23THRUST_200600_302600_NS4plusIjEEEE10hipError_tPvRmT2_T3_mT4_P12ihipStream_tbEUlmE_jEESB_NS0_8identityIvEEEESG_SJ_SK_mSL_SN_bEUlT_E_NS1_11comp_targetILNS1_3genE3ELNS1_11target_archE908ELNS1_3gpuE7ELNS1_3repE0EEENS1_30default_config_static_selectorELNS0_4arch9wavefront6targetE1EEEvT1_,"axG",@progbits,_ZN7rocprim17ROCPRIM_400000_NS6detail17trampoline_kernelINS0_14default_configENS1_25transform_config_selectorIjLb0EEEZNS1_14transform_implILb0ES3_S5_NS0_18transform_iteratorINS0_17counting_iteratorImlEEZNS1_24adjacent_difference_implIS3_Lb1ELb0EPjSB_N6thrust23THRUST_200600_302600_NS4plusIjEEEE10hipError_tPvRmT2_T3_mT4_P12ihipStream_tbEUlmE_jEESB_NS0_8identityIvEEEESG_SJ_SK_mSL_SN_bEUlT_E_NS1_11comp_targetILNS1_3genE3ELNS1_11target_archE908ELNS1_3gpuE7ELNS1_3repE0EEENS1_30default_config_static_selectorELNS0_4arch9wavefront6targetE1EEEvT1_,comdat
.Lfunc_end401:
	.size	_ZN7rocprim17ROCPRIM_400000_NS6detail17trampoline_kernelINS0_14default_configENS1_25transform_config_selectorIjLb0EEEZNS1_14transform_implILb0ES3_S5_NS0_18transform_iteratorINS0_17counting_iteratorImlEEZNS1_24adjacent_difference_implIS3_Lb1ELb0EPjSB_N6thrust23THRUST_200600_302600_NS4plusIjEEEE10hipError_tPvRmT2_T3_mT4_P12ihipStream_tbEUlmE_jEESB_NS0_8identityIvEEEESG_SJ_SK_mSL_SN_bEUlT_E_NS1_11comp_targetILNS1_3genE3ELNS1_11target_archE908ELNS1_3gpuE7ELNS1_3repE0EEENS1_30default_config_static_selectorELNS0_4arch9wavefront6targetE1EEEvT1_, .Lfunc_end401-_ZN7rocprim17ROCPRIM_400000_NS6detail17trampoline_kernelINS0_14default_configENS1_25transform_config_selectorIjLb0EEEZNS1_14transform_implILb0ES3_S5_NS0_18transform_iteratorINS0_17counting_iteratorImlEEZNS1_24adjacent_difference_implIS3_Lb1ELb0EPjSB_N6thrust23THRUST_200600_302600_NS4plusIjEEEE10hipError_tPvRmT2_T3_mT4_P12ihipStream_tbEUlmE_jEESB_NS0_8identityIvEEEESG_SJ_SK_mSL_SN_bEUlT_E_NS1_11comp_targetILNS1_3genE3ELNS1_11target_archE908ELNS1_3gpuE7ELNS1_3repE0EEENS1_30default_config_static_selectorELNS0_4arch9wavefront6targetE1EEEvT1_
                                        ; -- End function
	.section	.AMDGPU.csdata,"",@progbits
; Kernel info:
; codeLenInByte = 0
; NumSgprs: 4
; NumVgprs: 0
; NumAgprs: 0
; TotalNumVgprs: 0
; ScratchSize: 0
; MemoryBound: 0
; FloatMode: 240
; IeeeMode: 1
; LDSByteSize: 0 bytes/workgroup (compile time only)
; SGPRBlocks: 0
; VGPRBlocks: 0
; NumSGPRsForWavesPerEU: 4
; NumVGPRsForWavesPerEU: 1
; AccumOffset: 4
; Occupancy: 8
; WaveLimiterHint : 0
; COMPUTE_PGM_RSRC2:SCRATCH_EN: 0
; COMPUTE_PGM_RSRC2:USER_SGPR: 6
; COMPUTE_PGM_RSRC2:TRAP_HANDLER: 0
; COMPUTE_PGM_RSRC2:TGID_X_EN: 1
; COMPUTE_PGM_RSRC2:TGID_Y_EN: 0
; COMPUTE_PGM_RSRC2:TGID_Z_EN: 0
; COMPUTE_PGM_RSRC2:TIDIG_COMP_CNT: 0
; COMPUTE_PGM_RSRC3_GFX90A:ACCUM_OFFSET: 0
; COMPUTE_PGM_RSRC3_GFX90A:TG_SPLIT: 0
	.section	.text._ZN7rocprim17ROCPRIM_400000_NS6detail17trampoline_kernelINS0_14default_configENS1_25transform_config_selectorIjLb0EEEZNS1_14transform_implILb0ES3_S5_NS0_18transform_iteratorINS0_17counting_iteratorImlEEZNS1_24adjacent_difference_implIS3_Lb1ELb0EPjSB_N6thrust23THRUST_200600_302600_NS4plusIjEEEE10hipError_tPvRmT2_T3_mT4_P12ihipStream_tbEUlmE_jEESB_NS0_8identityIvEEEESG_SJ_SK_mSL_SN_bEUlT_E_NS1_11comp_targetILNS1_3genE2ELNS1_11target_archE906ELNS1_3gpuE6ELNS1_3repE0EEENS1_30default_config_static_selectorELNS0_4arch9wavefront6targetE1EEEvT1_,"axG",@progbits,_ZN7rocprim17ROCPRIM_400000_NS6detail17trampoline_kernelINS0_14default_configENS1_25transform_config_selectorIjLb0EEEZNS1_14transform_implILb0ES3_S5_NS0_18transform_iteratorINS0_17counting_iteratorImlEEZNS1_24adjacent_difference_implIS3_Lb1ELb0EPjSB_N6thrust23THRUST_200600_302600_NS4plusIjEEEE10hipError_tPvRmT2_T3_mT4_P12ihipStream_tbEUlmE_jEESB_NS0_8identityIvEEEESG_SJ_SK_mSL_SN_bEUlT_E_NS1_11comp_targetILNS1_3genE2ELNS1_11target_archE906ELNS1_3gpuE6ELNS1_3repE0EEENS1_30default_config_static_selectorELNS0_4arch9wavefront6targetE1EEEvT1_,comdat
	.protected	_ZN7rocprim17ROCPRIM_400000_NS6detail17trampoline_kernelINS0_14default_configENS1_25transform_config_selectorIjLb0EEEZNS1_14transform_implILb0ES3_S5_NS0_18transform_iteratorINS0_17counting_iteratorImlEEZNS1_24adjacent_difference_implIS3_Lb1ELb0EPjSB_N6thrust23THRUST_200600_302600_NS4plusIjEEEE10hipError_tPvRmT2_T3_mT4_P12ihipStream_tbEUlmE_jEESB_NS0_8identityIvEEEESG_SJ_SK_mSL_SN_bEUlT_E_NS1_11comp_targetILNS1_3genE2ELNS1_11target_archE906ELNS1_3gpuE6ELNS1_3repE0EEENS1_30default_config_static_selectorELNS0_4arch9wavefront6targetE1EEEvT1_ ; -- Begin function _ZN7rocprim17ROCPRIM_400000_NS6detail17trampoline_kernelINS0_14default_configENS1_25transform_config_selectorIjLb0EEEZNS1_14transform_implILb0ES3_S5_NS0_18transform_iteratorINS0_17counting_iteratorImlEEZNS1_24adjacent_difference_implIS3_Lb1ELb0EPjSB_N6thrust23THRUST_200600_302600_NS4plusIjEEEE10hipError_tPvRmT2_T3_mT4_P12ihipStream_tbEUlmE_jEESB_NS0_8identityIvEEEESG_SJ_SK_mSL_SN_bEUlT_E_NS1_11comp_targetILNS1_3genE2ELNS1_11target_archE906ELNS1_3gpuE6ELNS1_3repE0EEENS1_30default_config_static_selectorELNS0_4arch9wavefront6targetE1EEEvT1_
	.globl	_ZN7rocprim17ROCPRIM_400000_NS6detail17trampoline_kernelINS0_14default_configENS1_25transform_config_selectorIjLb0EEEZNS1_14transform_implILb0ES3_S5_NS0_18transform_iteratorINS0_17counting_iteratorImlEEZNS1_24adjacent_difference_implIS3_Lb1ELb0EPjSB_N6thrust23THRUST_200600_302600_NS4plusIjEEEE10hipError_tPvRmT2_T3_mT4_P12ihipStream_tbEUlmE_jEESB_NS0_8identityIvEEEESG_SJ_SK_mSL_SN_bEUlT_E_NS1_11comp_targetILNS1_3genE2ELNS1_11target_archE906ELNS1_3gpuE6ELNS1_3repE0EEENS1_30default_config_static_selectorELNS0_4arch9wavefront6targetE1EEEvT1_
	.p2align	8
	.type	_ZN7rocprim17ROCPRIM_400000_NS6detail17trampoline_kernelINS0_14default_configENS1_25transform_config_selectorIjLb0EEEZNS1_14transform_implILb0ES3_S5_NS0_18transform_iteratorINS0_17counting_iteratorImlEEZNS1_24adjacent_difference_implIS3_Lb1ELb0EPjSB_N6thrust23THRUST_200600_302600_NS4plusIjEEEE10hipError_tPvRmT2_T3_mT4_P12ihipStream_tbEUlmE_jEESB_NS0_8identityIvEEEESG_SJ_SK_mSL_SN_bEUlT_E_NS1_11comp_targetILNS1_3genE2ELNS1_11target_archE906ELNS1_3gpuE6ELNS1_3repE0EEENS1_30default_config_static_selectorELNS0_4arch9wavefront6targetE1EEEvT1_,@function
_ZN7rocprim17ROCPRIM_400000_NS6detail17trampoline_kernelINS0_14default_configENS1_25transform_config_selectorIjLb0EEEZNS1_14transform_implILb0ES3_S5_NS0_18transform_iteratorINS0_17counting_iteratorImlEEZNS1_24adjacent_difference_implIS3_Lb1ELb0EPjSB_N6thrust23THRUST_200600_302600_NS4plusIjEEEE10hipError_tPvRmT2_T3_mT4_P12ihipStream_tbEUlmE_jEESB_NS0_8identityIvEEEESG_SJ_SK_mSL_SN_bEUlT_E_NS1_11comp_targetILNS1_3genE2ELNS1_11target_archE906ELNS1_3gpuE6ELNS1_3repE0EEENS1_30default_config_static_selectorELNS0_4arch9wavefront6targetE1EEEvT1_: ; @_ZN7rocprim17ROCPRIM_400000_NS6detail17trampoline_kernelINS0_14default_configENS1_25transform_config_selectorIjLb0EEEZNS1_14transform_implILb0ES3_S5_NS0_18transform_iteratorINS0_17counting_iteratorImlEEZNS1_24adjacent_difference_implIS3_Lb1ELb0EPjSB_N6thrust23THRUST_200600_302600_NS4plusIjEEEE10hipError_tPvRmT2_T3_mT4_P12ihipStream_tbEUlmE_jEESB_NS0_8identityIvEEEESG_SJ_SK_mSL_SN_bEUlT_E_NS1_11comp_targetILNS1_3genE2ELNS1_11target_archE906ELNS1_3gpuE6ELNS1_3repE0EEENS1_30default_config_static_selectorELNS0_4arch9wavefront6targetE1EEEvT1_
; %bb.0:
	.section	.rodata,"a",@progbits
	.p2align	6, 0x0
	.amdhsa_kernel _ZN7rocprim17ROCPRIM_400000_NS6detail17trampoline_kernelINS0_14default_configENS1_25transform_config_selectorIjLb0EEEZNS1_14transform_implILb0ES3_S5_NS0_18transform_iteratorINS0_17counting_iteratorImlEEZNS1_24adjacent_difference_implIS3_Lb1ELb0EPjSB_N6thrust23THRUST_200600_302600_NS4plusIjEEEE10hipError_tPvRmT2_T3_mT4_P12ihipStream_tbEUlmE_jEESB_NS0_8identityIvEEEESG_SJ_SK_mSL_SN_bEUlT_E_NS1_11comp_targetILNS1_3genE2ELNS1_11target_archE906ELNS1_3gpuE6ELNS1_3repE0EEENS1_30default_config_static_selectorELNS0_4arch9wavefront6targetE1EEEvT1_
		.amdhsa_group_segment_fixed_size 0
		.amdhsa_private_segment_fixed_size 0
		.amdhsa_kernarg_size 56
		.amdhsa_user_sgpr_count 6
		.amdhsa_user_sgpr_private_segment_buffer 1
		.amdhsa_user_sgpr_dispatch_ptr 0
		.amdhsa_user_sgpr_queue_ptr 0
		.amdhsa_user_sgpr_kernarg_segment_ptr 1
		.amdhsa_user_sgpr_dispatch_id 0
		.amdhsa_user_sgpr_flat_scratch_init 0
		.amdhsa_user_sgpr_kernarg_preload_length 0
		.amdhsa_user_sgpr_kernarg_preload_offset 0
		.amdhsa_user_sgpr_private_segment_size 0
		.amdhsa_uses_dynamic_stack 0
		.amdhsa_system_sgpr_private_segment_wavefront_offset 0
		.amdhsa_system_sgpr_workgroup_id_x 1
		.amdhsa_system_sgpr_workgroup_id_y 0
		.amdhsa_system_sgpr_workgroup_id_z 0
		.amdhsa_system_sgpr_workgroup_info 0
		.amdhsa_system_vgpr_workitem_id 0
		.amdhsa_next_free_vgpr 1
		.amdhsa_next_free_sgpr 0
		.amdhsa_accum_offset 4
		.amdhsa_reserve_vcc 0
		.amdhsa_reserve_flat_scratch 0
		.amdhsa_float_round_mode_32 0
		.amdhsa_float_round_mode_16_64 0
		.amdhsa_float_denorm_mode_32 3
		.amdhsa_float_denorm_mode_16_64 3
		.amdhsa_dx10_clamp 1
		.amdhsa_ieee_mode 1
		.amdhsa_fp16_overflow 0
		.amdhsa_tg_split 0
		.amdhsa_exception_fp_ieee_invalid_op 0
		.amdhsa_exception_fp_denorm_src 0
		.amdhsa_exception_fp_ieee_div_zero 0
		.amdhsa_exception_fp_ieee_overflow 0
		.amdhsa_exception_fp_ieee_underflow 0
		.amdhsa_exception_fp_ieee_inexact 0
		.amdhsa_exception_int_div_zero 0
	.end_amdhsa_kernel
	.section	.text._ZN7rocprim17ROCPRIM_400000_NS6detail17trampoline_kernelINS0_14default_configENS1_25transform_config_selectorIjLb0EEEZNS1_14transform_implILb0ES3_S5_NS0_18transform_iteratorINS0_17counting_iteratorImlEEZNS1_24adjacent_difference_implIS3_Lb1ELb0EPjSB_N6thrust23THRUST_200600_302600_NS4plusIjEEEE10hipError_tPvRmT2_T3_mT4_P12ihipStream_tbEUlmE_jEESB_NS0_8identityIvEEEESG_SJ_SK_mSL_SN_bEUlT_E_NS1_11comp_targetILNS1_3genE2ELNS1_11target_archE906ELNS1_3gpuE6ELNS1_3repE0EEENS1_30default_config_static_selectorELNS0_4arch9wavefront6targetE1EEEvT1_,"axG",@progbits,_ZN7rocprim17ROCPRIM_400000_NS6detail17trampoline_kernelINS0_14default_configENS1_25transform_config_selectorIjLb0EEEZNS1_14transform_implILb0ES3_S5_NS0_18transform_iteratorINS0_17counting_iteratorImlEEZNS1_24adjacent_difference_implIS3_Lb1ELb0EPjSB_N6thrust23THRUST_200600_302600_NS4plusIjEEEE10hipError_tPvRmT2_T3_mT4_P12ihipStream_tbEUlmE_jEESB_NS0_8identityIvEEEESG_SJ_SK_mSL_SN_bEUlT_E_NS1_11comp_targetILNS1_3genE2ELNS1_11target_archE906ELNS1_3gpuE6ELNS1_3repE0EEENS1_30default_config_static_selectorELNS0_4arch9wavefront6targetE1EEEvT1_,comdat
.Lfunc_end402:
	.size	_ZN7rocprim17ROCPRIM_400000_NS6detail17trampoline_kernelINS0_14default_configENS1_25transform_config_selectorIjLb0EEEZNS1_14transform_implILb0ES3_S5_NS0_18transform_iteratorINS0_17counting_iteratorImlEEZNS1_24adjacent_difference_implIS3_Lb1ELb0EPjSB_N6thrust23THRUST_200600_302600_NS4plusIjEEEE10hipError_tPvRmT2_T3_mT4_P12ihipStream_tbEUlmE_jEESB_NS0_8identityIvEEEESG_SJ_SK_mSL_SN_bEUlT_E_NS1_11comp_targetILNS1_3genE2ELNS1_11target_archE906ELNS1_3gpuE6ELNS1_3repE0EEENS1_30default_config_static_selectorELNS0_4arch9wavefront6targetE1EEEvT1_, .Lfunc_end402-_ZN7rocprim17ROCPRIM_400000_NS6detail17trampoline_kernelINS0_14default_configENS1_25transform_config_selectorIjLb0EEEZNS1_14transform_implILb0ES3_S5_NS0_18transform_iteratorINS0_17counting_iteratorImlEEZNS1_24adjacent_difference_implIS3_Lb1ELb0EPjSB_N6thrust23THRUST_200600_302600_NS4plusIjEEEE10hipError_tPvRmT2_T3_mT4_P12ihipStream_tbEUlmE_jEESB_NS0_8identityIvEEEESG_SJ_SK_mSL_SN_bEUlT_E_NS1_11comp_targetILNS1_3genE2ELNS1_11target_archE906ELNS1_3gpuE6ELNS1_3repE0EEENS1_30default_config_static_selectorELNS0_4arch9wavefront6targetE1EEEvT1_
                                        ; -- End function
	.section	.AMDGPU.csdata,"",@progbits
; Kernel info:
; codeLenInByte = 0
; NumSgprs: 4
; NumVgprs: 0
; NumAgprs: 0
; TotalNumVgprs: 0
; ScratchSize: 0
; MemoryBound: 0
; FloatMode: 240
; IeeeMode: 1
; LDSByteSize: 0 bytes/workgroup (compile time only)
; SGPRBlocks: 0
; VGPRBlocks: 0
; NumSGPRsForWavesPerEU: 4
; NumVGPRsForWavesPerEU: 1
; AccumOffset: 4
; Occupancy: 8
; WaveLimiterHint : 0
; COMPUTE_PGM_RSRC2:SCRATCH_EN: 0
; COMPUTE_PGM_RSRC2:USER_SGPR: 6
; COMPUTE_PGM_RSRC2:TRAP_HANDLER: 0
; COMPUTE_PGM_RSRC2:TGID_X_EN: 1
; COMPUTE_PGM_RSRC2:TGID_Y_EN: 0
; COMPUTE_PGM_RSRC2:TGID_Z_EN: 0
; COMPUTE_PGM_RSRC2:TIDIG_COMP_CNT: 0
; COMPUTE_PGM_RSRC3_GFX90A:ACCUM_OFFSET: 0
; COMPUTE_PGM_RSRC3_GFX90A:TG_SPLIT: 0
	.section	.text._ZN7rocprim17ROCPRIM_400000_NS6detail17trampoline_kernelINS0_14default_configENS1_25transform_config_selectorIjLb0EEEZNS1_14transform_implILb0ES3_S5_NS0_18transform_iteratorINS0_17counting_iteratorImlEEZNS1_24adjacent_difference_implIS3_Lb1ELb0EPjSB_N6thrust23THRUST_200600_302600_NS4plusIjEEEE10hipError_tPvRmT2_T3_mT4_P12ihipStream_tbEUlmE_jEESB_NS0_8identityIvEEEESG_SJ_SK_mSL_SN_bEUlT_E_NS1_11comp_targetILNS1_3genE10ELNS1_11target_archE1201ELNS1_3gpuE5ELNS1_3repE0EEENS1_30default_config_static_selectorELNS0_4arch9wavefront6targetE1EEEvT1_,"axG",@progbits,_ZN7rocprim17ROCPRIM_400000_NS6detail17trampoline_kernelINS0_14default_configENS1_25transform_config_selectorIjLb0EEEZNS1_14transform_implILb0ES3_S5_NS0_18transform_iteratorINS0_17counting_iteratorImlEEZNS1_24adjacent_difference_implIS3_Lb1ELb0EPjSB_N6thrust23THRUST_200600_302600_NS4plusIjEEEE10hipError_tPvRmT2_T3_mT4_P12ihipStream_tbEUlmE_jEESB_NS0_8identityIvEEEESG_SJ_SK_mSL_SN_bEUlT_E_NS1_11comp_targetILNS1_3genE10ELNS1_11target_archE1201ELNS1_3gpuE5ELNS1_3repE0EEENS1_30default_config_static_selectorELNS0_4arch9wavefront6targetE1EEEvT1_,comdat
	.protected	_ZN7rocprim17ROCPRIM_400000_NS6detail17trampoline_kernelINS0_14default_configENS1_25transform_config_selectorIjLb0EEEZNS1_14transform_implILb0ES3_S5_NS0_18transform_iteratorINS0_17counting_iteratorImlEEZNS1_24adjacent_difference_implIS3_Lb1ELb0EPjSB_N6thrust23THRUST_200600_302600_NS4plusIjEEEE10hipError_tPvRmT2_T3_mT4_P12ihipStream_tbEUlmE_jEESB_NS0_8identityIvEEEESG_SJ_SK_mSL_SN_bEUlT_E_NS1_11comp_targetILNS1_3genE10ELNS1_11target_archE1201ELNS1_3gpuE5ELNS1_3repE0EEENS1_30default_config_static_selectorELNS0_4arch9wavefront6targetE1EEEvT1_ ; -- Begin function _ZN7rocprim17ROCPRIM_400000_NS6detail17trampoline_kernelINS0_14default_configENS1_25transform_config_selectorIjLb0EEEZNS1_14transform_implILb0ES3_S5_NS0_18transform_iteratorINS0_17counting_iteratorImlEEZNS1_24adjacent_difference_implIS3_Lb1ELb0EPjSB_N6thrust23THRUST_200600_302600_NS4plusIjEEEE10hipError_tPvRmT2_T3_mT4_P12ihipStream_tbEUlmE_jEESB_NS0_8identityIvEEEESG_SJ_SK_mSL_SN_bEUlT_E_NS1_11comp_targetILNS1_3genE10ELNS1_11target_archE1201ELNS1_3gpuE5ELNS1_3repE0EEENS1_30default_config_static_selectorELNS0_4arch9wavefront6targetE1EEEvT1_
	.globl	_ZN7rocprim17ROCPRIM_400000_NS6detail17trampoline_kernelINS0_14default_configENS1_25transform_config_selectorIjLb0EEEZNS1_14transform_implILb0ES3_S5_NS0_18transform_iteratorINS0_17counting_iteratorImlEEZNS1_24adjacent_difference_implIS3_Lb1ELb0EPjSB_N6thrust23THRUST_200600_302600_NS4plusIjEEEE10hipError_tPvRmT2_T3_mT4_P12ihipStream_tbEUlmE_jEESB_NS0_8identityIvEEEESG_SJ_SK_mSL_SN_bEUlT_E_NS1_11comp_targetILNS1_3genE10ELNS1_11target_archE1201ELNS1_3gpuE5ELNS1_3repE0EEENS1_30default_config_static_selectorELNS0_4arch9wavefront6targetE1EEEvT1_
	.p2align	8
	.type	_ZN7rocprim17ROCPRIM_400000_NS6detail17trampoline_kernelINS0_14default_configENS1_25transform_config_selectorIjLb0EEEZNS1_14transform_implILb0ES3_S5_NS0_18transform_iteratorINS0_17counting_iteratorImlEEZNS1_24adjacent_difference_implIS3_Lb1ELb0EPjSB_N6thrust23THRUST_200600_302600_NS4plusIjEEEE10hipError_tPvRmT2_T3_mT4_P12ihipStream_tbEUlmE_jEESB_NS0_8identityIvEEEESG_SJ_SK_mSL_SN_bEUlT_E_NS1_11comp_targetILNS1_3genE10ELNS1_11target_archE1201ELNS1_3gpuE5ELNS1_3repE0EEENS1_30default_config_static_selectorELNS0_4arch9wavefront6targetE1EEEvT1_,@function
_ZN7rocprim17ROCPRIM_400000_NS6detail17trampoline_kernelINS0_14default_configENS1_25transform_config_selectorIjLb0EEEZNS1_14transform_implILb0ES3_S5_NS0_18transform_iteratorINS0_17counting_iteratorImlEEZNS1_24adjacent_difference_implIS3_Lb1ELb0EPjSB_N6thrust23THRUST_200600_302600_NS4plusIjEEEE10hipError_tPvRmT2_T3_mT4_P12ihipStream_tbEUlmE_jEESB_NS0_8identityIvEEEESG_SJ_SK_mSL_SN_bEUlT_E_NS1_11comp_targetILNS1_3genE10ELNS1_11target_archE1201ELNS1_3gpuE5ELNS1_3repE0EEENS1_30default_config_static_selectorELNS0_4arch9wavefront6targetE1EEEvT1_: ; @_ZN7rocprim17ROCPRIM_400000_NS6detail17trampoline_kernelINS0_14default_configENS1_25transform_config_selectorIjLb0EEEZNS1_14transform_implILb0ES3_S5_NS0_18transform_iteratorINS0_17counting_iteratorImlEEZNS1_24adjacent_difference_implIS3_Lb1ELb0EPjSB_N6thrust23THRUST_200600_302600_NS4plusIjEEEE10hipError_tPvRmT2_T3_mT4_P12ihipStream_tbEUlmE_jEESB_NS0_8identityIvEEEESG_SJ_SK_mSL_SN_bEUlT_E_NS1_11comp_targetILNS1_3genE10ELNS1_11target_archE1201ELNS1_3gpuE5ELNS1_3repE0EEENS1_30default_config_static_selectorELNS0_4arch9wavefront6targetE1EEEvT1_
; %bb.0:
	.section	.rodata,"a",@progbits
	.p2align	6, 0x0
	.amdhsa_kernel _ZN7rocprim17ROCPRIM_400000_NS6detail17trampoline_kernelINS0_14default_configENS1_25transform_config_selectorIjLb0EEEZNS1_14transform_implILb0ES3_S5_NS0_18transform_iteratorINS0_17counting_iteratorImlEEZNS1_24adjacent_difference_implIS3_Lb1ELb0EPjSB_N6thrust23THRUST_200600_302600_NS4plusIjEEEE10hipError_tPvRmT2_T3_mT4_P12ihipStream_tbEUlmE_jEESB_NS0_8identityIvEEEESG_SJ_SK_mSL_SN_bEUlT_E_NS1_11comp_targetILNS1_3genE10ELNS1_11target_archE1201ELNS1_3gpuE5ELNS1_3repE0EEENS1_30default_config_static_selectorELNS0_4arch9wavefront6targetE1EEEvT1_
		.amdhsa_group_segment_fixed_size 0
		.amdhsa_private_segment_fixed_size 0
		.amdhsa_kernarg_size 56
		.amdhsa_user_sgpr_count 6
		.amdhsa_user_sgpr_private_segment_buffer 1
		.amdhsa_user_sgpr_dispatch_ptr 0
		.amdhsa_user_sgpr_queue_ptr 0
		.amdhsa_user_sgpr_kernarg_segment_ptr 1
		.amdhsa_user_sgpr_dispatch_id 0
		.amdhsa_user_sgpr_flat_scratch_init 0
		.amdhsa_user_sgpr_kernarg_preload_length 0
		.amdhsa_user_sgpr_kernarg_preload_offset 0
		.amdhsa_user_sgpr_private_segment_size 0
		.amdhsa_uses_dynamic_stack 0
		.amdhsa_system_sgpr_private_segment_wavefront_offset 0
		.amdhsa_system_sgpr_workgroup_id_x 1
		.amdhsa_system_sgpr_workgroup_id_y 0
		.amdhsa_system_sgpr_workgroup_id_z 0
		.amdhsa_system_sgpr_workgroup_info 0
		.amdhsa_system_vgpr_workitem_id 0
		.amdhsa_next_free_vgpr 1
		.amdhsa_next_free_sgpr 0
		.amdhsa_accum_offset 4
		.amdhsa_reserve_vcc 0
		.amdhsa_reserve_flat_scratch 0
		.amdhsa_float_round_mode_32 0
		.amdhsa_float_round_mode_16_64 0
		.amdhsa_float_denorm_mode_32 3
		.amdhsa_float_denorm_mode_16_64 3
		.amdhsa_dx10_clamp 1
		.amdhsa_ieee_mode 1
		.amdhsa_fp16_overflow 0
		.amdhsa_tg_split 0
		.amdhsa_exception_fp_ieee_invalid_op 0
		.amdhsa_exception_fp_denorm_src 0
		.amdhsa_exception_fp_ieee_div_zero 0
		.amdhsa_exception_fp_ieee_overflow 0
		.amdhsa_exception_fp_ieee_underflow 0
		.amdhsa_exception_fp_ieee_inexact 0
		.amdhsa_exception_int_div_zero 0
	.end_amdhsa_kernel
	.section	.text._ZN7rocprim17ROCPRIM_400000_NS6detail17trampoline_kernelINS0_14default_configENS1_25transform_config_selectorIjLb0EEEZNS1_14transform_implILb0ES3_S5_NS0_18transform_iteratorINS0_17counting_iteratorImlEEZNS1_24adjacent_difference_implIS3_Lb1ELb0EPjSB_N6thrust23THRUST_200600_302600_NS4plusIjEEEE10hipError_tPvRmT2_T3_mT4_P12ihipStream_tbEUlmE_jEESB_NS0_8identityIvEEEESG_SJ_SK_mSL_SN_bEUlT_E_NS1_11comp_targetILNS1_3genE10ELNS1_11target_archE1201ELNS1_3gpuE5ELNS1_3repE0EEENS1_30default_config_static_selectorELNS0_4arch9wavefront6targetE1EEEvT1_,"axG",@progbits,_ZN7rocprim17ROCPRIM_400000_NS6detail17trampoline_kernelINS0_14default_configENS1_25transform_config_selectorIjLb0EEEZNS1_14transform_implILb0ES3_S5_NS0_18transform_iteratorINS0_17counting_iteratorImlEEZNS1_24adjacent_difference_implIS3_Lb1ELb0EPjSB_N6thrust23THRUST_200600_302600_NS4plusIjEEEE10hipError_tPvRmT2_T3_mT4_P12ihipStream_tbEUlmE_jEESB_NS0_8identityIvEEEESG_SJ_SK_mSL_SN_bEUlT_E_NS1_11comp_targetILNS1_3genE10ELNS1_11target_archE1201ELNS1_3gpuE5ELNS1_3repE0EEENS1_30default_config_static_selectorELNS0_4arch9wavefront6targetE1EEEvT1_,comdat
.Lfunc_end403:
	.size	_ZN7rocprim17ROCPRIM_400000_NS6detail17trampoline_kernelINS0_14default_configENS1_25transform_config_selectorIjLb0EEEZNS1_14transform_implILb0ES3_S5_NS0_18transform_iteratorINS0_17counting_iteratorImlEEZNS1_24adjacent_difference_implIS3_Lb1ELb0EPjSB_N6thrust23THRUST_200600_302600_NS4plusIjEEEE10hipError_tPvRmT2_T3_mT4_P12ihipStream_tbEUlmE_jEESB_NS0_8identityIvEEEESG_SJ_SK_mSL_SN_bEUlT_E_NS1_11comp_targetILNS1_3genE10ELNS1_11target_archE1201ELNS1_3gpuE5ELNS1_3repE0EEENS1_30default_config_static_selectorELNS0_4arch9wavefront6targetE1EEEvT1_, .Lfunc_end403-_ZN7rocprim17ROCPRIM_400000_NS6detail17trampoline_kernelINS0_14default_configENS1_25transform_config_selectorIjLb0EEEZNS1_14transform_implILb0ES3_S5_NS0_18transform_iteratorINS0_17counting_iteratorImlEEZNS1_24adjacent_difference_implIS3_Lb1ELb0EPjSB_N6thrust23THRUST_200600_302600_NS4plusIjEEEE10hipError_tPvRmT2_T3_mT4_P12ihipStream_tbEUlmE_jEESB_NS0_8identityIvEEEESG_SJ_SK_mSL_SN_bEUlT_E_NS1_11comp_targetILNS1_3genE10ELNS1_11target_archE1201ELNS1_3gpuE5ELNS1_3repE0EEENS1_30default_config_static_selectorELNS0_4arch9wavefront6targetE1EEEvT1_
                                        ; -- End function
	.section	.AMDGPU.csdata,"",@progbits
; Kernel info:
; codeLenInByte = 0
; NumSgprs: 4
; NumVgprs: 0
; NumAgprs: 0
; TotalNumVgprs: 0
; ScratchSize: 0
; MemoryBound: 0
; FloatMode: 240
; IeeeMode: 1
; LDSByteSize: 0 bytes/workgroup (compile time only)
; SGPRBlocks: 0
; VGPRBlocks: 0
; NumSGPRsForWavesPerEU: 4
; NumVGPRsForWavesPerEU: 1
; AccumOffset: 4
; Occupancy: 8
; WaveLimiterHint : 0
; COMPUTE_PGM_RSRC2:SCRATCH_EN: 0
; COMPUTE_PGM_RSRC2:USER_SGPR: 6
; COMPUTE_PGM_RSRC2:TRAP_HANDLER: 0
; COMPUTE_PGM_RSRC2:TGID_X_EN: 1
; COMPUTE_PGM_RSRC2:TGID_Y_EN: 0
; COMPUTE_PGM_RSRC2:TGID_Z_EN: 0
; COMPUTE_PGM_RSRC2:TIDIG_COMP_CNT: 0
; COMPUTE_PGM_RSRC3_GFX90A:ACCUM_OFFSET: 0
; COMPUTE_PGM_RSRC3_GFX90A:TG_SPLIT: 0
	.section	.text._ZN7rocprim17ROCPRIM_400000_NS6detail17trampoline_kernelINS0_14default_configENS1_25transform_config_selectorIjLb0EEEZNS1_14transform_implILb0ES3_S5_NS0_18transform_iteratorINS0_17counting_iteratorImlEEZNS1_24adjacent_difference_implIS3_Lb1ELb0EPjSB_N6thrust23THRUST_200600_302600_NS4plusIjEEEE10hipError_tPvRmT2_T3_mT4_P12ihipStream_tbEUlmE_jEESB_NS0_8identityIvEEEESG_SJ_SK_mSL_SN_bEUlT_E_NS1_11comp_targetILNS1_3genE10ELNS1_11target_archE1200ELNS1_3gpuE4ELNS1_3repE0EEENS1_30default_config_static_selectorELNS0_4arch9wavefront6targetE1EEEvT1_,"axG",@progbits,_ZN7rocprim17ROCPRIM_400000_NS6detail17trampoline_kernelINS0_14default_configENS1_25transform_config_selectorIjLb0EEEZNS1_14transform_implILb0ES3_S5_NS0_18transform_iteratorINS0_17counting_iteratorImlEEZNS1_24adjacent_difference_implIS3_Lb1ELb0EPjSB_N6thrust23THRUST_200600_302600_NS4plusIjEEEE10hipError_tPvRmT2_T3_mT4_P12ihipStream_tbEUlmE_jEESB_NS0_8identityIvEEEESG_SJ_SK_mSL_SN_bEUlT_E_NS1_11comp_targetILNS1_3genE10ELNS1_11target_archE1200ELNS1_3gpuE4ELNS1_3repE0EEENS1_30default_config_static_selectorELNS0_4arch9wavefront6targetE1EEEvT1_,comdat
	.protected	_ZN7rocprim17ROCPRIM_400000_NS6detail17trampoline_kernelINS0_14default_configENS1_25transform_config_selectorIjLb0EEEZNS1_14transform_implILb0ES3_S5_NS0_18transform_iteratorINS0_17counting_iteratorImlEEZNS1_24adjacent_difference_implIS3_Lb1ELb0EPjSB_N6thrust23THRUST_200600_302600_NS4plusIjEEEE10hipError_tPvRmT2_T3_mT4_P12ihipStream_tbEUlmE_jEESB_NS0_8identityIvEEEESG_SJ_SK_mSL_SN_bEUlT_E_NS1_11comp_targetILNS1_3genE10ELNS1_11target_archE1200ELNS1_3gpuE4ELNS1_3repE0EEENS1_30default_config_static_selectorELNS0_4arch9wavefront6targetE1EEEvT1_ ; -- Begin function _ZN7rocprim17ROCPRIM_400000_NS6detail17trampoline_kernelINS0_14default_configENS1_25transform_config_selectorIjLb0EEEZNS1_14transform_implILb0ES3_S5_NS0_18transform_iteratorINS0_17counting_iteratorImlEEZNS1_24adjacent_difference_implIS3_Lb1ELb0EPjSB_N6thrust23THRUST_200600_302600_NS4plusIjEEEE10hipError_tPvRmT2_T3_mT4_P12ihipStream_tbEUlmE_jEESB_NS0_8identityIvEEEESG_SJ_SK_mSL_SN_bEUlT_E_NS1_11comp_targetILNS1_3genE10ELNS1_11target_archE1200ELNS1_3gpuE4ELNS1_3repE0EEENS1_30default_config_static_selectorELNS0_4arch9wavefront6targetE1EEEvT1_
	.globl	_ZN7rocprim17ROCPRIM_400000_NS6detail17trampoline_kernelINS0_14default_configENS1_25transform_config_selectorIjLb0EEEZNS1_14transform_implILb0ES3_S5_NS0_18transform_iteratorINS0_17counting_iteratorImlEEZNS1_24adjacent_difference_implIS3_Lb1ELb0EPjSB_N6thrust23THRUST_200600_302600_NS4plusIjEEEE10hipError_tPvRmT2_T3_mT4_P12ihipStream_tbEUlmE_jEESB_NS0_8identityIvEEEESG_SJ_SK_mSL_SN_bEUlT_E_NS1_11comp_targetILNS1_3genE10ELNS1_11target_archE1200ELNS1_3gpuE4ELNS1_3repE0EEENS1_30default_config_static_selectorELNS0_4arch9wavefront6targetE1EEEvT1_
	.p2align	8
	.type	_ZN7rocprim17ROCPRIM_400000_NS6detail17trampoline_kernelINS0_14default_configENS1_25transform_config_selectorIjLb0EEEZNS1_14transform_implILb0ES3_S5_NS0_18transform_iteratorINS0_17counting_iteratorImlEEZNS1_24adjacent_difference_implIS3_Lb1ELb0EPjSB_N6thrust23THRUST_200600_302600_NS4plusIjEEEE10hipError_tPvRmT2_T3_mT4_P12ihipStream_tbEUlmE_jEESB_NS0_8identityIvEEEESG_SJ_SK_mSL_SN_bEUlT_E_NS1_11comp_targetILNS1_3genE10ELNS1_11target_archE1200ELNS1_3gpuE4ELNS1_3repE0EEENS1_30default_config_static_selectorELNS0_4arch9wavefront6targetE1EEEvT1_,@function
_ZN7rocprim17ROCPRIM_400000_NS6detail17trampoline_kernelINS0_14default_configENS1_25transform_config_selectorIjLb0EEEZNS1_14transform_implILb0ES3_S5_NS0_18transform_iteratorINS0_17counting_iteratorImlEEZNS1_24adjacent_difference_implIS3_Lb1ELb0EPjSB_N6thrust23THRUST_200600_302600_NS4plusIjEEEE10hipError_tPvRmT2_T3_mT4_P12ihipStream_tbEUlmE_jEESB_NS0_8identityIvEEEESG_SJ_SK_mSL_SN_bEUlT_E_NS1_11comp_targetILNS1_3genE10ELNS1_11target_archE1200ELNS1_3gpuE4ELNS1_3repE0EEENS1_30default_config_static_selectorELNS0_4arch9wavefront6targetE1EEEvT1_: ; @_ZN7rocprim17ROCPRIM_400000_NS6detail17trampoline_kernelINS0_14default_configENS1_25transform_config_selectorIjLb0EEEZNS1_14transform_implILb0ES3_S5_NS0_18transform_iteratorINS0_17counting_iteratorImlEEZNS1_24adjacent_difference_implIS3_Lb1ELb0EPjSB_N6thrust23THRUST_200600_302600_NS4plusIjEEEE10hipError_tPvRmT2_T3_mT4_P12ihipStream_tbEUlmE_jEESB_NS0_8identityIvEEEESG_SJ_SK_mSL_SN_bEUlT_E_NS1_11comp_targetILNS1_3genE10ELNS1_11target_archE1200ELNS1_3gpuE4ELNS1_3repE0EEENS1_30default_config_static_selectorELNS0_4arch9wavefront6targetE1EEEvT1_
; %bb.0:
	.section	.rodata,"a",@progbits
	.p2align	6, 0x0
	.amdhsa_kernel _ZN7rocprim17ROCPRIM_400000_NS6detail17trampoline_kernelINS0_14default_configENS1_25transform_config_selectorIjLb0EEEZNS1_14transform_implILb0ES3_S5_NS0_18transform_iteratorINS0_17counting_iteratorImlEEZNS1_24adjacent_difference_implIS3_Lb1ELb0EPjSB_N6thrust23THRUST_200600_302600_NS4plusIjEEEE10hipError_tPvRmT2_T3_mT4_P12ihipStream_tbEUlmE_jEESB_NS0_8identityIvEEEESG_SJ_SK_mSL_SN_bEUlT_E_NS1_11comp_targetILNS1_3genE10ELNS1_11target_archE1200ELNS1_3gpuE4ELNS1_3repE0EEENS1_30default_config_static_selectorELNS0_4arch9wavefront6targetE1EEEvT1_
		.amdhsa_group_segment_fixed_size 0
		.amdhsa_private_segment_fixed_size 0
		.amdhsa_kernarg_size 56
		.amdhsa_user_sgpr_count 6
		.amdhsa_user_sgpr_private_segment_buffer 1
		.amdhsa_user_sgpr_dispatch_ptr 0
		.amdhsa_user_sgpr_queue_ptr 0
		.amdhsa_user_sgpr_kernarg_segment_ptr 1
		.amdhsa_user_sgpr_dispatch_id 0
		.amdhsa_user_sgpr_flat_scratch_init 0
		.amdhsa_user_sgpr_kernarg_preload_length 0
		.amdhsa_user_sgpr_kernarg_preload_offset 0
		.amdhsa_user_sgpr_private_segment_size 0
		.amdhsa_uses_dynamic_stack 0
		.amdhsa_system_sgpr_private_segment_wavefront_offset 0
		.amdhsa_system_sgpr_workgroup_id_x 1
		.amdhsa_system_sgpr_workgroup_id_y 0
		.amdhsa_system_sgpr_workgroup_id_z 0
		.amdhsa_system_sgpr_workgroup_info 0
		.amdhsa_system_vgpr_workitem_id 0
		.amdhsa_next_free_vgpr 1
		.amdhsa_next_free_sgpr 0
		.amdhsa_accum_offset 4
		.amdhsa_reserve_vcc 0
		.amdhsa_reserve_flat_scratch 0
		.amdhsa_float_round_mode_32 0
		.amdhsa_float_round_mode_16_64 0
		.amdhsa_float_denorm_mode_32 3
		.amdhsa_float_denorm_mode_16_64 3
		.amdhsa_dx10_clamp 1
		.amdhsa_ieee_mode 1
		.amdhsa_fp16_overflow 0
		.amdhsa_tg_split 0
		.amdhsa_exception_fp_ieee_invalid_op 0
		.amdhsa_exception_fp_denorm_src 0
		.amdhsa_exception_fp_ieee_div_zero 0
		.amdhsa_exception_fp_ieee_overflow 0
		.amdhsa_exception_fp_ieee_underflow 0
		.amdhsa_exception_fp_ieee_inexact 0
		.amdhsa_exception_int_div_zero 0
	.end_amdhsa_kernel
	.section	.text._ZN7rocprim17ROCPRIM_400000_NS6detail17trampoline_kernelINS0_14default_configENS1_25transform_config_selectorIjLb0EEEZNS1_14transform_implILb0ES3_S5_NS0_18transform_iteratorINS0_17counting_iteratorImlEEZNS1_24adjacent_difference_implIS3_Lb1ELb0EPjSB_N6thrust23THRUST_200600_302600_NS4plusIjEEEE10hipError_tPvRmT2_T3_mT4_P12ihipStream_tbEUlmE_jEESB_NS0_8identityIvEEEESG_SJ_SK_mSL_SN_bEUlT_E_NS1_11comp_targetILNS1_3genE10ELNS1_11target_archE1200ELNS1_3gpuE4ELNS1_3repE0EEENS1_30default_config_static_selectorELNS0_4arch9wavefront6targetE1EEEvT1_,"axG",@progbits,_ZN7rocprim17ROCPRIM_400000_NS6detail17trampoline_kernelINS0_14default_configENS1_25transform_config_selectorIjLb0EEEZNS1_14transform_implILb0ES3_S5_NS0_18transform_iteratorINS0_17counting_iteratorImlEEZNS1_24adjacent_difference_implIS3_Lb1ELb0EPjSB_N6thrust23THRUST_200600_302600_NS4plusIjEEEE10hipError_tPvRmT2_T3_mT4_P12ihipStream_tbEUlmE_jEESB_NS0_8identityIvEEEESG_SJ_SK_mSL_SN_bEUlT_E_NS1_11comp_targetILNS1_3genE10ELNS1_11target_archE1200ELNS1_3gpuE4ELNS1_3repE0EEENS1_30default_config_static_selectorELNS0_4arch9wavefront6targetE1EEEvT1_,comdat
.Lfunc_end404:
	.size	_ZN7rocprim17ROCPRIM_400000_NS6detail17trampoline_kernelINS0_14default_configENS1_25transform_config_selectorIjLb0EEEZNS1_14transform_implILb0ES3_S5_NS0_18transform_iteratorINS0_17counting_iteratorImlEEZNS1_24adjacent_difference_implIS3_Lb1ELb0EPjSB_N6thrust23THRUST_200600_302600_NS4plusIjEEEE10hipError_tPvRmT2_T3_mT4_P12ihipStream_tbEUlmE_jEESB_NS0_8identityIvEEEESG_SJ_SK_mSL_SN_bEUlT_E_NS1_11comp_targetILNS1_3genE10ELNS1_11target_archE1200ELNS1_3gpuE4ELNS1_3repE0EEENS1_30default_config_static_selectorELNS0_4arch9wavefront6targetE1EEEvT1_, .Lfunc_end404-_ZN7rocprim17ROCPRIM_400000_NS6detail17trampoline_kernelINS0_14default_configENS1_25transform_config_selectorIjLb0EEEZNS1_14transform_implILb0ES3_S5_NS0_18transform_iteratorINS0_17counting_iteratorImlEEZNS1_24adjacent_difference_implIS3_Lb1ELb0EPjSB_N6thrust23THRUST_200600_302600_NS4plusIjEEEE10hipError_tPvRmT2_T3_mT4_P12ihipStream_tbEUlmE_jEESB_NS0_8identityIvEEEESG_SJ_SK_mSL_SN_bEUlT_E_NS1_11comp_targetILNS1_3genE10ELNS1_11target_archE1200ELNS1_3gpuE4ELNS1_3repE0EEENS1_30default_config_static_selectorELNS0_4arch9wavefront6targetE1EEEvT1_
                                        ; -- End function
	.section	.AMDGPU.csdata,"",@progbits
; Kernel info:
; codeLenInByte = 0
; NumSgprs: 4
; NumVgprs: 0
; NumAgprs: 0
; TotalNumVgprs: 0
; ScratchSize: 0
; MemoryBound: 0
; FloatMode: 240
; IeeeMode: 1
; LDSByteSize: 0 bytes/workgroup (compile time only)
; SGPRBlocks: 0
; VGPRBlocks: 0
; NumSGPRsForWavesPerEU: 4
; NumVGPRsForWavesPerEU: 1
; AccumOffset: 4
; Occupancy: 8
; WaveLimiterHint : 0
; COMPUTE_PGM_RSRC2:SCRATCH_EN: 0
; COMPUTE_PGM_RSRC2:USER_SGPR: 6
; COMPUTE_PGM_RSRC2:TRAP_HANDLER: 0
; COMPUTE_PGM_RSRC2:TGID_X_EN: 1
; COMPUTE_PGM_RSRC2:TGID_Y_EN: 0
; COMPUTE_PGM_RSRC2:TGID_Z_EN: 0
; COMPUTE_PGM_RSRC2:TIDIG_COMP_CNT: 0
; COMPUTE_PGM_RSRC3_GFX90A:ACCUM_OFFSET: 0
; COMPUTE_PGM_RSRC3_GFX90A:TG_SPLIT: 0
	.section	.text._ZN7rocprim17ROCPRIM_400000_NS6detail17trampoline_kernelINS0_14default_configENS1_25transform_config_selectorIjLb0EEEZNS1_14transform_implILb0ES3_S5_NS0_18transform_iteratorINS0_17counting_iteratorImlEEZNS1_24adjacent_difference_implIS3_Lb1ELb0EPjSB_N6thrust23THRUST_200600_302600_NS4plusIjEEEE10hipError_tPvRmT2_T3_mT4_P12ihipStream_tbEUlmE_jEESB_NS0_8identityIvEEEESG_SJ_SK_mSL_SN_bEUlT_E_NS1_11comp_targetILNS1_3genE9ELNS1_11target_archE1100ELNS1_3gpuE3ELNS1_3repE0EEENS1_30default_config_static_selectorELNS0_4arch9wavefront6targetE1EEEvT1_,"axG",@progbits,_ZN7rocprim17ROCPRIM_400000_NS6detail17trampoline_kernelINS0_14default_configENS1_25transform_config_selectorIjLb0EEEZNS1_14transform_implILb0ES3_S5_NS0_18transform_iteratorINS0_17counting_iteratorImlEEZNS1_24adjacent_difference_implIS3_Lb1ELb0EPjSB_N6thrust23THRUST_200600_302600_NS4plusIjEEEE10hipError_tPvRmT2_T3_mT4_P12ihipStream_tbEUlmE_jEESB_NS0_8identityIvEEEESG_SJ_SK_mSL_SN_bEUlT_E_NS1_11comp_targetILNS1_3genE9ELNS1_11target_archE1100ELNS1_3gpuE3ELNS1_3repE0EEENS1_30default_config_static_selectorELNS0_4arch9wavefront6targetE1EEEvT1_,comdat
	.protected	_ZN7rocprim17ROCPRIM_400000_NS6detail17trampoline_kernelINS0_14default_configENS1_25transform_config_selectorIjLb0EEEZNS1_14transform_implILb0ES3_S5_NS0_18transform_iteratorINS0_17counting_iteratorImlEEZNS1_24adjacent_difference_implIS3_Lb1ELb0EPjSB_N6thrust23THRUST_200600_302600_NS4plusIjEEEE10hipError_tPvRmT2_T3_mT4_P12ihipStream_tbEUlmE_jEESB_NS0_8identityIvEEEESG_SJ_SK_mSL_SN_bEUlT_E_NS1_11comp_targetILNS1_3genE9ELNS1_11target_archE1100ELNS1_3gpuE3ELNS1_3repE0EEENS1_30default_config_static_selectorELNS0_4arch9wavefront6targetE1EEEvT1_ ; -- Begin function _ZN7rocprim17ROCPRIM_400000_NS6detail17trampoline_kernelINS0_14default_configENS1_25transform_config_selectorIjLb0EEEZNS1_14transform_implILb0ES3_S5_NS0_18transform_iteratorINS0_17counting_iteratorImlEEZNS1_24adjacent_difference_implIS3_Lb1ELb0EPjSB_N6thrust23THRUST_200600_302600_NS4plusIjEEEE10hipError_tPvRmT2_T3_mT4_P12ihipStream_tbEUlmE_jEESB_NS0_8identityIvEEEESG_SJ_SK_mSL_SN_bEUlT_E_NS1_11comp_targetILNS1_3genE9ELNS1_11target_archE1100ELNS1_3gpuE3ELNS1_3repE0EEENS1_30default_config_static_selectorELNS0_4arch9wavefront6targetE1EEEvT1_
	.globl	_ZN7rocprim17ROCPRIM_400000_NS6detail17trampoline_kernelINS0_14default_configENS1_25transform_config_selectorIjLb0EEEZNS1_14transform_implILb0ES3_S5_NS0_18transform_iteratorINS0_17counting_iteratorImlEEZNS1_24adjacent_difference_implIS3_Lb1ELb0EPjSB_N6thrust23THRUST_200600_302600_NS4plusIjEEEE10hipError_tPvRmT2_T3_mT4_P12ihipStream_tbEUlmE_jEESB_NS0_8identityIvEEEESG_SJ_SK_mSL_SN_bEUlT_E_NS1_11comp_targetILNS1_3genE9ELNS1_11target_archE1100ELNS1_3gpuE3ELNS1_3repE0EEENS1_30default_config_static_selectorELNS0_4arch9wavefront6targetE1EEEvT1_
	.p2align	8
	.type	_ZN7rocprim17ROCPRIM_400000_NS6detail17trampoline_kernelINS0_14default_configENS1_25transform_config_selectorIjLb0EEEZNS1_14transform_implILb0ES3_S5_NS0_18transform_iteratorINS0_17counting_iteratorImlEEZNS1_24adjacent_difference_implIS3_Lb1ELb0EPjSB_N6thrust23THRUST_200600_302600_NS4plusIjEEEE10hipError_tPvRmT2_T3_mT4_P12ihipStream_tbEUlmE_jEESB_NS0_8identityIvEEEESG_SJ_SK_mSL_SN_bEUlT_E_NS1_11comp_targetILNS1_3genE9ELNS1_11target_archE1100ELNS1_3gpuE3ELNS1_3repE0EEENS1_30default_config_static_selectorELNS0_4arch9wavefront6targetE1EEEvT1_,@function
_ZN7rocprim17ROCPRIM_400000_NS6detail17trampoline_kernelINS0_14default_configENS1_25transform_config_selectorIjLb0EEEZNS1_14transform_implILb0ES3_S5_NS0_18transform_iteratorINS0_17counting_iteratorImlEEZNS1_24adjacent_difference_implIS3_Lb1ELb0EPjSB_N6thrust23THRUST_200600_302600_NS4plusIjEEEE10hipError_tPvRmT2_T3_mT4_P12ihipStream_tbEUlmE_jEESB_NS0_8identityIvEEEESG_SJ_SK_mSL_SN_bEUlT_E_NS1_11comp_targetILNS1_3genE9ELNS1_11target_archE1100ELNS1_3gpuE3ELNS1_3repE0EEENS1_30default_config_static_selectorELNS0_4arch9wavefront6targetE1EEEvT1_: ; @_ZN7rocprim17ROCPRIM_400000_NS6detail17trampoline_kernelINS0_14default_configENS1_25transform_config_selectorIjLb0EEEZNS1_14transform_implILb0ES3_S5_NS0_18transform_iteratorINS0_17counting_iteratorImlEEZNS1_24adjacent_difference_implIS3_Lb1ELb0EPjSB_N6thrust23THRUST_200600_302600_NS4plusIjEEEE10hipError_tPvRmT2_T3_mT4_P12ihipStream_tbEUlmE_jEESB_NS0_8identityIvEEEESG_SJ_SK_mSL_SN_bEUlT_E_NS1_11comp_targetILNS1_3genE9ELNS1_11target_archE1100ELNS1_3gpuE3ELNS1_3repE0EEENS1_30default_config_static_selectorELNS0_4arch9wavefront6targetE1EEEvT1_
; %bb.0:
	.section	.rodata,"a",@progbits
	.p2align	6, 0x0
	.amdhsa_kernel _ZN7rocprim17ROCPRIM_400000_NS6detail17trampoline_kernelINS0_14default_configENS1_25transform_config_selectorIjLb0EEEZNS1_14transform_implILb0ES3_S5_NS0_18transform_iteratorINS0_17counting_iteratorImlEEZNS1_24adjacent_difference_implIS3_Lb1ELb0EPjSB_N6thrust23THRUST_200600_302600_NS4plusIjEEEE10hipError_tPvRmT2_T3_mT4_P12ihipStream_tbEUlmE_jEESB_NS0_8identityIvEEEESG_SJ_SK_mSL_SN_bEUlT_E_NS1_11comp_targetILNS1_3genE9ELNS1_11target_archE1100ELNS1_3gpuE3ELNS1_3repE0EEENS1_30default_config_static_selectorELNS0_4arch9wavefront6targetE1EEEvT1_
		.amdhsa_group_segment_fixed_size 0
		.amdhsa_private_segment_fixed_size 0
		.amdhsa_kernarg_size 56
		.amdhsa_user_sgpr_count 6
		.amdhsa_user_sgpr_private_segment_buffer 1
		.amdhsa_user_sgpr_dispatch_ptr 0
		.amdhsa_user_sgpr_queue_ptr 0
		.amdhsa_user_sgpr_kernarg_segment_ptr 1
		.amdhsa_user_sgpr_dispatch_id 0
		.amdhsa_user_sgpr_flat_scratch_init 0
		.amdhsa_user_sgpr_kernarg_preload_length 0
		.amdhsa_user_sgpr_kernarg_preload_offset 0
		.amdhsa_user_sgpr_private_segment_size 0
		.amdhsa_uses_dynamic_stack 0
		.amdhsa_system_sgpr_private_segment_wavefront_offset 0
		.amdhsa_system_sgpr_workgroup_id_x 1
		.amdhsa_system_sgpr_workgroup_id_y 0
		.amdhsa_system_sgpr_workgroup_id_z 0
		.amdhsa_system_sgpr_workgroup_info 0
		.amdhsa_system_vgpr_workitem_id 0
		.amdhsa_next_free_vgpr 1
		.amdhsa_next_free_sgpr 0
		.amdhsa_accum_offset 4
		.amdhsa_reserve_vcc 0
		.amdhsa_reserve_flat_scratch 0
		.amdhsa_float_round_mode_32 0
		.amdhsa_float_round_mode_16_64 0
		.amdhsa_float_denorm_mode_32 3
		.amdhsa_float_denorm_mode_16_64 3
		.amdhsa_dx10_clamp 1
		.amdhsa_ieee_mode 1
		.amdhsa_fp16_overflow 0
		.amdhsa_tg_split 0
		.amdhsa_exception_fp_ieee_invalid_op 0
		.amdhsa_exception_fp_denorm_src 0
		.amdhsa_exception_fp_ieee_div_zero 0
		.amdhsa_exception_fp_ieee_overflow 0
		.amdhsa_exception_fp_ieee_underflow 0
		.amdhsa_exception_fp_ieee_inexact 0
		.amdhsa_exception_int_div_zero 0
	.end_amdhsa_kernel
	.section	.text._ZN7rocprim17ROCPRIM_400000_NS6detail17trampoline_kernelINS0_14default_configENS1_25transform_config_selectorIjLb0EEEZNS1_14transform_implILb0ES3_S5_NS0_18transform_iteratorINS0_17counting_iteratorImlEEZNS1_24adjacent_difference_implIS3_Lb1ELb0EPjSB_N6thrust23THRUST_200600_302600_NS4plusIjEEEE10hipError_tPvRmT2_T3_mT4_P12ihipStream_tbEUlmE_jEESB_NS0_8identityIvEEEESG_SJ_SK_mSL_SN_bEUlT_E_NS1_11comp_targetILNS1_3genE9ELNS1_11target_archE1100ELNS1_3gpuE3ELNS1_3repE0EEENS1_30default_config_static_selectorELNS0_4arch9wavefront6targetE1EEEvT1_,"axG",@progbits,_ZN7rocprim17ROCPRIM_400000_NS6detail17trampoline_kernelINS0_14default_configENS1_25transform_config_selectorIjLb0EEEZNS1_14transform_implILb0ES3_S5_NS0_18transform_iteratorINS0_17counting_iteratorImlEEZNS1_24adjacent_difference_implIS3_Lb1ELb0EPjSB_N6thrust23THRUST_200600_302600_NS4plusIjEEEE10hipError_tPvRmT2_T3_mT4_P12ihipStream_tbEUlmE_jEESB_NS0_8identityIvEEEESG_SJ_SK_mSL_SN_bEUlT_E_NS1_11comp_targetILNS1_3genE9ELNS1_11target_archE1100ELNS1_3gpuE3ELNS1_3repE0EEENS1_30default_config_static_selectorELNS0_4arch9wavefront6targetE1EEEvT1_,comdat
.Lfunc_end405:
	.size	_ZN7rocprim17ROCPRIM_400000_NS6detail17trampoline_kernelINS0_14default_configENS1_25transform_config_selectorIjLb0EEEZNS1_14transform_implILb0ES3_S5_NS0_18transform_iteratorINS0_17counting_iteratorImlEEZNS1_24adjacent_difference_implIS3_Lb1ELb0EPjSB_N6thrust23THRUST_200600_302600_NS4plusIjEEEE10hipError_tPvRmT2_T3_mT4_P12ihipStream_tbEUlmE_jEESB_NS0_8identityIvEEEESG_SJ_SK_mSL_SN_bEUlT_E_NS1_11comp_targetILNS1_3genE9ELNS1_11target_archE1100ELNS1_3gpuE3ELNS1_3repE0EEENS1_30default_config_static_selectorELNS0_4arch9wavefront6targetE1EEEvT1_, .Lfunc_end405-_ZN7rocprim17ROCPRIM_400000_NS6detail17trampoline_kernelINS0_14default_configENS1_25transform_config_selectorIjLb0EEEZNS1_14transform_implILb0ES3_S5_NS0_18transform_iteratorINS0_17counting_iteratorImlEEZNS1_24adjacent_difference_implIS3_Lb1ELb0EPjSB_N6thrust23THRUST_200600_302600_NS4plusIjEEEE10hipError_tPvRmT2_T3_mT4_P12ihipStream_tbEUlmE_jEESB_NS0_8identityIvEEEESG_SJ_SK_mSL_SN_bEUlT_E_NS1_11comp_targetILNS1_3genE9ELNS1_11target_archE1100ELNS1_3gpuE3ELNS1_3repE0EEENS1_30default_config_static_selectorELNS0_4arch9wavefront6targetE1EEEvT1_
                                        ; -- End function
	.section	.AMDGPU.csdata,"",@progbits
; Kernel info:
; codeLenInByte = 0
; NumSgprs: 4
; NumVgprs: 0
; NumAgprs: 0
; TotalNumVgprs: 0
; ScratchSize: 0
; MemoryBound: 0
; FloatMode: 240
; IeeeMode: 1
; LDSByteSize: 0 bytes/workgroup (compile time only)
; SGPRBlocks: 0
; VGPRBlocks: 0
; NumSGPRsForWavesPerEU: 4
; NumVGPRsForWavesPerEU: 1
; AccumOffset: 4
; Occupancy: 8
; WaveLimiterHint : 0
; COMPUTE_PGM_RSRC2:SCRATCH_EN: 0
; COMPUTE_PGM_RSRC2:USER_SGPR: 6
; COMPUTE_PGM_RSRC2:TRAP_HANDLER: 0
; COMPUTE_PGM_RSRC2:TGID_X_EN: 1
; COMPUTE_PGM_RSRC2:TGID_Y_EN: 0
; COMPUTE_PGM_RSRC2:TGID_Z_EN: 0
; COMPUTE_PGM_RSRC2:TIDIG_COMP_CNT: 0
; COMPUTE_PGM_RSRC3_GFX90A:ACCUM_OFFSET: 0
; COMPUTE_PGM_RSRC3_GFX90A:TG_SPLIT: 0
	.section	.text._ZN7rocprim17ROCPRIM_400000_NS6detail17trampoline_kernelINS0_14default_configENS1_25transform_config_selectorIjLb0EEEZNS1_14transform_implILb0ES3_S5_NS0_18transform_iteratorINS0_17counting_iteratorImlEEZNS1_24adjacent_difference_implIS3_Lb1ELb0EPjSB_N6thrust23THRUST_200600_302600_NS4plusIjEEEE10hipError_tPvRmT2_T3_mT4_P12ihipStream_tbEUlmE_jEESB_NS0_8identityIvEEEESG_SJ_SK_mSL_SN_bEUlT_E_NS1_11comp_targetILNS1_3genE8ELNS1_11target_archE1030ELNS1_3gpuE2ELNS1_3repE0EEENS1_30default_config_static_selectorELNS0_4arch9wavefront6targetE1EEEvT1_,"axG",@progbits,_ZN7rocprim17ROCPRIM_400000_NS6detail17trampoline_kernelINS0_14default_configENS1_25transform_config_selectorIjLb0EEEZNS1_14transform_implILb0ES3_S5_NS0_18transform_iteratorINS0_17counting_iteratorImlEEZNS1_24adjacent_difference_implIS3_Lb1ELb0EPjSB_N6thrust23THRUST_200600_302600_NS4plusIjEEEE10hipError_tPvRmT2_T3_mT4_P12ihipStream_tbEUlmE_jEESB_NS0_8identityIvEEEESG_SJ_SK_mSL_SN_bEUlT_E_NS1_11comp_targetILNS1_3genE8ELNS1_11target_archE1030ELNS1_3gpuE2ELNS1_3repE0EEENS1_30default_config_static_selectorELNS0_4arch9wavefront6targetE1EEEvT1_,comdat
	.protected	_ZN7rocprim17ROCPRIM_400000_NS6detail17trampoline_kernelINS0_14default_configENS1_25transform_config_selectorIjLb0EEEZNS1_14transform_implILb0ES3_S5_NS0_18transform_iteratorINS0_17counting_iteratorImlEEZNS1_24adjacent_difference_implIS3_Lb1ELb0EPjSB_N6thrust23THRUST_200600_302600_NS4plusIjEEEE10hipError_tPvRmT2_T3_mT4_P12ihipStream_tbEUlmE_jEESB_NS0_8identityIvEEEESG_SJ_SK_mSL_SN_bEUlT_E_NS1_11comp_targetILNS1_3genE8ELNS1_11target_archE1030ELNS1_3gpuE2ELNS1_3repE0EEENS1_30default_config_static_selectorELNS0_4arch9wavefront6targetE1EEEvT1_ ; -- Begin function _ZN7rocprim17ROCPRIM_400000_NS6detail17trampoline_kernelINS0_14default_configENS1_25transform_config_selectorIjLb0EEEZNS1_14transform_implILb0ES3_S5_NS0_18transform_iteratorINS0_17counting_iteratorImlEEZNS1_24adjacent_difference_implIS3_Lb1ELb0EPjSB_N6thrust23THRUST_200600_302600_NS4plusIjEEEE10hipError_tPvRmT2_T3_mT4_P12ihipStream_tbEUlmE_jEESB_NS0_8identityIvEEEESG_SJ_SK_mSL_SN_bEUlT_E_NS1_11comp_targetILNS1_3genE8ELNS1_11target_archE1030ELNS1_3gpuE2ELNS1_3repE0EEENS1_30default_config_static_selectorELNS0_4arch9wavefront6targetE1EEEvT1_
	.globl	_ZN7rocprim17ROCPRIM_400000_NS6detail17trampoline_kernelINS0_14default_configENS1_25transform_config_selectorIjLb0EEEZNS1_14transform_implILb0ES3_S5_NS0_18transform_iteratorINS0_17counting_iteratorImlEEZNS1_24adjacent_difference_implIS3_Lb1ELb0EPjSB_N6thrust23THRUST_200600_302600_NS4plusIjEEEE10hipError_tPvRmT2_T3_mT4_P12ihipStream_tbEUlmE_jEESB_NS0_8identityIvEEEESG_SJ_SK_mSL_SN_bEUlT_E_NS1_11comp_targetILNS1_3genE8ELNS1_11target_archE1030ELNS1_3gpuE2ELNS1_3repE0EEENS1_30default_config_static_selectorELNS0_4arch9wavefront6targetE1EEEvT1_
	.p2align	8
	.type	_ZN7rocprim17ROCPRIM_400000_NS6detail17trampoline_kernelINS0_14default_configENS1_25transform_config_selectorIjLb0EEEZNS1_14transform_implILb0ES3_S5_NS0_18transform_iteratorINS0_17counting_iteratorImlEEZNS1_24adjacent_difference_implIS3_Lb1ELb0EPjSB_N6thrust23THRUST_200600_302600_NS4plusIjEEEE10hipError_tPvRmT2_T3_mT4_P12ihipStream_tbEUlmE_jEESB_NS0_8identityIvEEEESG_SJ_SK_mSL_SN_bEUlT_E_NS1_11comp_targetILNS1_3genE8ELNS1_11target_archE1030ELNS1_3gpuE2ELNS1_3repE0EEENS1_30default_config_static_selectorELNS0_4arch9wavefront6targetE1EEEvT1_,@function
_ZN7rocprim17ROCPRIM_400000_NS6detail17trampoline_kernelINS0_14default_configENS1_25transform_config_selectorIjLb0EEEZNS1_14transform_implILb0ES3_S5_NS0_18transform_iteratorINS0_17counting_iteratorImlEEZNS1_24adjacent_difference_implIS3_Lb1ELb0EPjSB_N6thrust23THRUST_200600_302600_NS4plusIjEEEE10hipError_tPvRmT2_T3_mT4_P12ihipStream_tbEUlmE_jEESB_NS0_8identityIvEEEESG_SJ_SK_mSL_SN_bEUlT_E_NS1_11comp_targetILNS1_3genE8ELNS1_11target_archE1030ELNS1_3gpuE2ELNS1_3repE0EEENS1_30default_config_static_selectorELNS0_4arch9wavefront6targetE1EEEvT1_: ; @_ZN7rocprim17ROCPRIM_400000_NS6detail17trampoline_kernelINS0_14default_configENS1_25transform_config_selectorIjLb0EEEZNS1_14transform_implILb0ES3_S5_NS0_18transform_iteratorINS0_17counting_iteratorImlEEZNS1_24adjacent_difference_implIS3_Lb1ELb0EPjSB_N6thrust23THRUST_200600_302600_NS4plusIjEEEE10hipError_tPvRmT2_T3_mT4_P12ihipStream_tbEUlmE_jEESB_NS0_8identityIvEEEESG_SJ_SK_mSL_SN_bEUlT_E_NS1_11comp_targetILNS1_3genE8ELNS1_11target_archE1030ELNS1_3gpuE2ELNS1_3repE0EEENS1_30default_config_static_selectorELNS0_4arch9wavefront6targetE1EEEvT1_
; %bb.0:
	.section	.rodata,"a",@progbits
	.p2align	6, 0x0
	.amdhsa_kernel _ZN7rocprim17ROCPRIM_400000_NS6detail17trampoline_kernelINS0_14default_configENS1_25transform_config_selectorIjLb0EEEZNS1_14transform_implILb0ES3_S5_NS0_18transform_iteratorINS0_17counting_iteratorImlEEZNS1_24adjacent_difference_implIS3_Lb1ELb0EPjSB_N6thrust23THRUST_200600_302600_NS4plusIjEEEE10hipError_tPvRmT2_T3_mT4_P12ihipStream_tbEUlmE_jEESB_NS0_8identityIvEEEESG_SJ_SK_mSL_SN_bEUlT_E_NS1_11comp_targetILNS1_3genE8ELNS1_11target_archE1030ELNS1_3gpuE2ELNS1_3repE0EEENS1_30default_config_static_selectorELNS0_4arch9wavefront6targetE1EEEvT1_
		.amdhsa_group_segment_fixed_size 0
		.amdhsa_private_segment_fixed_size 0
		.amdhsa_kernarg_size 56
		.amdhsa_user_sgpr_count 6
		.amdhsa_user_sgpr_private_segment_buffer 1
		.amdhsa_user_sgpr_dispatch_ptr 0
		.amdhsa_user_sgpr_queue_ptr 0
		.amdhsa_user_sgpr_kernarg_segment_ptr 1
		.amdhsa_user_sgpr_dispatch_id 0
		.amdhsa_user_sgpr_flat_scratch_init 0
		.amdhsa_user_sgpr_kernarg_preload_length 0
		.amdhsa_user_sgpr_kernarg_preload_offset 0
		.amdhsa_user_sgpr_private_segment_size 0
		.amdhsa_uses_dynamic_stack 0
		.amdhsa_system_sgpr_private_segment_wavefront_offset 0
		.amdhsa_system_sgpr_workgroup_id_x 1
		.amdhsa_system_sgpr_workgroup_id_y 0
		.amdhsa_system_sgpr_workgroup_id_z 0
		.amdhsa_system_sgpr_workgroup_info 0
		.amdhsa_system_vgpr_workitem_id 0
		.amdhsa_next_free_vgpr 1
		.amdhsa_next_free_sgpr 0
		.amdhsa_accum_offset 4
		.amdhsa_reserve_vcc 0
		.amdhsa_reserve_flat_scratch 0
		.amdhsa_float_round_mode_32 0
		.amdhsa_float_round_mode_16_64 0
		.amdhsa_float_denorm_mode_32 3
		.amdhsa_float_denorm_mode_16_64 3
		.amdhsa_dx10_clamp 1
		.amdhsa_ieee_mode 1
		.amdhsa_fp16_overflow 0
		.amdhsa_tg_split 0
		.amdhsa_exception_fp_ieee_invalid_op 0
		.amdhsa_exception_fp_denorm_src 0
		.amdhsa_exception_fp_ieee_div_zero 0
		.amdhsa_exception_fp_ieee_overflow 0
		.amdhsa_exception_fp_ieee_underflow 0
		.amdhsa_exception_fp_ieee_inexact 0
		.amdhsa_exception_int_div_zero 0
	.end_amdhsa_kernel
	.section	.text._ZN7rocprim17ROCPRIM_400000_NS6detail17trampoline_kernelINS0_14default_configENS1_25transform_config_selectorIjLb0EEEZNS1_14transform_implILb0ES3_S5_NS0_18transform_iteratorINS0_17counting_iteratorImlEEZNS1_24adjacent_difference_implIS3_Lb1ELb0EPjSB_N6thrust23THRUST_200600_302600_NS4plusIjEEEE10hipError_tPvRmT2_T3_mT4_P12ihipStream_tbEUlmE_jEESB_NS0_8identityIvEEEESG_SJ_SK_mSL_SN_bEUlT_E_NS1_11comp_targetILNS1_3genE8ELNS1_11target_archE1030ELNS1_3gpuE2ELNS1_3repE0EEENS1_30default_config_static_selectorELNS0_4arch9wavefront6targetE1EEEvT1_,"axG",@progbits,_ZN7rocprim17ROCPRIM_400000_NS6detail17trampoline_kernelINS0_14default_configENS1_25transform_config_selectorIjLb0EEEZNS1_14transform_implILb0ES3_S5_NS0_18transform_iteratorINS0_17counting_iteratorImlEEZNS1_24adjacent_difference_implIS3_Lb1ELb0EPjSB_N6thrust23THRUST_200600_302600_NS4plusIjEEEE10hipError_tPvRmT2_T3_mT4_P12ihipStream_tbEUlmE_jEESB_NS0_8identityIvEEEESG_SJ_SK_mSL_SN_bEUlT_E_NS1_11comp_targetILNS1_3genE8ELNS1_11target_archE1030ELNS1_3gpuE2ELNS1_3repE0EEENS1_30default_config_static_selectorELNS0_4arch9wavefront6targetE1EEEvT1_,comdat
.Lfunc_end406:
	.size	_ZN7rocprim17ROCPRIM_400000_NS6detail17trampoline_kernelINS0_14default_configENS1_25transform_config_selectorIjLb0EEEZNS1_14transform_implILb0ES3_S5_NS0_18transform_iteratorINS0_17counting_iteratorImlEEZNS1_24adjacent_difference_implIS3_Lb1ELb0EPjSB_N6thrust23THRUST_200600_302600_NS4plusIjEEEE10hipError_tPvRmT2_T3_mT4_P12ihipStream_tbEUlmE_jEESB_NS0_8identityIvEEEESG_SJ_SK_mSL_SN_bEUlT_E_NS1_11comp_targetILNS1_3genE8ELNS1_11target_archE1030ELNS1_3gpuE2ELNS1_3repE0EEENS1_30default_config_static_selectorELNS0_4arch9wavefront6targetE1EEEvT1_, .Lfunc_end406-_ZN7rocprim17ROCPRIM_400000_NS6detail17trampoline_kernelINS0_14default_configENS1_25transform_config_selectorIjLb0EEEZNS1_14transform_implILb0ES3_S5_NS0_18transform_iteratorINS0_17counting_iteratorImlEEZNS1_24adjacent_difference_implIS3_Lb1ELb0EPjSB_N6thrust23THRUST_200600_302600_NS4plusIjEEEE10hipError_tPvRmT2_T3_mT4_P12ihipStream_tbEUlmE_jEESB_NS0_8identityIvEEEESG_SJ_SK_mSL_SN_bEUlT_E_NS1_11comp_targetILNS1_3genE8ELNS1_11target_archE1030ELNS1_3gpuE2ELNS1_3repE0EEENS1_30default_config_static_selectorELNS0_4arch9wavefront6targetE1EEEvT1_
                                        ; -- End function
	.section	.AMDGPU.csdata,"",@progbits
; Kernel info:
; codeLenInByte = 0
; NumSgprs: 4
; NumVgprs: 0
; NumAgprs: 0
; TotalNumVgprs: 0
; ScratchSize: 0
; MemoryBound: 0
; FloatMode: 240
; IeeeMode: 1
; LDSByteSize: 0 bytes/workgroup (compile time only)
; SGPRBlocks: 0
; VGPRBlocks: 0
; NumSGPRsForWavesPerEU: 4
; NumVGPRsForWavesPerEU: 1
; AccumOffset: 4
; Occupancy: 8
; WaveLimiterHint : 0
; COMPUTE_PGM_RSRC2:SCRATCH_EN: 0
; COMPUTE_PGM_RSRC2:USER_SGPR: 6
; COMPUTE_PGM_RSRC2:TRAP_HANDLER: 0
; COMPUTE_PGM_RSRC2:TGID_X_EN: 1
; COMPUTE_PGM_RSRC2:TGID_Y_EN: 0
; COMPUTE_PGM_RSRC2:TGID_Z_EN: 0
; COMPUTE_PGM_RSRC2:TIDIG_COMP_CNT: 0
; COMPUTE_PGM_RSRC3_GFX90A:ACCUM_OFFSET: 0
; COMPUTE_PGM_RSRC3_GFX90A:TG_SPLIT: 0
	.section	.text._ZN7rocprim17ROCPRIM_400000_NS6detail17trampoline_kernelINS0_14default_configENS1_35adjacent_difference_config_selectorILb1EjEEZNS1_24adjacent_difference_implIS3_Lb1ELb0EPjS7_N6thrust23THRUST_200600_302600_NS4plusIjEEEE10hipError_tPvRmT2_T3_mT4_P12ihipStream_tbEUlT_E_NS1_11comp_targetILNS1_3genE0ELNS1_11target_archE4294967295ELNS1_3gpuE0ELNS1_3repE0EEENS1_30default_config_static_selectorELNS0_4arch9wavefront6targetE1EEEvT1_,"axG",@progbits,_ZN7rocprim17ROCPRIM_400000_NS6detail17trampoline_kernelINS0_14default_configENS1_35adjacent_difference_config_selectorILb1EjEEZNS1_24adjacent_difference_implIS3_Lb1ELb0EPjS7_N6thrust23THRUST_200600_302600_NS4plusIjEEEE10hipError_tPvRmT2_T3_mT4_P12ihipStream_tbEUlT_E_NS1_11comp_targetILNS1_3genE0ELNS1_11target_archE4294967295ELNS1_3gpuE0ELNS1_3repE0EEENS1_30default_config_static_selectorELNS0_4arch9wavefront6targetE1EEEvT1_,comdat
	.protected	_ZN7rocprim17ROCPRIM_400000_NS6detail17trampoline_kernelINS0_14default_configENS1_35adjacent_difference_config_selectorILb1EjEEZNS1_24adjacent_difference_implIS3_Lb1ELb0EPjS7_N6thrust23THRUST_200600_302600_NS4plusIjEEEE10hipError_tPvRmT2_T3_mT4_P12ihipStream_tbEUlT_E_NS1_11comp_targetILNS1_3genE0ELNS1_11target_archE4294967295ELNS1_3gpuE0ELNS1_3repE0EEENS1_30default_config_static_selectorELNS0_4arch9wavefront6targetE1EEEvT1_ ; -- Begin function _ZN7rocprim17ROCPRIM_400000_NS6detail17trampoline_kernelINS0_14default_configENS1_35adjacent_difference_config_selectorILb1EjEEZNS1_24adjacent_difference_implIS3_Lb1ELb0EPjS7_N6thrust23THRUST_200600_302600_NS4plusIjEEEE10hipError_tPvRmT2_T3_mT4_P12ihipStream_tbEUlT_E_NS1_11comp_targetILNS1_3genE0ELNS1_11target_archE4294967295ELNS1_3gpuE0ELNS1_3repE0EEENS1_30default_config_static_selectorELNS0_4arch9wavefront6targetE1EEEvT1_
	.globl	_ZN7rocprim17ROCPRIM_400000_NS6detail17trampoline_kernelINS0_14default_configENS1_35adjacent_difference_config_selectorILb1EjEEZNS1_24adjacent_difference_implIS3_Lb1ELb0EPjS7_N6thrust23THRUST_200600_302600_NS4plusIjEEEE10hipError_tPvRmT2_T3_mT4_P12ihipStream_tbEUlT_E_NS1_11comp_targetILNS1_3genE0ELNS1_11target_archE4294967295ELNS1_3gpuE0ELNS1_3repE0EEENS1_30default_config_static_selectorELNS0_4arch9wavefront6targetE1EEEvT1_
	.p2align	8
	.type	_ZN7rocprim17ROCPRIM_400000_NS6detail17trampoline_kernelINS0_14default_configENS1_35adjacent_difference_config_selectorILb1EjEEZNS1_24adjacent_difference_implIS3_Lb1ELb0EPjS7_N6thrust23THRUST_200600_302600_NS4plusIjEEEE10hipError_tPvRmT2_T3_mT4_P12ihipStream_tbEUlT_E_NS1_11comp_targetILNS1_3genE0ELNS1_11target_archE4294967295ELNS1_3gpuE0ELNS1_3repE0EEENS1_30default_config_static_selectorELNS0_4arch9wavefront6targetE1EEEvT1_,@function
_ZN7rocprim17ROCPRIM_400000_NS6detail17trampoline_kernelINS0_14default_configENS1_35adjacent_difference_config_selectorILb1EjEEZNS1_24adjacent_difference_implIS3_Lb1ELb0EPjS7_N6thrust23THRUST_200600_302600_NS4plusIjEEEE10hipError_tPvRmT2_T3_mT4_P12ihipStream_tbEUlT_E_NS1_11comp_targetILNS1_3genE0ELNS1_11target_archE4294967295ELNS1_3gpuE0ELNS1_3repE0EEENS1_30default_config_static_selectorELNS0_4arch9wavefront6targetE1EEEvT1_: ; @_ZN7rocprim17ROCPRIM_400000_NS6detail17trampoline_kernelINS0_14default_configENS1_35adjacent_difference_config_selectorILb1EjEEZNS1_24adjacent_difference_implIS3_Lb1ELb0EPjS7_N6thrust23THRUST_200600_302600_NS4plusIjEEEE10hipError_tPvRmT2_T3_mT4_P12ihipStream_tbEUlT_E_NS1_11comp_targetILNS1_3genE0ELNS1_11target_archE4294967295ELNS1_3gpuE0ELNS1_3repE0EEENS1_30default_config_static_selectorELNS0_4arch9wavefront6targetE1EEEvT1_
; %bb.0:
	.section	.rodata,"a",@progbits
	.p2align	6, 0x0
	.amdhsa_kernel _ZN7rocprim17ROCPRIM_400000_NS6detail17trampoline_kernelINS0_14default_configENS1_35adjacent_difference_config_selectorILb1EjEEZNS1_24adjacent_difference_implIS3_Lb1ELb0EPjS7_N6thrust23THRUST_200600_302600_NS4plusIjEEEE10hipError_tPvRmT2_T3_mT4_P12ihipStream_tbEUlT_E_NS1_11comp_targetILNS1_3genE0ELNS1_11target_archE4294967295ELNS1_3gpuE0ELNS1_3repE0EEENS1_30default_config_static_selectorELNS0_4arch9wavefront6targetE1EEEvT1_
		.amdhsa_group_segment_fixed_size 0
		.amdhsa_private_segment_fixed_size 0
		.amdhsa_kernarg_size 56
		.amdhsa_user_sgpr_count 6
		.amdhsa_user_sgpr_private_segment_buffer 1
		.amdhsa_user_sgpr_dispatch_ptr 0
		.amdhsa_user_sgpr_queue_ptr 0
		.amdhsa_user_sgpr_kernarg_segment_ptr 1
		.amdhsa_user_sgpr_dispatch_id 0
		.amdhsa_user_sgpr_flat_scratch_init 0
		.amdhsa_user_sgpr_kernarg_preload_length 0
		.amdhsa_user_sgpr_kernarg_preload_offset 0
		.amdhsa_user_sgpr_private_segment_size 0
		.amdhsa_uses_dynamic_stack 0
		.amdhsa_system_sgpr_private_segment_wavefront_offset 0
		.amdhsa_system_sgpr_workgroup_id_x 1
		.amdhsa_system_sgpr_workgroup_id_y 0
		.amdhsa_system_sgpr_workgroup_id_z 0
		.amdhsa_system_sgpr_workgroup_info 0
		.amdhsa_system_vgpr_workitem_id 0
		.amdhsa_next_free_vgpr 1
		.amdhsa_next_free_sgpr 0
		.amdhsa_accum_offset 4
		.amdhsa_reserve_vcc 0
		.amdhsa_reserve_flat_scratch 0
		.amdhsa_float_round_mode_32 0
		.amdhsa_float_round_mode_16_64 0
		.amdhsa_float_denorm_mode_32 3
		.amdhsa_float_denorm_mode_16_64 3
		.amdhsa_dx10_clamp 1
		.amdhsa_ieee_mode 1
		.amdhsa_fp16_overflow 0
		.amdhsa_tg_split 0
		.amdhsa_exception_fp_ieee_invalid_op 0
		.amdhsa_exception_fp_denorm_src 0
		.amdhsa_exception_fp_ieee_div_zero 0
		.amdhsa_exception_fp_ieee_overflow 0
		.amdhsa_exception_fp_ieee_underflow 0
		.amdhsa_exception_fp_ieee_inexact 0
		.amdhsa_exception_int_div_zero 0
	.end_amdhsa_kernel
	.section	.text._ZN7rocprim17ROCPRIM_400000_NS6detail17trampoline_kernelINS0_14default_configENS1_35adjacent_difference_config_selectorILb1EjEEZNS1_24adjacent_difference_implIS3_Lb1ELb0EPjS7_N6thrust23THRUST_200600_302600_NS4plusIjEEEE10hipError_tPvRmT2_T3_mT4_P12ihipStream_tbEUlT_E_NS1_11comp_targetILNS1_3genE0ELNS1_11target_archE4294967295ELNS1_3gpuE0ELNS1_3repE0EEENS1_30default_config_static_selectorELNS0_4arch9wavefront6targetE1EEEvT1_,"axG",@progbits,_ZN7rocprim17ROCPRIM_400000_NS6detail17trampoline_kernelINS0_14default_configENS1_35adjacent_difference_config_selectorILb1EjEEZNS1_24adjacent_difference_implIS3_Lb1ELb0EPjS7_N6thrust23THRUST_200600_302600_NS4plusIjEEEE10hipError_tPvRmT2_T3_mT4_P12ihipStream_tbEUlT_E_NS1_11comp_targetILNS1_3genE0ELNS1_11target_archE4294967295ELNS1_3gpuE0ELNS1_3repE0EEENS1_30default_config_static_selectorELNS0_4arch9wavefront6targetE1EEEvT1_,comdat
.Lfunc_end407:
	.size	_ZN7rocprim17ROCPRIM_400000_NS6detail17trampoline_kernelINS0_14default_configENS1_35adjacent_difference_config_selectorILb1EjEEZNS1_24adjacent_difference_implIS3_Lb1ELb0EPjS7_N6thrust23THRUST_200600_302600_NS4plusIjEEEE10hipError_tPvRmT2_T3_mT4_P12ihipStream_tbEUlT_E_NS1_11comp_targetILNS1_3genE0ELNS1_11target_archE4294967295ELNS1_3gpuE0ELNS1_3repE0EEENS1_30default_config_static_selectorELNS0_4arch9wavefront6targetE1EEEvT1_, .Lfunc_end407-_ZN7rocprim17ROCPRIM_400000_NS6detail17trampoline_kernelINS0_14default_configENS1_35adjacent_difference_config_selectorILb1EjEEZNS1_24adjacent_difference_implIS3_Lb1ELb0EPjS7_N6thrust23THRUST_200600_302600_NS4plusIjEEEE10hipError_tPvRmT2_T3_mT4_P12ihipStream_tbEUlT_E_NS1_11comp_targetILNS1_3genE0ELNS1_11target_archE4294967295ELNS1_3gpuE0ELNS1_3repE0EEENS1_30default_config_static_selectorELNS0_4arch9wavefront6targetE1EEEvT1_
                                        ; -- End function
	.section	.AMDGPU.csdata,"",@progbits
; Kernel info:
; codeLenInByte = 0
; NumSgprs: 4
; NumVgprs: 0
; NumAgprs: 0
; TotalNumVgprs: 0
; ScratchSize: 0
; MemoryBound: 0
; FloatMode: 240
; IeeeMode: 1
; LDSByteSize: 0 bytes/workgroup (compile time only)
; SGPRBlocks: 0
; VGPRBlocks: 0
; NumSGPRsForWavesPerEU: 4
; NumVGPRsForWavesPerEU: 1
; AccumOffset: 4
; Occupancy: 8
; WaveLimiterHint : 0
; COMPUTE_PGM_RSRC2:SCRATCH_EN: 0
; COMPUTE_PGM_RSRC2:USER_SGPR: 6
; COMPUTE_PGM_RSRC2:TRAP_HANDLER: 0
; COMPUTE_PGM_RSRC2:TGID_X_EN: 1
; COMPUTE_PGM_RSRC2:TGID_Y_EN: 0
; COMPUTE_PGM_RSRC2:TGID_Z_EN: 0
; COMPUTE_PGM_RSRC2:TIDIG_COMP_CNT: 0
; COMPUTE_PGM_RSRC3_GFX90A:ACCUM_OFFSET: 0
; COMPUTE_PGM_RSRC3_GFX90A:TG_SPLIT: 0
	.section	.text._ZN7rocprim17ROCPRIM_400000_NS6detail17trampoline_kernelINS0_14default_configENS1_35adjacent_difference_config_selectorILb1EjEEZNS1_24adjacent_difference_implIS3_Lb1ELb0EPjS7_N6thrust23THRUST_200600_302600_NS4plusIjEEEE10hipError_tPvRmT2_T3_mT4_P12ihipStream_tbEUlT_E_NS1_11comp_targetILNS1_3genE10ELNS1_11target_archE1201ELNS1_3gpuE5ELNS1_3repE0EEENS1_30default_config_static_selectorELNS0_4arch9wavefront6targetE1EEEvT1_,"axG",@progbits,_ZN7rocprim17ROCPRIM_400000_NS6detail17trampoline_kernelINS0_14default_configENS1_35adjacent_difference_config_selectorILb1EjEEZNS1_24adjacent_difference_implIS3_Lb1ELb0EPjS7_N6thrust23THRUST_200600_302600_NS4plusIjEEEE10hipError_tPvRmT2_T3_mT4_P12ihipStream_tbEUlT_E_NS1_11comp_targetILNS1_3genE10ELNS1_11target_archE1201ELNS1_3gpuE5ELNS1_3repE0EEENS1_30default_config_static_selectorELNS0_4arch9wavefront6targetE1EEEvT1_,comdat
	.protected	_ZN7rocprim17ROCPRIM_400000_NS6detail17trampoline_kernelINS0_14default_configENS1_35adjacent_difference_config_selectorILb1EjEEZNS1_24adjacent_difference_implIS3_Lb1ELb0EPjS7_N6thrust23THRUST_200600_302600_NS4plusIjEEEE10hipError_tPvRmT2_T3_mT4_P12ihipStream_tbEUlT_E_NS1_11comp_targetILNS1_3genE10ELNS1_11target_archE1201ELNS1_3gpuE5ELNS1_3repE0EEENS1_30default_config_static_selectorELNS0_4arch9wavefront6targetE1EEEvT1_ ; -- Begin function _ZN7rocprim17ROCPRIM_400000_NS6detail17trampoline_kernelINS0_14default_configENS1_35adjacent_difference_config_selectorILb1EjEEZNS1_24adjacent_difference_implIS3_Lb1ELb0EPjS7_N6thrust23THRUST_200600_302600_NS4plusIjEEEE10hipError_tPvRmT2_T3_mT4_P12ihipStream_tbEUlT_E_NS1_11comp_targetILNS1_3genE10ELNS1_11target_archE1201ELNS1_3gpuE5ELNS1_3repE0EEENS1_30default_config_static_selectorELNS0_4arch9wavefront6targetE1EEEvT1_
	.globl	_ZN7rocprim17ROCPRIM_400000_NS6detail17trampoline_kernelINS0_14default_configENS1_35adjacent_difference_config_selectorILb1EjEEZNS1_24adjacent_difference_implIS3_Lb1ELb0EPjS7_N6thrust23THRUST_200600_302600_NS4plusIjEEEE10hipError_tPvRmT2_T3_mT4_P12ihipStream_tbEUlT_E_NS1_11comp_targetILNS1_3genE10ELNS1_11target_archE1201ELNS1_3gpuE5ELNS1_3repE0EEENS1_30default_config_static_selectorELNS0_4arch9wavefront6targetE1EEEvT1_
	.p2align	8
	.type	_ZN7rocprim17ROCPRIM_400000_NS6detail17trampoline_kernelINS0_14default_configENS1_35adjacent_difference_config_selectorILb1EjEEZNS1_24adjacent_difference_implIS3_Lb1ELb0EPjS7_N6thrust23THRUST_200600_302600_NS4plusIjEEEE10hipError_tPvRmT2_T3_mT4_P12ihipStream_tbEUlT_E_NS1_11comp_targetILNS1_3genE10ELNS1_11target_archE1201ELNS1_3gpuE5ELNS1_3repE0EEENS1_30default_config_static_selectorELNS0_4arch9wavefront6targetE1EEEvT1_,@function
_ZN7rocprim17ROCPRIM_400000_NS6detail17trampoline_kernelINS0_14default_configENS1_35adjacent_difference_config_selectorILb1EjEEZNS1_24adjacent_difference_implIS3_Lb1ELb0EPjS7_N6thrust23THRUST_200600_302600_NS4plusIjEEEE10hipError_tPvRmT2_T3_mT4_P12ihipStream_tbEUlT_E_NS1_11comp_targetILNS1_3genE10ELNS1_11target_archE1201ELNS1_3gpuE5ELNS1_3repE0EEENS1_30default_config_static_selectorELNS0_4arch9wavefront6targetE1EEEvT1_: ; @_ZN7rocprim17ROCPRIM_400000_NS6detail17trampoline_kernelINS0_14default_configENS1_35adjacent_difference_config_selectorILb1EjEEZNS1_24adjacent_difference_implIS3_Lb1ELb0EPjS7_N6thrust23THRUST_200600_302600_NS4plusIjEEEE10hipError_tPvRmT2_T3_mT4_P12ihipStream_tbEUlT_E_NS1_11comp_targetILNS1_3genE10ELNS1_11target_archE1201ELNS1_3gpuE5ELNS1_3repE0EEENS1_30default_config_static_selectorELNS0_4arch9wavefront6targetE1EEEvT1_
; %bb.0:
	.section	.rodata,"a",@progbits
	.p2align	6, 0x0
	.amdhsa_kernel _ZN7rocprim17ROCPRIM_400000_NS6detail17trampoline_kernelINS0_14default_configENS1_35adjacent_difference_config_selectorILb1EjEEZNS1_24adjacent_difference_implIS3_Lb1ELb0EPjS7_N6thrust23THRUST_200600_302600_NS4plusIjEEEE10hipError_tPvRmT2_T3_mT4_P12ihipStream_tbEUlT_E_NS1_11comp_targetILNS1_3genE10ELNS1_11target_archE1201ELNS1_3gpuE5ELNS1_3repE0EEENS1_30default_config_static_selectorELNS0_4arch9wavefront6targetE1EEEvT1_
		.amdhsa_group_segment_fixed_size 0
		.amdhsa_private_segment_fixed_size 0
		.amdhsa_kernarg_size 56
		.amdhsa_user_sgpr_count 6
		.amdhsa_user_sgpr_private_segment_buffer 1
		.amdhsa_user_sgpr_dispatch_ptr 0
		.amdhsa_user_sgpr_queue_ptr 0
		.amdhsa_user_sgpr_kernarg_segment_ptr 1
		.amdhsa_user_sgpr_dispatch_id 0
		.amdhsa_user_sgpr_flat_scratch_init 0
		.amdhsa_user_sgpr_kernarg_preload_length 0
		.amdhsa_user_sgpr_kernarg_preload_offset 0
		.amdhsa_user_sgpr_private_segment_size 0
		.amdhsa_uses_dynamic_stack 0
		.amdhsa_system_sgpr_private_segment_wavefront_offset 0
		.amdhsa_system_sgpr_workgroup_id_x 1
		.amdhsa_system_sgpr_workgroup_id_y 0
		.amdhsa_system_sgpr_workgroup_id_z 0
		.amdhsa_system_sgpr_workgroup_info 0
		.amdhsa_system_vgpr_workitem_id 0
		.amdhsa_next_free_vgpr 1
		.amdhsa_next_free_sgpr 0
		.amdhsa_accum_offset 4
		.amdhsa_reserve_vcc 0
		.amdhsa_reserve_flat_scratch 0
		.amdhsa_float_round_mode_32 0
		.amdhsa_float_round_mode_16_64 0
		.amdhsa_float_denorm_mode_32 3
		.amdhsa_float_denorm_mode_16_64 3
		.amdhsa_dx10_clamp 1
		.amdhsa_ieee_mode 1
		.amdhsa_fp16_overflow 0
		.amdhsa_tg_split 0
		.amdhsa_exception_fp_ieee_invalid_op 0
		.amdhsa_exception_fp_denorm_src 0
		.amdhsa_exception_fp_ieee_div_zero 0
		.amdhsa_exception_fp_ieee_overflow 0
		.amdhsa_exception_fp_ieee_underflow 0
		.amdhsa_exception_fp_ieee_inexact 0
		.amdhsa_exception_int_div_zero 0
	.end_amdhsa_kernel
	.section	.text._ZN7rocprim17ROCPRIM_400000_NS6detail17trampoline_kernelINS0_14default_configENS1_35adjacent_difference_config_selectorILb1EjEEZNS1_24adjacent_difference_implIS3_Lb1ELb0EPjS7_N6thrust23THRUST_200600_302600_NS4plusIjEEEE10hipError_tPvRmT2_T3_mT4_P12ihipStream_tbEUlT_E_NS1_11comp_targetILNS1_3genE10ELNS1_11target_archE1201ELNS1_3gpuE5ELNS1_3repE0EEENS1_30default_config_static_selectorELNS0_4arch9wavefront6targetE1EEEvT1_,"axG",@progbits,_ZN7rocprim17ROCPRIM_400000_NS6detail17trampoline_kernelINS0_14default_configENS1_35adjacent_difference_config_selectorILb1EjEEZNS1_24adjacent_difference_implIS3_Lb1ELb0EPjS7_N6thrust23THRUST_200600_302600_NS4plusIjEEEE10hipError_tPvRmT2_T3_mT4_P12ihipStream_tbEUlT_E_NS1_11comp_targetILNS1_3genE10ELNS1_11target_archE1201ELNS1_3gpuE5ELNS1_3repE0EEENS1_30default_config_static_selectorELNS0_4arch9wavefront6targetE1EEEvT1_,comdat
.Lfunc_end408:
	.size	_ZN7rocprim17ROCPRIM_400000_NS6detail17trampoline_kernelINS0_14default_configENS1_35adjacent_difference_config_selectorILb1EjEEZNS1_24adjacent_difference_implIS3_Lb1ELb0EPjS7_N6thrust23THRUST_200600_302600_NS4plusIjEEEE10hipError_tPvRmT2_T3_mT4_P12ihipStream_tbEUlT_E_NS1_11comp_targetILNS1_3genE10ELNS1_11target_archE1201ELNS1_3gpuE5ELNS1_3repE0EEENS1_30default_config_static_selectorELNS0_4arch9wavefront6targetE1EEEvT1_, .Lfunc_end408-_ZN7rocprim17ROCPRIM_400000_NS6detail17trampoline_kernelINS0_14default_configENS1_35adjacent_difference_config_selectorILb1EjEEZNS1_24adjacent_difference_implIS3_Lb1ELb0EPjS7_N6thrust23THRUST_200600_302600_NS4plusIjEEEE10hipError_tPvRmT2_T3_mT4_P12ihipStream_tbEUlT_E_NS1_11comp_targetILNS1_3genE10ELNS1_11target_archE1201ELNS1_3gpuE5ELNS1_3repE0EEENS1_30default_config_static_selectorELNS0_4arch9wavefront6targetE1EEEvT1_
                                        ; -- End function
	.section	.AMDGPU.csdata,"",@progbits
; Kernel info:
; codeLenInByte = 0
; NumSgprs: 4
; NumVgprs: 0
; NumAgprs: 0
; TotalNumVgprs: 0
; ScratchSize: 0
; MemoryBound: 0
; FloatMode: 240
; IeeeMode: 1
; LDSByteSize: 0 bytes/workgroup (compile time only)
; SGPRBlocks: 0
; VGPRBlocks: 0
; NumSGPRsForWavesPerEU: 4
; NumVGPRsForWavesPerEU: 1
; AccumOffset: 4
; Occupancy: 8
; WaveLimiterHint : 0
; COMPUTE_PGM_RSRC2:SCRATCH_EN: 0
; COMPUTE_PGM_RSRC2:USER_SGPR: 6
; COMPUTE_PGM_RSRC2:TRAP_HANDLER: 0
; COMPUTE_PGM_RSRC2:TGID_X_EN: 1
; COMPUTE_PGM_RSRC2:TGID_Y_EN: 0
; COMPUTE_PGM_RSRC2:TGID_Z_EN: 0
; COMPUTE_PGM_RSRC2:TIDIG_COMP_CNT: 0
; COMPUTE_PGM_RSRC3_GFX90A:ACCUM_OFFSET: 0
; COMPUTE_PGM_RSRC3_GFX90A:TG_SPLIT: 0
	.section	.text._ZN7rocprim17ROCPRIM_400000_NS6detail17trampoline_kernelINS0_14default_configENS1_35adjacent_difference_config_selectorILb1EjEEZNS1_24adjacent_difference_implIS3_Lb1ELb0EPjS7_N6thrust23THRUST_200600_302600_NS4plusIjEEEE10hipError_tPvRmT2_T3_mT4_P12ihipStream_tbEUlT_E_NS1_11comp_targetILNS1_3genE5ELNS1_11target_archE942ELNS1_3gpuE9ELNS1_3repE0EEENS1_30default_config_static_selectorELNS0_4arch9wavefront6targetE1EEEvT1_,"axG",@progbits,_ZN7rocprim17ROCPRIM_400000_NS6detail17trampoline_kernelINS0_14default_configENS1_35adjacent_difference_config_selectorILb1EjEEZNS1_24adjacent_difference_implIS3_Lb1ELb0EPjS7_N6thrust23THRUST_200600_302600_NS4plusIjEEEE10hipError_tPvRmT2_T3_mT4_P12ihipStream_tbEUlT_E_NS1_11comp_targetILNS1_3genE5ELNS1_11target_archE942ELNS1_3gpuE9ELNS1_3repE0EEENS1_30default_config_static_selectorELNS0_4arch9wavefront6targetE1EEEvT1_,comdat
	.protected	_ZN7rocprim17ROCPRIM_400000_NS6detail17trampoline_kernelINS0_14default_configENS1_35adjacent_difference_config_selectorILb1EjEEZNS1_24adjacent_difference_implIS3_Lb1ELb0EPjS7_N6thrust23THRUST_200600_302600_NS4plusIjEEEE10hipError_tPvRmT2_T3_mT4_P12ihipStream_tbEUlT_E_NS1_11comp_targetILNS1_3genE5ELNS1_11target_archE942ELNS1_3gpuE9ELNS1_3repE0EEENS1_30default_config_static_selectorELNS0_4arch9wavefront6targetE1EEEvT1_ ; -- Begin function _ZN7rocprim17ROCPRIM_400000_NS6detail17trampoline_kernelINS0_14default_configENS1_35adjacent_difference_config_selectorILb1EjEEZNS1_24adjacent_difference_implIS3_Lb1ELb0EPjS7_N6thrust23THRUST_200600_302600_NS4plusIjEEEE10hipError_tPvRmT2_T3_mT4_P12ihipStream_tbEUlT_E_NS1_11comp_targetILNS1_3genE5ELNS1_11target_archE942ELNS1_3gpuE9ELNS1_3repE0EEENS1_30default_config_static_selectorELNS0_4arch9wavefront6targetE1EEEvT1_
	.globl	_ZN7rocprim17ROCPRIM_400000_NS6detail17trampoline_kernelINS0_14default_configENS1_35adjacent_difference_config_selectorILb1EjEEZNS1_24adjacent_difference_implIS3_Lb1ELb0EPjS7_N6thrust23THRUST_200600_302600_NS4plusIjEEEE10hipError_tPvRmT2_T3_mT4_P12ihipStream_tbEUlT_E_NS1_11comp_targetILNS1_3genE5ELNS1_11target_archE942ELNS1_3gpuE9ELNS1_3repE0EEENS1_30default_config_static_selectorELNS0_4arch9wavefront6targetE1EEEvT1_
	.p2align	8
	.type	_ZN7rocprim17ROCPRIM_400000_NS6detail17trampoline_kernelINS0_14default_configENS1_35adjacent_difference_config_selectorILb1EjEEZNS1_24adjacent_difference_implIS3_Lb1ELb0EPjS7_N6thrust23THRUST_200600_302600_NS4plusIjEEEE10hipError_tPvRmT2_T3_mT4_P12ihipStream_tbEUlT_E_NS1_11comp_targetILNS1_3genE5ELNS1_11target_archE942ELNS1_3gpuE9ELNS1_3repE0EEENS1_30default_config_static_selectorELNS0_4arch9wavefront6targetE1EEEvT1_,@function
_ZN7rocprim17ROCPRIM_400000_NS6detail17trampoline_kernelINS0_14default_configENS1_35adjacent_difference_config_selectorILb1EjEEZNS1_24adjacent_difference_implIS3_Lb1ELb0EPjS7_N6thrust23THRUST_200600_302600_NS4plusIjEEEE10hipError_tPvRmT2_T3_mT4_P12ihipStream_tbEUlT_E_NS1_11comp_targetILNS1_3genE5ELNS1_11target_archE942ELNS1_3gpuE9ELNS1_3repE0EEENS1_30default_config_static_selectorELNS0_4arch9wavefront6targetE1EEEvT1_: ; @_ZN7rocprim17ROCPRIM_400000_NS6detail17trampoline_kernelINS0_14default_configENS1_35adjacent_difference_config_selectorILb1EjEEZNS1_24adjacent_difference_implIS3_Lb1ELb0EPjS7_N6thrust23THRUST_200600_302600_NS4plusIjEEEE10hipError_tPvRmT2_T3_mT4_P12ihipStream_tbEUlT_E_NS1_11comp_targetILNS1_3genE5ELNS1_11target_archE942ELNS1_3gpuE9ELNS1_3repE0EEENS1_30default_config_static_selectorELNS0_4arch9wavefront6targetE1EEEvT1_
; %bb.0:
	.section	.rodata,"a",@progbits
	.p2align	6, 0x0
	.amdhsa_kernel _ZN7rocprim17ROCPRIM_400000_NS6detail17trampoline_kernelINS0_14default_configENS1_35adjacent_difference_config_selectorILb1EjEEZNS1_24adjacent_difference_implIS3_Lb1ELb0EPjS7_N6thrust23THRUST_200600_302600_NS4plusIjEEEE10hipError_tPvRmT2_T3_mT4_P12ihipStream_tbEUlT_E_NS1_11comp_targetILNS1_3genE5ELNS1_11target_archE942ELNS1_3gpuE9ELNS1_3repE0EEENS1_30default_config_static_selectorELNS0_4arch9wavefront6targetE1EEEvT1_
		.amdhsa_group_segment_fixed_size 0
		.amdhsa_private_segment_fixed_size 0
		.amdhsa_kernarg_size 56
		.amdhsa_user_sgpr_count 6
		.amdhsa_user_sgpr_private_segment_buffer 1
		.amdhsa_user_sgpr_dispatch_ptr 0
		.amdhsa_user_sgpr_queue_ptr 0
		.amdhsa_user_sgpr_kernarg_segment_ptr 1
		.amdhsa_user_sgpr_dispatch_id 0
		.amdhsa_user_sgpr_flat_scratch_init 0
		.amdhsa_user_sgpr_kernarg_preload_length 0
		.amdhsa_user_sgpr_kernarg_preload_offset 0
		.amdhsa_user_sgpr_private_segment_size 0
		.amdhsa_uses_dynamic_stack 0
		.amdhsa_system_sgpr_private_segment_wavefront_offset 0
		.amdhsa_system_sgpr_workgroup_id_x 1
		.amdhsa_system_sgpr_workgroup_id_y 0
		.amdhsa_system_sgpr_workgroup_id_z 0
		.amdhsa_system_sgpr_workgroup_info 0
		.amdhsa_system_vgpr_workitem_id 0
		.amdhsa_next_free_vgpr 1
		.amdhsa_next_free_sgpr 0
		.amdhsa_accum_offset 4
		.amdhsa_reserve_vcc 0
		.amdhsa_reserve_flat_scratch 0
		.amdhsa_float_round_mode_32 0
		.amdhsa_float_round_mode_16_64 0
		.amdhsa_float_denorm_mode_32 3
		.amdhsa_float_denorm_mode_16_64 3
		.amdhsa_dx10_clamp 1
		.amdhsa_ieee_mode 1
		.amdhsa_fp16_overflow 0
		.amdhsa_tg_split 0
		.amdhsa_exception_fp_ieee_invalid_op 0
		.amdhsa_exception_fp_denorm_src 0
		.amdhsa_exception_fp_ieee_div_zero 0
		.amdhsa_exception_fp_ieee_overflow 0
		.amdhsa_exception_fp_ieee_underflow 0
		.amdhsa_exception_fp_ieee_inexact 0
		.amdhsa_exception_int_div_zero 0
	.end_amdhsa_kernel
	.section	.text._ZN7rocprim17ROCPRIM_400000_NS6detail17trampoline_kernelINS0_14default_configENS1_35adjacent_difference_config_selectorILb1EjEEZNS1_24adjacent_difference_implIS3_Lb1ELb0EPjS7_N6thrust23THRUST_200600_302600_NS4plusIjEEEE10hipError_tPvRmT2_T3_mT4_P12ihipStream_tbEUlT_E_NS1_11comp_targetILNS1_3genE5ELNS1_11target_archE942ELNS1_3gpuE9ELNS1_3repE0EEENS1_30default_config_static_selectorELNS0_4arch9wavefront6targetE1EEEvT1_,"axG",@progbits,_ZN7rocprim17ROCPRIM_400000_NS6detail17trampoline_kernelINS0_14default_configENS1_35adjacent_difference_config_selectorILb1EjEEZNS1_24adjacent_difference_implIS3_Lb1ELb0EPjS7_N6thrust23THRUST_200600_302600_NS4plusIjEEEE10hipError_tPvRmT2_T3_mT4_P12ihipStream_tbEUlT_E_NS1_11comp_targetILNS1_3genE5ELNS1_11target_archE942ELNS1_3gpuE9ELNS1_3repE0EEENS1_30default_config_static_selectorELNS0_4arch9wavefront6targetE1EEEvT1_,comdat
.Lfunc_end409:
	.size	_ZN7rocprim17ROCPRIM_400000_NS6detail17trampoline_kernelINS0_14default_configENS1_35adjacent_difference_config_selectorILb1EjEEZNS1_24adjacent_difference_implIS3_Lb1ELb0EPjS7_N6thrust23THRUST_200600_302600_NS4plusIjEEEE10hipError_tPvRmT2_T3_mT4_P12ihipStream_tbEUlT_E_NS1_11comp_targetILNS1_3genE5ELNS1_11target_archE942ELNS1_3gpuE9ELNS1_3repE0EEENS1_30default_config_static_selectorELNS0_4arch9wavefront6targetE1EEEvT1_, .Lfunc_end409-_ZN7rocprim17ROCPRIM_400000_NS6detail17trampoline_kernelINS0_14default_configENS1_35adjacent_difference_config_selectorILb1EjEEZNS1_24adjacent_difference_implIS3_Lb1ELb0EPjS7_N6thrust23THRUST_200600_302600_NS4plusIjEEEE10hipError_tPvRmT2_T3_mT4_P12ihipStream_tbEUlT_E_NS1_11comp_targetILNS1_3genE5ELNS1_11target_archE942ELNS1_3gpuE9ELNS1_3repE0EEENS1_30default_config_static_selectorELNS0_4arch9wavefront6targetE1EEEvT1_
                                        ; -- End function
	.section	.AMDGPU.csdata,"",@progbits
; Kernel info:
; codeLenInByte = 0
; NumSgprs: 4
; NumVgprs: 0
; NumAgprs: 0
; TotalNumVgprs: 0
; ScratchSize: 0
; MemoryBound: 0
; FloatMode: 240
; IeeeMode: 1
; LDSByteSize: 0 bytes/workgroup (compile time only)
; SGPRBlocks: 0
; VGPRBlocks: 0
; NumSGPRsForWavesPerEU: 4
; NumVGPRsForWavesPerEU: 1
; AccumOffset: 4
; Occupancy: 8
; WaveLimiterHint : 0
; COMPUTE_PGM_RSRC2:SCRATCH_EN: 0
; COMPUTE_PGM_RSRC2:USER_SGPR: 6
; COMPUTE_PGM_RSRC2:TRAP_HANDLER: 0
; COMPUTE_PGM_RSRC2:TGID_X_EN: 1
; COMPUTE_PGM_RSRC2:TGID_Y_EN: 0
; COMPUTE_PGM_RSRC2:TGID_Z_EN: 0
; COMPUTE_PGM_RSRC2:TIDIG_COMP_CNT: 0
; COMPUTE_PGM_RSRC3_GFX90A:ACCUM_OFFSET: 0
; COMPUTE_PGM_RSRC3_GFX90A:TG_SPLIT: 0
	.section	.text._ZN7rocprim17ROCPRIM_400000_NS6detail17trampoline_kernelINS0_14default_configENS1_35adjacent_difference_config_selectorILb1EjEEZNS1_24adjacent_difference_implIS3_Lb1ELb0EPjS7_N6thrust23THRUST_200600_302600_NS4plusIjEEEE10hipError_tPvRmT2_T3_mT4_P12ihipStream_tbEUlT_E_NS1_11comp_targetILNS1_3genE4ELNS1_11target_archE910ELNS1_3gpuE8ELNS1_3repE0EEENS1_30default_config_static_selectorELNS0_4arch9wavefront6targetE1EEEvT1_,"axG",@progbits,_ZN7rocprim17ROCPRIM_400000_NS6detail17trampoline_kernelINS0_14default_configENS1_35adjacent_difference_config_selectorILb1EjEEZNS1_24adjacent_difference_implIS3_Lb1ELb0EPjS7_N6thrust23THRUST_200600_302600_NS4plusIjEEEE10hipError_tPvRmT2_T3_mT4_P12ihipStream_tbEUlT_E_NS1_11comp_targetILNS1_3genE4ELNS1_11target_archE910ELNS1_3gpuE8ELNS1_3repE0EEENS1_30default_config_static_selectorELNS0_4arch9wavefront6targetE1EEEvT1_,comdat
	.protected	_ZN7rocprim17ROCPRIM_400000_NS6detail17trampoline_kernelINS0_14default_configENS1_35adjacent_difference_config_selectorILb1EjEEZNS1_24adjacent_difference_implIS3_Lb1ELb0EPjS7_N6thrust23THRUST_200600_302600_NS4plusIjEEEE10hipError_tPvRmT2_T3_mT4_P12ihipStream_tbEUlT_E_NS1_11comp_targetILNS1_3genE4ELNS1_11target_archE910ELNS1_3gpuE8ELNS1_3repE0EEENS1_30default_config_static_selectorELNS0_4arch9wavefront6targetE1EEEvT1_ ; -- Begin function _ZN7rocprim17ROCPRIM_400000_NS6detail17trampoline_kernelINS0_14default_configENS1_35adjacent_difference_config_selectorILb1EjEEZNS1_24adjacent_difference_implIS3_Lb1ELb0EPjS7_N6thrust23THRUST_200600_302600_NS4plusIjEEEE10hipError_tPvRmT2_T3_mT4_P12ihipStream_tbEUlT_E_NS1_11comp_targetILNS1_3genE4ELNS1_11target_archE910ELNS1_3gpuE8ELNS1_3repE0EEENS1_30default_config_static_selectorELNS0_4arch9wavefront6targetE1EEEvT1_
	.globl	_ZN7rocprim17ROCPRIM_400000_NS6detail17trampoline_kernelINS0_14default_configENS1_35adjacent_difference_config_selectorILb1EjEEZNS1_24adjacent_difference_implIS3_Lb1ELb0EPjS7_N6thrust23THRUST_200600_302600_NS4plusIjEEEE10hipError_tPvRmT2_T3_mT4_P12ihipStream_tbEUlT_E_NS1_11comp_targetILNS1_3genE4ELNS1_11target_archE910ELNS1_3gpuE8ELNS1_3repE0EEENS1_30default_config_static_selectorELNS0_4arch9wavefront6targetE1EEEvT1_
	.p2align	8
	.type	_ZN7rocprim17ROCPRIM_400000_NS6detail17trampoline_kernelINS0_14default_configENS1_35adjacent_difference_config_selectorILb1EjEEZNS1_24adjacent_difference_implIS3_Lb1ELb0EPjS7_N6thrust23THRUST_200600_302600_NS4plusIjEEEE10hipError_tPvRmT2_T3_mT4_P12ihipStream_tbEUlT_E_NS1_11comp_targetILNS1_3genE4ELNS1_11target_archE910ELNS1_3gpuE8ELNS1_3repE0EEENS1_30default_config_static_selectorELNS0_4arch9wavefront6targetE1EEEvT1_,@function
_ZN7rocprim17ROCPRIM_400000_NS6detail17trampoline_kernelINS0_14default_configENS1_35adjacent_difference_config_selectorILb1EjEEZNS1_24adjacent_difference_implIS3_Lb1ELb0EPjS7_N6thrust23THRUST_200600_302600_NS4plusIjEEEE10hipError_tPvRmT2_T3_mT4_P12ihipStream_tbEUlT_E_NS1_11comp_targetILNS1_3genE4ELNS1_11target_archE910ELNS1_3gpuE8ELNS1_3repE0EEENS1_30default_config_static_selectorELNS0_4arch9wavefront6targetE1EEEvT1_: ; @_ZN7rocprim17ROCPRIM_400000_NS6detail17trampoline_kernelINS0_14default_configENS1_35adjacent_difference_config_selectorILb1EjEEZNS1_24adjacent_difference_implIS3_Lb1ELb0EPjS7_N6thrust23THRUST_200600_302600_NS4plusIjEEEE10hipError_tPvRmT2_T3_mT4_P12ihipStream_tbEUlT_E_NS1_11comp_targetILNS1_3genE4ELNS1_11target_archE910ELNS1_3gpuE8ELNS1_3repE0EEENS1_30default_config_static_selectorELNS0_4arch9wavefront6targetE1EEEvT1_
; %bb.0:
	s_load_dwordx8 s[8:15], s[4:5], 0x0
	s_mov_b32 s0, 0x59999780
	s_load_dwordx4 s[16:19], s[4:5], 0x28
	s_movk_i32 s2, 0xa00
	s_mul_i32 s4, s6, 0xa00
	s_waitcnt lgkmcnt(0)
	s_lshl_b64 s[10:11], s[10:11], 2
	s_add_u32 s26, s8, s10
	s_addc_u32 s27, s9, s11
	s_add_u32 s0, 0xe0, s0
	s_addc_u32 s3, 0, 0
	v_add_co_u32_e64 v1, s[0:1], s0, 2.0
	s_cmp_lg_u64 s[0:1], 0
	s_addc_u32 s0, s3, 0x199999
	v_readfirstlane_b32 s3, v1
	s_mul_hi_u32 s5, s3, 0xfffff600
	s_mul_i32 s1, s0, 0xfffff600
	s_sub_i32 s5, s5, s3
	s_add_i32 s5, s5, s1
	s_mul_i32 s9, s3, 0xfffff600
	s_mul_hi_u32 s1, s3, s5
	s_mul_i32 s8, s3, s5
	s_mul_hi_u32 s3, s3, s9
	s_add_u32 s3, s3, s8
	s_addc_u32 s1, 0, s1
	s_mul_hi_u32 s20, s0, s9
	s_mul_i32 s9, s0, s9
	s_add_u32 s3, s3, s9
	s_mul_hi_u32 s8, s0, s5
	s_addc_u32 s1, s1, s20
	s_addc_u32 s3, s8, 0
	s_mul_i32 s5, s0, s5
	s_add_u32 s1, s1, s5
	s_addc_u32 s3, 0, s3
	v_add_co_u32_e32 v1, vcc, s1, v1
	s_cmp_lg_u64 vcc, 0
	s_addc_u32 s0, s0, s3
	v_readfirstlane_b32 s5, v1
	s_mul_i32 s3, s14, s0
	s_mul_hi_u32 s8, s14, s5
	s_mul_hi_u32 s1, s14, s0
	s_add_u32 s3, s8, s3
	s_addc_u32 s1, 0, s1
	s_mul_hi_u32 s9, s15, s5
	s_mul_i32 s5, s15, s5
	s_add_u32 s3, s3, s5
	s_mul_hi_u32 s8, s15, s0
	s_addc_u32 s1, s1, s9
	s_addc_u32 s3, s8, 0
	s_mul_i32 s0, s15, s0
	s_add_u32 s0, s1, s0
	s_addc_u32 s1, 0, s3
	s_add_u32 s3, s0, 1
	s_addc_u32 s5, s1, 0
	s_add_u32 s8, s0, 2
	s_mul_i32 s20, s1, 0xa00
	s_mul_hi_u32 s21, s0, 0xa00
	s_addc_u32 s9, s1, 0
	s_add_i32 s21, s21, s20
	s_mul_i32 s20, s0, 0xa00
	v_mov_b32_e32 v1, s20
	v_sub_co_u32_e32 v1, vcc, s14, v1
	s_cmp_lg_u64 vcc, 0
	s_subb_u32 s20, s15, s21
	v_subrev_co_u32_e32 v2, vcc, s2, v1
	s_cmp_lg_u64 vcc, 0
	s_subb_u32 s2, s20, 0
	v_readfirstlane_b32 s21, v2
	s_cmpk_gt_u32 s21, 0x9ff
	s_cselect_b32 s21, -1, 0
	s_cmp_eq_u32 s2, 0
	s_cselect_b32 s2, s21, -1
	s_cmp_lg_u32 s2, 0
	s_cselect_b32 s2, s8, s3
	s_cselect_b32 s3, s9, s5
	v_readfirstlane_b32 s5, v1
	s_cmpk_gt_u32 s5, 0x9ff
	s_cselect_b32 s5, -1, 0
	s_cmp_eq_u32 s20, 0
	s_cselect_b32 s5, s5, -1
	s_cmp_lg_u32 s5, 0
	s_cselect_b32 s3, s3, s1
	s_cselect_b32 s2, s2, s0
	s_mul_i32 s0, s3, 0xa00
	s_mul_hi_u32 s1, s2, 0xa00
	s_add_i32 s1, s1, s0
	s_mul_i32 s0, s2, 0xa00
	s_sub_u32 s0, s14, s0
	s_subb_u32 s1, s15, s1
	s_cmp_lg_u64 s[0:1], 0
	s_cselect_b64 s[0:1], -1, 0
	v_cndmask_b32_e64 v1, 0, 1, s[0:1]
	v_readfirstlane_b32 s0, v1
	s_add_u32 s2, s2, s0
	s_addc_u32 s3, s3, 0
	s_add_u32 s8, s18, s6
	s_addc_u32 s9, s19, 0
	s_add_u32 s20, s2, -1
	s_addc_u32 s21, s3, -1
	v_pk_mov_b32 v[2:3], s[20:21], s[20:21] op_sel:[0,1]
	v_cmp_ge_u64_e64 s[0:1], s[8:9], v[2:3]
	s_mov_b32 s7, 0
	s_mov_b64 s[22:23], -1
	s_and_b64 vcc, exec, s[0:1]
	s_mul_i32 s15, s20, 0xfffff600
	s_cbranch_vccz .LBB410_12
; %bb.1:
	s_mov_b32 s5, s7
	s_add_i32 s28, s15, s14
	s_lshl_b64 s[22:23], s[4:5], 2
	s_add_u32 s22, s26, s22
	s_addc_u32 s23, s27, s23
	v_cmp_gt_u32_e32 vcc, s28, v0
                                        ; implicit-def: $vgpr2_vgpr3_vgpr4_vgpr5_vgpr6
	s_and_saveexec_b64 s[24:25], vcc
	s_cbranch_execz .LBB410_3
; %bb.2:
	v_lshlrev_b32_e32 v1, 2, v0
	global_load_dword v2, v1, s[22:23]
.LBB410_3:
	s_or_b64 exec, exec, s[24:25]
	v_or_b32_e32 v1, 0x200, v0
	v_cmp_gt_u32_e32 vcc, s28, v1
	s_and_saveexec_b64 s[24:25], vcc
	s_cbranch_execz .LBB410_5
; %bb.4:
	v_lshlrev_b32_e32 v1, 2, v0
	global_load_dword v3, v1, s[22:23] offset:2048
.LBB410_5:
	s_or_b64 exec, exec, s[24:25]
	v_or_b32_e32 v1, 0x400, v0
	v_cmp_gt_u32_e32 vcc, s28, v1
	s_and_saveexec_b64 s[24:25], vcc
	s_cbranch_execz .LBB410_7
; %bb.6:
	v_lshlrev_b32_e32 v1, 2, v1
	global_load_dword v4, v1, s[22:23]
.LBB410_7:
	s_or_b64 exec, exec, s[24:25]
	v_or_b32_e32 v1, 0x600, v0
	v_cmp_gt_u32_e32 vcc, s28, v1
	s_and_saveexec_b64 s[24:25], vcc
	s_cbranch_execz .LBB410_9
; %bb.8:
	v_lshlrev_b32_e32 v1, 2, v1
	global_load_dword v5, v1, s[22:23]
.LBB410_9:
	;; [unrolled: 9-line block ×3, first 2 shown]
	s_or_b64 exec, exec, s[24:25]
	v_lshlrev_b32_e32 v1, 2, v0
	s_mov_b64 s[22:23], 0
	s_waitcnt vmcnt(0)
	ds_write2st64_b32 v1, v2, v3 offset1:8
	ds_write2st64_b32 v1, v4, v5 offset0:16 offset1:24
	ds_write_b32 v1, v6 offset:8192
	s_waitcnt lgkmcnt(0)
	s_barrier
.LBB410_12:
	s_and_b64 vcc, exec, s[22:23]
	v_lshlrev_b32_e32 v1, 2, v0
	s_cbranch_vccz .LBB410_14
; %bb.13:
	s_mov_b32 s5, 0
	s_lshl_b64 s[22:23], s[4:5], 2
	s_add_u32 s22, s26, s22
	s_addc_u32 s23, s27, s23
	v_mov_b32_e32 v2, s23
	v_add_co_u32_e32 v4, vcc, s22, v1
	v_addc_co_u32_e32 v5, vcc, 0, v2, vcc
	v_add_co_u32_e32 v2, vcc, 0x1000, v4
	v_addc_co_u32_e32 v3, vcc, 0, v5, vcc
	global_load_dword v6, v1, s[22:23]
	global_load_dword v7, v1, s[22:23] offset:2048
	global_load_dword v8, v[2:3], off
	global_load_dword v9, v[2:3], off offset:2048
	v_add_co_u32_e32 v2, vcc, 0x2000, v4
	v_addc_co_u32_e32 v3, vcc, 0, v5, vcc
	global_load_dword v2, v[2:3], off
	s_waitcnt vmcnt(3)
	ds_write2st64_b32 v1, v6, v7 offset1:8
	s_waitcnt vmcnt(1)
	ds_write2st64_b32 v1, v8, v9 offset0:16 offset1:24
	s_waitcnt vmcnt(0)
	ds_write_b32 v1, v2 offset:8192
	s_waitcnt lgkmcnt(0)
	s_barrier
.LBB410_14:
	v_mul_u32_u24_e32 v2, 5, v0
	v_lshlrev_b32_e32 v3, 2, v2
	ds_read_b32 v2, v3
	ds_read2_b32 v[20:21], v3 offset0:1 offset1:2
	ds_read2_b32 v[22:23], v3 offset0:3 offset1:4
	s_cmp_eq_u64 s[8:9], 0
	s_waitcnt lgkmcnt(0)
	s_barrier
	s_cbranch_scc1 .LBB410_19
; %bb.15:
	s_lshl_b64 s[18:19], s[18:19], 2
	s_add_u32 s5, s16, s18
	s_addc_u32 s16, s17, s19
	s_lshl_b64 s[6:7], s[6:7], 2
	s_add_u32 s5, s5, s6
	s_addc_u32 s7, s16, s7
	s_add_u32 s6, s5, -4
	s_addc_u32 s7, s7, -1
	s_load_dword s5, s[6:7], 0x0
	s_cmp_eq_u64 s[8:9], s[20:21]
	s_cbranch_scc1 .LBB410_20
; %bb.16:
	v_cmp_ne_u32_e32 vcc, 0, v0
	s_waitcnt lgkmcnt(0)
	v_mov_b32_e32 v3, s5
	ds_write_b32 v1, v23
	s_waitcnt lgkmcnt(0)
	s_barrier
	s_and_saveexec_b64 s[6:7], vcc
	s_cbranch_execz .LBB410_18
; %bb.17:
	v_add_u32_e32 v3, -4, v1
	ds_read_b32 v3, v3
.LBB410_18:
	s_or_b64 exec, exec, s[6:7]
	v_add_u32_e32 v8, v23, v22
	v_add_u32_e32 v9, v22, v21
	;; [unrolled: 1-line block ×4, first 2 shown]
	s_cbranch_execz .LBB410_21
	s_branch .LBB410_24
.LBB410_19:
                                        ; implicit-def: $vgpr14_vgpr15_vgpr16_vgpr17_vgpr18
                                        ; implicit-def: $vgpr10_vgpr11_vgpr12_vgpr13_vgpr14
	s_mov_b64 s[6:7], 0
                                        ; implicit-def: $vgpr6_vgpr7_vgpr8_vgpr9_vgpr10
                                        ; implicit-def: $vgpr3
                                        ; implicit-def: $vgpr4_vgpr5_vgpr6_vgpr7_vgpr8
	s_branch .LBB410_25
.LBB410_20:
                                        ; implicit-def: $vgpr14_vgpr15_vgpr16_vgpr17_vgpr18
                                        ; implicit-def: $vgpr10_vgpr11_vgpr12_vgpr13_vgpr14
                                        ; implicit-def: $vgpr3
                                        ; implicit-def: $vgpr6_vgpr7_vgpr8_vgpr9_vgpr10
                                        ; implicit-def: $vgpr4_vgpr5_vgpr6_vgpr7_vgpr8
.LBB410_21:
	s_waitcnt lgkmcnt(0)
	v_mul_u32_u24_e32 v3, 5, v0
	v_cmp_ne_u32_e32 vcc, 0, v0
	v_mov_b32_e32 v4, s5
	ds_write_b32 v1, v23
	s_waitcnt lgkmcnt(0)
	s_barrier
	s_and_saveexec_b64 s[6:7], vcc
	s_cbranch_execz .LBB410_23
; %bb.22:
	v_add_u32_e32 v4, -4, v1
	ds_read_b32 v4, v4
.LBB410_23:
	s_or_b64 exec, exec, s[6:7]
	s_mul_i32 s5, s8, 0xfffff600
	s_add_i32 s5, s5, s14
	v_add_u32_e32 v5, 4, v3
	v_add_u32_e32 v6, v23, v22
	v_cmp_gt_u32_e32 vcc, s5, v5
	v_add_u32_e32 v5, 3, v3
	v_cndmask_b32_e32 v8, v23, v6, vcc
	v_add_u32_e32 v6, v22, v21
	v_cmp_gt_u32_e32 vcc, s5, v5
	v_add_u32_e32 v5, 2, v3
	v_cndmask_b32_e32 v9, v22, v6, vcc
	;; [unrolled: 4-line block ×3, first 2 shown]
	v_add_u32_e32 v6, v20, v2
	v_cmp_gt_u32_e32 vcc, s5, v5
	v_cndmask_b32_e32 v15, v20, v6, vcc
	v_cmp_gt_u32_e32 vcc, s5, v3
	s_waitcnt lgkmcnt(0)
	v_cndmask_b32_e32 v3, 0, v4, vcc
.LBB410_24:
	s_mov_b64 s[6:7], -1
	s_cbranch_execnz .LBB410_33
.LBB410_25:
	s_cmp_lg_u64 s[2:3], 1
	v_add_u32_e32 v9, v22, v21
	v_add_u32_e32 v8, v23, v22
	;; [unrolled: 1-line block ×4, first 2 shown]
	v_cmp_ne_u32_e32 vcc, 0, v0
	s_cbranch_scc0 .LBB410_29
; %bb.26:
	ds_write_b32 v1, v23
	s_waitcnt lgkmcnt(0)
	s_barrier
	s_waitcnt lgkmcnt(0)
                                        ; implicit-def: $vgpr3
	s_and_saveexec_b64 s[2:3], vcc
	s_cbranch_execz .LBB410_28
; %bb.27:
	v_add_u32_e32 v3, -4, v1
	ds_read_b32 v3, v3
	s_or_b64 s[6:7], s[6:7], exec
.LBB410_28:
	s_or_b64 exec, exec, s[2:3]
	s_branch .LBB410_33
.LBB410_29:
                                        ; implicit-def: $vgpr3
	s_cbranch_execz .LBB410_33
; %bb.30:
	v_mad_u32_u24 v4, v0, 5, 4
	v_cmp_gt_u32_e32 vcc, s14, v4
	v_mad_u32_u24 v4, v0, 5, 3
	v_cndmask_b32_e32 v8, v23, v8, vcc
	v_cmp_gt_u32_e32 vcc, s14, v4
	v_mad_u32_u24 v4, v0, 5, 2
	v_cndmask_b32_e32 v9, v22, v9, vcc
	v_cmp_gt_u32_e32 vcc, s14, v4
	v_mad_u32_u24 v4, v0, 5, 1
	s_waitcnt lgkmcnt(0)
	v_mul_u32_u24_e32 v3, 5, v0
	v_cndmask_b32_e32 v12, v21, v12, vcc
	v_cmp_gt_u32_e32 vcc, s14, v4
	v_cndmask_b32_e32 v15, v20, v15, vcc
	v_cmp_ne_u32_e32 vcc, 0, v0
	v_cmp_gt_u32_e64 s[2:3], s14, v3
	s_and_b64 s[8:9], vcc, s[2:3]
	ds_write_b32 v1, v23
	s_waitcnt lgkmcnt(0)
	s_barrier
	s_waitcnt lgkmcnt(0)
                                        ; implicit-def: $vgpr3
	s_and_saveexec_b64 s[2:3], s[8:9]
	s_cbranch_execz .LBB410_32
; %bb.31:
	v_add_u32_e32 v3, -4, v1
	ds_read_b32 v3, v3
	s_or_b64 s[6:7], s[6:7], exec
.LBB410_32:
	s_or_b64 exec, exec, s[2:3]
.LBB410_33:
	s_and_saveexec_b64 s[2:3], s[6:7]
	s_cbranch_execz .LBB410_35
; %bb.34:
	s_waitcnt lgkmcnt(0)
	v_add_u32_e32 v2, v3, v2
.LBB410_35:
	s_or_b64 exec, exec, s[2:3]
	s_add_u32 s6, s12, s10
	s_addc_u32 s7, s13, s11
	s_and_b64 vcc, exec, s[0:1]
	s_waitcnt lgkmcnt(0)
	v_mul_u32_u24_e32 v3, 20, v0
	v_lshlrev_b32_e32 v13, 4, v0
	s_barrier
	s_cbranch_vccz .LBB410_45
; %bb.36:
	s_mov_b32 s5, 0
	s_add_i32 s15, s15, s14
	s_lshl_b64 s[0:1], s[4:5], 2
	v_sub_u32_e32 v4, v3, v13
	s_add_u32 s0, s6, s0
	ds_write2_b32 v3, v2, v15 offset1:1
	ds_write2_b32 v3, v12, v9 offset0:2 offset1:3
	ds_write_b32 v3, v8 offset:16
	s_waitcnt lgkmcnt(0)
	s_barrier
	ds_read2st64_b32 v[10:11], v4 offset0:8 offset1:16
	ds_read2st64_b32 v[4:5], v4 offset0:24 offset1:32
	s_addc_u32 s1, s7, s1
	v_mov_b32_e32 v7, s1
	v_add_co_u32_e32 v6, vcc, s0, v1
	v_addc_co_u32_e32 v7, vcc, 0, v7, vcc
	v_cmp_gt_u32_e32 vcc, s15, v0
	s_and_saveexec_b64 s[0:1], vcc
	s_cbranch_execz .LBB410_38
; %bb.37:
	v_sub_u32_e32 v14, 0, v13
	v_add_u32_e32 v14, v3, v14
	ds_read_b32 v14, v14
	s_waitcnt lgkmcnt(0)
	global_store_dword v[6:7], v14, off
.LBB410_38:
	s_or_b64 exec, exec, s[0:1]
	v_or_b32_e32 v14, 0x200, v0
	v_cmp_gt_u32_e32 vcc, s15, v14
	s_and_saveexec_b64 s[0:1], vcc
	s_cbranch_execz .LBB410_40
; %bb.39:
	s_waitcnt lgkmcnt(1)
	global_store_dword v[6:7], v10, off offset:2048
.LBB410_40:
	s_or_b64 exec, exec, s[0:1]
	s_waitcnt lgkmcnt(1)
	v_or_b32_e32 v10, 0x400, v0
	v_cmp_gt_u32_e32 vcc, s15, v10
	s_and_saveexec_b64 s[0:1], vcc
	s_cbranch_execz .LBB410_42
; %bb.41:
	v_add_co_u32_e32 v16, vcc, 0x1000, v6
	v_addc_co_u32_e32 v17, vcc, 0, v7, vcc
	global_store_dword v[16:17], v11, off
.LBB410_42:
	s_or_b64 exec, exec, s[0:1]
	v_or_b32_e32 v10, 0x600, v0
	v_cmp_gt_u32_e32 vcc, s15, v10
	s_and_saveexec_b64 s[0:1], vcc
	s_cbranch_execz .LBB410_44
; %bb.43:
	v_add_co_u32_e32 v10, vcc, 0x1000, v6
	v_addc_co_u32_e32 v11, vcc, 0, v7, vcc
	s_waitcnt lgkmcnt(0)
	global_store_dword v[10:11], v4, off offset:2048
.LBB410_44:
	s_or_b64 exec, exec, s[0:1]
	v_or_b32_e32 v0, 0x800, v0
	v_cmp_gt_u32_e64 s[0:1], s15, v0
	s_branch .LBB410_47
.LBB410_45:
	s_mov_b64 s[0:1], 0
                                        ; implicit-def: $vgpr5
                                        ; implicit-def: $vgpr6_vgpr7
	s_cbranch_execz .LBB410_47
; %bb.46:
	s_mov_b32 s5, 0
	s_lshl_b64 s[2:3], s[4:5], 2
	s_add_u32 s2, s6, s2
	s_addc_u32 s3, s7, s3
	v_sub_u32_e32 v0, v3, v13
	ds_write2_b32 v3, v2, v15 offset1:1
	ds_write2_b32 v3, v12, v9 offset0:2 offset1:3
	ds_write_b32 v3, v8 offset:16
	s_waitcnt lgkmcnt(0)
	s_barrier
	ds_read2st64_b32 v[2:3], v0 offset1:8
	ds_read2st64_b32 v[8:9], v0 offset0:16 offset1:24
	ds_read_b32 v5, v0 offset:8192
	v_mov_b32_e32 v0, s3
	v_add_co_u32_e32 v6, vcc, s2, v1
	v_addc_co_u32_e32 v7, vcc, 0, v0, vcc
	v_add_co_u32_e32 v0, vcc, 0x1000, v6
	s_waitcnt lgkmcnt(2)
	global_store_dword v1, v2, s[2:3]
	global_store_dword v1, v3, s[2:3] offset:2048
	v_addc_co_u32_e32 v1, vcc, 0, v7, vcc
	s_or_b64 s[0:1], s[0:1], exec
	s_waitcnt lgkmcnt(1)
	global_store_dword v[0:1], v8, off
	global_store_dword v[0:1], v9, off offset:2048
.LBB410_47:
	s_and_saveexec_b64 s[2:3], s[0:1]
	s_cbranch_execnz .LBB410_49
; %bb.48:
	s_endpgm
.LBB410_49:
	v_add_co_u32_e32 v0, vcc, 0x2000, v6
	v_addc_co_u32_e32 v1, vcc, 0, v7, vcc
	s_waitcnt lgkmcnt(0)
	global_store_dword v[0:1], v5, off
	s_endpgm
	.section	.rodata,"a",@progbits
	.p2align	6, 0x0
	.amdhsa_kernel _ZN7rocprim17ROCPRIM_400000_NS6detail17trampoline_kernelINS0_14default_configENS1_35adjacent_difference_config_selectorILb1EjEEZNS1_24adjacent_difference_implIS3_Lb1ELb0EPjS7_N6thrust23THRUST_200600_302600_NS4plusIjEEEE10hipError_tPvRmT2_T3_mT4_P12ihipStream_tbEUlT_E_NS1_11comp_targetILNS1_3genE4ELNS1_11target_archE910ELNS1_3gpuE8ELNS1_3repE0EEENS1_30default_config_static_selectorELNS0_4arch9wavefront6targetE1EEEvT1_
		.amdhsa_group_segment_fixed_size 10240
		.amdhsa_private_segment_fixed_size 0
		.amdhsa_kernarg_size 56
		.amdhsa_user_sgpr_count 6
		.amdhsa_user_sgpr_private_segment_buffer 1
		.amdhsa_user_sgpr_dispatch_ptr 0
		.amdhsa_user_sgpr_queue_ptr 0
		.amdhsa_user_sgpr_kernarg_segment_ptr 1
		.amdhsa_user_sgpr_dispatch_id 0
		.amdhsa_user_sgpr_flat_scratch_init 0
		.amdhsa_user_sgpr_kernarg_preload_length 0
		.amdhsa_user_sgpr_kernarg_preload_offset 0
		.amdhsa_user_sgpr_private_segment_size 0
		.amdhsa_uses_dynamic_stack 0
		.amdhsa_system_sgpr_private_segment_wavefront_offset 0
		.amdhsa_system_sgpr_workgroup_id_x 1
		.amdhsa_system_sgpr_workgroup_id_y 0
		.amdhsa_system_sgpr_workgroup_id_z 0
		.amdhsa_system_sgpr_workgroup_info 0
		.amdhsa_system_vgpr_workitem_id 0
		.amdhsa_next_free_vgpr 24
		.amdhsa_next_free_sgpr 29
		.amdhsa_accum_offset 24
		.amdhsa_reserve_vcc 1
		.amdhsa_reserve_flat_scratch 0
		.amdhsa_float_round_mode_32 0
		.amdhsa_float_round_mode_16_64 0
		.amdhsa_float_denorm_mode_32 3
		.amdhsa_float_denorm_mode_16_64 3
		.amdhsa_dx10_clamp 1
		.amdhsa_ieee_mode 1
		.amdhsa_fp16_overflow 0
		.amdhsa_tg_split 0
		.amdhsa_exception_fp_ieee_invalid_op 0
		.amdhsa_exception_fp_denorm_src 0
		.amdhsa_exception_fp_ieee_div_zero 0
		.amdhsa_exception_fp_ieee_overflow 0
		.amdhsa_exception_fp_ieee_underflow 0
		.amdhsa_exception_fp_ieee_inexact 0
		.amdhsa_exception_int_div_zero 0
	.end_amdhsa_kernel
	.section	.text._ZN7rocprim17ROCPRIM_400000_NS6detail17trampoline_kernelINS0_14default_configENS1_35adjacent_difference_config_selectorILb1EjEEZNS1_24adjacent_difference_implIS3_Lb1ELb0EPjS7_N6thrust23THRUST_200600_302600_NS4plusIjEEEE10hipError_tPvRmT2_T3_mT4_P12ihipStream_tbEUlT_E_NS1_11comp_targetILNS1_3genE4ELNS1_11target_archE910ELNS1_3gpuE8ELNS1_3repE0EEENS1_30default_config_static_selectorELNS0_4arch9wavefront6targetE1EEEvT1_,"axG",@progbits,_ZN7rocprim17ROCPRIM_400000_NS6detail17trampoline_kernelINS0_14default_configENS1_35adjacent_difference_config_selectorILb1EjEEZNS1_24adjacent_difference_implIS3_Lb1ELb0EPjS7_N6thrust23THRUST_200600_302600_NS4plusIjEEEE10hipError_tPvRmT2_T3_mT4_P12ihipStream_tbEUlT_E_NS1_11comp_targetILNS1_3genE4ELNS1_11target_archE910ELNS1_3gpuE8ELNS1_3repE0EEENS1_30default_config_static_selectorELNS0_4arch9wavefront6targetE1EEEvT1_,comdat
.Lfunc_end410:
	.size	_ZN7rocprim17ROCPRIM_400000_NS6detail17trampoline_kernelINS0_14default_configENS1_35adjacent_difference_config_selectorILb1EjEEZNS1_24adjacent_difference_implIS3_Lb1ELb0EPjS7_N6thrust23THRUST_200600_302600_NS4plusIjEEEE10hipError_tPvRmT2_T3_mT4_P12ihipStream_tbEUlT_E_NS1_11comp_targetILNS1_3genE4ELNS1_11target_archE910ELNS1_3gpuE8ELNS1_3repE0EEENS1_30default_config_static_selectorELNS0_4arch9wavefront6targetE1EEEvT1_, .Lfunc_end410-_ZN7rocprim17ROCPRIM_400000_NS6detail17trampoline_kernelINS0_14default_configENS1_35adjacent_difference_config_selectorILb1EjEEZNS1_24adjacent_difference_implIS3_Lb1ELb0EPjS7_N6thrust23THRUST_200600_302600_NS4plusIjEEEE10hipError_tPvRmT2_T3_mT4_P12ihipStream_tbEUlT_E_NS1_11comp_targetILNS1_3genE4ELNS1_11target_archE910ELNS1_3gpuE8ELNS1_3repE0EEENS1_30default_config_static_selectorELNS0_4arch9wavefront6targetE1EEEvT1_
                                        ; -- End function
	.section	.AMDGPU.csdata,"",@progbits
; Kernel info:
; codeLenInByte = 1964
; NumSgprs: 33
; NumVgprs: 24
; NumAgprs: 0
; TotalNumVgprs: 24
; ScratchSize: 0
; MemoryBound: 0
; FloatMode: 240
; IeeeMode: 1
; LDSByteSize: 10240 bytes/workgroup (compile time only)
; SGPRBlocks: 4
; VGPRBlocks: 2
; NumSGPRsForWavesPerEU: 33
; NumVGPRsForWavesPerEU: 24
; AccumOffset: 24
; Occupancy: 8
; WaveLimiterHint : 1
; COMPUTE_PGM_RSRC2:SCRATCH_EN: 0
; COMPUTE_PGM_RSRC2:USER_SGPR: 6
; COMPUTE_PGM_RSRC2:TRAP_HANDLER: 0
; COMPUTE_PGM_RSRC2:TGID_X_EN: 1
; COMPUTE_PGM_RSRC2:TGID_Y_EN: 0
; COMPUTE_PGM_RSRC2:TGID_Z_EN: 0
; COMPUTE_PGM_RSRC2:TIDIG_COMP_CNT: 0
; COMPUTE_PGM_RSRC3_GFX90A:ACCUM_OFFSET: 5
; COMPUTE_PGM_RSRC3_GFX90A:TG_SPLIT: 0
	.section	.text._ZN7rocprim17ROCPRIM_400000_NS6detail17trampoline_kernelINS0_14default_configENS1_35adjacent_difference_config_selectorILb1EjEEZNS1_24adjacent_difference_implIS3_Lb1ELb0EPjS7_N6thrust23THRUST_200600_302600_NS4plusIjEEEE10hipError_tPvRmT2_T3_mT4_P12ihipStream_tbEUlT_E_NS1_11comp_targetILNS1_3genE3ELNS1_11target_archE908ELNS1_3gpuE7ELNS1_3repE0EEENS1_30default_config_static_selectorELNS0_4arch9wavefront6targetE1EEEvT1_,"axG",@progbits,_ZN7rocprim17ROCPRIM_400000_NS6detail17trampoline_kernelINS0_14default_configENS1_35adjacent_difference_config_selectorILb1EjEEZNS1_24adjacent_difference_implIS3_Lb1ELb0EPjS7_N6thrust23THRUST_200600_302600_NS4plusIjEEEE10hipError_tPvRmT2_T3_mT4_P12ihipStream_tbEUlT_E_NS1_11comp_targetILNS1_3genE3ELNS1_11target_archE908ELNS1_3gpuE7ELNS1_3repE0EEENS1_30default_config_static_selectorELNS0_4arch9wavefront6targetE1EEEvT1_,comdat
	.protected	_ZN7rocprim17ROCPRIM_400000_NS6detail17trampoline_kernelINS0_14default_configENS1_35adjacent_difference_config_selectorILb1EjEEZNS1_24adjacent_difference_implIS3_Lb1ELb0EPjS7_N6thrust23THRUST_200600_302600_NS4plusIjEEEE10hipError_tPvRmT2_T3_mT4_P12ihipStream_tbEUlT_E_NS1_11comp_targetILNS1_3genE3ELNS1_11target_archE908ELNS1_3gpuE7ELNS1_3repE0EEENS1_30default_config_static_selectorELNS0_4arch9wavefront6targetE1EEEvT1_ ; -- Begin function _ZN7rocprim17ROCPRIM_400000_NS6detail17trampoline_kernelINS0_14default_configENS1_35adjacent_difference_config_selectorILb1EjEEZNS1_24adjacent_difference_implIS3_Lb1ELb0EPjS7_N6thrust23THRUST_200600_302600_NS4plusIjEEEE10hipError_tPvRmT2_T3_mT4_P12ihipStream_tbEUlT_E_NS1_11comp_targetILNS1_3genE3ELNS1_11target_archE908ELNS1_3gpuE7ELNS1_3repE0EEENS1_30default_config_static_selectorELNS0_4arch9wavefront6targetE1EEEvT1_
	.globl	_ZN7rocprim17ROCPRIM_400000_NS6detail17trampoline_kernelINS0_14default_configENS1_35adjacent_difference_config_selectorILb1EjEEZNS1_24adjacent_difference_implIS3_Lb1ELb0EPjS7_N6thrust23THRUST_200600_302600_NS4plusIjEEEE10hipError_tPvRmT2_T3_mT4_P12ihipStream_tbEUlT_E_NS1_11comp_targetILNS1_3genE3ELNS1_11target_archE908ELNS1_3gpuE7ELNS1_3repE0EEENS1_30default_config_static_selectorELNS0_4arch9wavefront6targetE1EEEvT1_
	.p2align	8
	.type	_ZN7rocprim17ROCPRIM_400000_NS6detail17trampoline_kernelINS0_14default_configENS1_35adjacent_difference_config_selectorILb1EjEEZNS1_24adjacent_difference_implIS3_Lb1ELb0EPjS7_N6thrust23THRUST_200600_302600_NS4plusIjEEEE10hipError_tPvRmT2_T3_mT4_P12ihipStream_tbEUlT_E_NS1_11comp_targetILNS1_3genE3ELNS1_11target_archE908ELNS1_3gpuE7ELNS1_3repE0EEENS1_30default_config_static_selectorELNS0_4arch9wavefront6targetE1EEEvT1_,@function
_ZN7rocprim17ROCPRIM_400000_NS6detail17trampoline_kernelINS0_14default_configENS1_35adjacent_difference_config_selectorILb1EjEEZNS1_24adjacent_difference_implIS3_Lb1ELb0EPjS7_N6thrust23THRUST_200600_302600_NS4plusIjEEEE10hipError_tPvRmT2_T3_mT4_P12ihipStream_tbEUlT_E_NS1_11comp_targetILNS1_3genE3ELNS1_11target_archE908ELNS1_3gpuE7ELNS1_3repE0EEENS1_30default_config_static_selectorELNS0_4arch9wavefront6targetE1EEEvT1_: ; @_ZN7rocprim17ROCPRIM_400000_NS6detail17trampoline_kernelINS0_14default_configENS1_35adjacent_difference_config_selectorILb1EjEEZNS1_24adjacent_difference_implIS3_Lb1ELb0EPjS7_N6thrust23THRUST_200600_302600_NS4plusIjEEEE10hipError_tPvRmT2_T3_mT4_P12ihipStream_tbEUlT_E_NS1_11comp_targetILNS1_3genE3ELNS1_11target_archE908ELNS1_3gpuE7ELNS1_3repE0EEENS1_30default_config_static_selectorELNS0_4arch9wavefront6targetE1EEEvT1_
; %bb.0:
	.section	.rodata,"a",@progbits
	.p2align	6, 0x0
	.amdhsa_kernel _ZN7rocprim17ROCPRIM_400000_NS6detail17trampoline_kernelINS0_14default_configENS1_35adjacent_difference_config_selectorILb1EjEEZNS1_24adjacent_difference_implIS3_Lb1ELb0EPjS7_N6thrust23THRUST_200600_302600_NS4plusIjEEEE10hipError_tPvRmT2_T3_mT4_P12ihipStream_tbEUlT_E_NS1_11comp_targetILNS1_3genE3ELNS1_11target_archE908ELNS1_3gpuE7ELNS1_3repE0EEENS1_30default_config_static_selectorELNS0_4arch9wavefront6targetE1EEEvT1_
		.amdhsa_group_segment_fixed_size 0
		.amdhsa_private_segment_fixed_size 0
		.amdhsa_kernarg_size 56
		.amdhsa_user_sgpr_count 6
		.amdhsa_user_sgpr_private_segment_buffer 1
		.amdhsa_user_sgpr_dispatch_ptr 0
		.amdhsa_user_sgpr_queue_ptr 0
		.amdhsa_user_sgpr_kernarg_segment_ptr 1
		.amdhsa_user_sgpr_dispatch_id 0
		.amdhsa_user_sgpr_flat_scratch_init 0
		.amdhsa_user_sgpr_kernarg_preload_length 0
		.amdhsa_user_sgpr_kernarg_preload_offset 0
		.amdhsa_user_sgpr_private_segment_size 0
		.amdhsa_uses_dynamic_stack 0
		.amdhsa_system_sgpr_private_segment_wavefront_offset 0
		.amdhsa_system_sgpr_workgroup_id_x 1
		.amdhsa_system_sgpr_workgroup_id_y 0
		.amdhsa_system_sgpr_workgroup_id_z 0
		.amdhsa_system_sgpr_workgroup_info 0
		.amdhsa_system_vgpr_workitem_id 0
		.amdhsa_next_free_vgpr 1
		.amdhsa_next_free_sgpr 0
		.amdhsa_accum_offset 4
		.amdhsa_reserve_vcc 0
		.amdhsa_reserve_flat_scratch 0
		.amdhsa_float_round_mode_32 0
		.amdhsa_float_round_mode_16_64 0
		.amdhsa_float_denorm_mode_32 3
		.amdhsa_float_denorm_mode_16_64 3
		.amdhsa_dx10_clamp 1
		.amdhsa_ieee_mode 1
		.amdhsa_fp16_overflow 0
		.amdhsa_tg_split 0
		.amdhsa_exception_fp_ieee_invalid_op 0
		.amdhsa_exception_fp_denorm_src 0
		.amdhsa_exception_fp_ieee_div_zero 0
		.amdhsa_exception_fp_ieee_overflow 0
		.amdhsa_exception_fp_ieee_underflow 0
		.amdhsa_exception_fp_ieee_inexact 0
		.amdhsa_exception_int_div_zero 0
	.end_amdhsa_kernel
	.section	.text._ZN7rocprim17ROCPRIM_400000_NS6detail17trampoline_kernelINS0_14default_configENS1_35adjacent_difference_config_selectorILb1EjEEZNS1_24adjacent_difference_implIS3_Lb1ELb0EPjS7_N6thrust23THRUST_200600_302600_NS4plusIjEEEE10hipError_tPvRmT2_T3_mT4_P12ihipStream_tbEUlT_E_NS1_11comp_targetILNS1_3genE3ELNS1_11target_archE908ELNS1_3gpuE7ELNS1_3repE0EEENS1_30default_config_static_selectorELNS0_4arch9wavefront6targetE1EEEvT1_,"axG",@progbits,_ZN7rocprim17ROCPRIM_400000_NS6detail17trampoline_kernelINS0_14default_configENS1_35adjacent_difference_config_selectorILb1EjEEZNS1_24adjacent_difference_implIS3_Lb1ELb0EPjS7_N6thrust23THRUST_200600_302600_NS4plusIjEEEE10hipError_tPvRmT2_T3_mT4_P12ihipStream_tbEUlT_E_NS1_11comp_targetILNS1_3genE3ELNS1_11target_archE908ELNS1_3gpuE7ELNS1_3repE0EEENS1_30default_config_static_selectorELNS0_4arch9wavefront6targetE1EEEvT1_,comdat
.Lfunc_end411:
	.size	_ZN7rocprim17ROCPRIM_400000_NS6detail17trampoline_kernelINS0_14default_configENS1_35adjacent_difference_config_selectorILb1EjEEZNS1_24adjacent_difference_implIS3_Lb1ELb0EPjS7_N6thrust23THRUST_200600_302600_NS4plusIjEEEE10hipError_tPvRmT2_T3_mT4_P12ihipStream_tbEUlT_E_NS1_11comp_targetILNS1_3genE3ELNS1_11target_archE908ELNS1_3gpuE7ELNS1_3repE0EEENS1_30default_config_static_selectorELNS0_4arch9wavefront6targetE1EEEvT1_, .Lfunc_end411-_ZN7rocprim17ROCPRIM_400000_NS6detail17trampoline_kernelINS0_14default_configENS1_35adjacent_difference_config_selectorILb1EjEEZNS1_24adjacent_difference_implIS3_Lb1ELb0EPjS7_N6thrust23THRUST_200600_302600_NS4plusIjEEEE10hipError_tPvRmT2_T3_mT4_P12ihipStream_tbEUlT_E_NS1_11comp_targetILNS1_3genE3ELNS1_11target_archE908ELNS1_3gpuE7ELNS1_3repE0EEENS1_30default_config_static_selectorELNS0_4arch9wavefront6targetE1EEEvT1_
                                        ; -- End function
	.section	.AMDGPU.csdata,"",@progbits
; Kernel info:
; codeLenInByte = 0
; NumSgprs: 4
; NumVgprs: 0
; NumAgprs: 0
; TotalNumVgprs: 0
; ScratchSize: 0
; MemoryBound: 0
; FloatMode: 240
; IeeeMode: 1
; LDSByteSize: 0 bytes/workgroup (compile time only)
; SGPRBlocks: 0
; VGPRBlocks: 0
; NumSGPRsForWavesPerEU: 4
; NumVGPRsForWavesPerEU: 1
; AccumOffset: 4
; Occupancy: 8
; WaveLimiterHint : 0
; COMPUTE_PGM_RSRC2:SCRATCH_EN: 0
; COMPUTE_PGM_RSRC2:USER_SGPR: 6
; COMPUTE_PGM_RSRC2:TRAP_HANDLER: 0
; COMPUTE_PGM_RSRC2:TGID_X_EN: 1
; COMPUTE_PGM_RSRC2:TGID_Y_EN: 0
; COMPUTE_PGM_RSRC2:TGID_Z_EN: 0
; COMPUTE_PGM_RSRC2:TIDIG_COMP_CNT: 0
; COMPUTE_PGM_RSRC3_GFX90A:ACCUM_OFFSET: 0
; COMPUTE_PGM_RSRC3_GFX90A:TG_SPLIT: 0
	.section	.text._ZN7rocprim17ROCPRIM_400000_NS6detail17trampoline_kernelINS0_14default_configENS1_35adjacent_difference_config_selectorILb1EjEEZNS1_24adjacent_difference_implIS3_Lb1ELb0EPjS7_N6thrust23THRUST_200600_302600_NS4plusIjEEEE10hipError_tPvRmT2_T3_mT4_P12ihipStream_tbEUlT_E_NS1_11comp_targetILNS1_3genE2ELNS1_11target_archE906ELNS1_3gpuE6ELNS1_3repE0EEENS1_30default_config_static_selectorELNS0_4arch9wavefront6targetE1EEEvT1_,"axG",@progbits,_ZN7rocprim17ROCPRIM_400000_NS6detail17trampoline_kernelINS0_14default_configENS1_35adjacent_difference_config_selectorILb1EjEEZNS1_24adjacent_difference_implIS3_Lb1ELb0EPjS7_N6thrust23THRUST_200600_302600_NS4plusIjEEEE10hipError_tPvRmT2_T3_mT4_P12ihipStream_tbEUlT_E_NS1_11comp_targetILNS1_3genE2ELNS1_11target_archE906ELNS1_3gpuE6ELNS1_3repE0EEENS1_30default_config_static_selectorELNS0_4arch9wavefront6targetE1EEEvT1_,comdat
	.protected	_ZN7rocprim17ROCPRIM_400000_NS6detail17trampoline_kernelINS0_14default_configENS1_35adjacent_difference_config_selectorILb1EjEEZNS1_24adjacent_difference_implIS3_Lb1ELb0EPjS7_N6thrust23THRUST_200600_302600_NS4plusIjEEEE10hipError_tPvRmT2_T3_mT4_P12ihipStream_tbEUlT_E_NS1_11comp_targetILNS1_3genE2ELNS1_11target_archE906ELNS1_3gpuE6ELNS1_3repE0EEENS1_30default_config_static_selectorELNS0_4arch9wavefront6targetE1EEEvT1_ ; -- Begin function _ZN7rocprim17ROCPRIM_400000_NS6detail17trampoline_kernelINS0_14default_configENS1_35adjacent_difference_config_selectorILb1EjEEZNS1_24adjacent_difference_implIS3_Lb1ELb0EPjS7_N6thrust23THRUST_200600_302600_NS4plusIjEEEE10hipError_tPvRmT2_T3_mT4_P12ihipStream_tbEUlT_E_NS1_11comp_targetILNS1_3genE2ELNS1_11target_archE906ELNS1_3gpuE6ELNS1_3repE0EEENS1_30default_config_static_selectorELNS0_4arch9wavefront6targetE1EEEvT1_
	.globl	_ZN7rocprim17ROCPRIM_400000_NS6detail17trampoline_kernelINS0_14default_configENS1_35adjacent_difference_config_selectorILb1EjEEZNS1_24adjacent_difference_implIS3_Lb1ELb0EPjS7_N6thrust23THRUST_200600_302600_NS4plusIjEEEE10hipError_tPvRmT2_T3_mT4_P12ihipStream_tbEUlT_E_NS1_11comp_targetILNS1_3genE2ELNS1_11target_archE906ELNS1_3gpuE6ELNS1_3repE0EEENS1_30default_config_static_selectorELNS0_4arch9wavefront6targetE1EEEvT1_
	.p2align	8
	.type	_ZN7rocprim17ROCPRIM_400000_NS6detail17trampoline_kernelINS0_14default_configENS1_35adjacent_difference_config_selectorILb1EjEEZNS1_24adjacent_difference_implIS3_Lb1ELb0EPjS7_N6thrust23THRUST_200600_302600_NS4plusIjEEEE10hipError_tPvRmT2_T3_mT4_P12ihipStream_tbEUlT_E_NS1_11comp_targetILNS1_3genE2ELNS1_11target_archE906ELNS1_3gpuE6ELNS1_3repE0EEENS1_30default_config_static_selectorELNS0_4arch9wavefront6targetE1EEEvT1_,@function
_ZN7rocprim17ROCPRIM_400000_NS6detail17trampoline_kernelINS0_14default_configENS1_35adjacent_difference_config_selectorILb1EjEEZNS1_24adjacent_difference_implIS3_Lb1ELb0EPjS7_N6thrust23THRUST_200600_302600_NS4plusIjEEEE10hipError_tPvRmT2_T3_mT4_P12ihipStream_tbEUlT_E_NS1_11comp_targetILNS1_3genE2ELNS1_11target_archE906ELNS1_3gpuE6ELNS1_3repE0EEENS1_30default_config_static_selectorELNS0_4arch9wavefront6targetE1EEEvT1_: ; @_ZN7rocprim17ROCPRIM_400000_NS6detail17trampoline_kernelINS0_14default_configENS1_35adjacent_difference_config_selectorILb1EjEEZNS1_24adjacent_difference_implIS3_Lb1ELb0EPjS7_N6thrust23THRUST_200600_302600_NS4plusIjEEEE10hipError_tPvRmT2_T3_mT4_P12ihipStream_tbEUlT_E_NS1_11comp_targetILNS1_3genE2ELNS1_11target_archE906ELNS1_3gpuE6ELNS1_3repE0EEENS1_30default_config_static_selectorELNS0_4arch9wavefront6targetE1EEEvT1_
; %bb.0:
	.section	.rodata,"a",@progbits
	.p2align	6, 0x0
	.amdhsa_kernel _ZN7rocprim17ROCPRIM_400000_NS6detail17trampoline_kernelINS0_14default_configENS1_35adjacent_difference_config_selectorILb1EjEEZNS1_24adjacent_difference_implIS3_Lb1ELb0EPjS7_N6thrust23THRUST_200600_302600_NS4plusIjEEEE10hipError_tPvRmT2_T3_mT4_P12ihipStream_tbEUlT_E_NS1_11comp_targetILNS1_3genE2ELNS1_11target_archE906ELNS1_3gpuE6ELNS1_3repE0EEENS1_30default_config_static_selectorELNS0_4arch9wavefront6targetE1EEEvT1_
		.amdhsa_group_segment_fixed_size 0
		.amdhsa_private_segment_fixed_size 0
		.amdhsa_kernarg_size 56
		.amdhsa_user_sgpr_count 6
		.amdhsa_user_sgpr_private_segment_buffer 1
		.amdhsa_user_sgpr_dispatch_ptr 0
		.amdhsa_user_sgpr_queue_ptr 0
		.amdhsa_user_sgpr_kernarg_segment_ptr 1
		.amdhsa_user_sgpr_dispatch_id 0
		.amdhsa_user_sgpr_flat_scratch_init 0
		.amdhsa_user_sgpr_kernarg_preload_length 0
		.amdhsa_user_sgpr_kernarg_preload_offset 0
		.amdhsa_user_sgpr_private_segment_size 0
		.amdhsa_uses_dynamic_stack 0
		.amdhsa_system_sgpr_private_segment_wavefront_offset 0
		.amdhsa_system_sgpr_workgroup_id_x 1
		.amdhsa_system_sgpr_workgroup_id_y 0
		.amdhsa_system_sgpr_workgroup_id_z 0
		.amdhsa_system_sgpr_workgroup_info 0
		.amdhsa_system_vgpr_workitem_id 0
		.amdhsa_next_free_vgpr 1
		.amdhsa_next_free_sgpr 0
		.amdhsa_accum_offset 4
		.amdhsa_reserve_vcc 0
		.amdhsa_reserve_flat_scratch 0
		.amdhsa_float_round_mode_32 0
		.amdhsa_float_round_mode_16_64 0
		.amdhsa_float_denorm_mode_32 3
		.amdhsa_float_denorm_mode_16_64 3
		.amdhsa_dx10_clamp 1
		.amdhsa_ieee_mode 1
		.amdhsa_fp16_overflow 0
		.amdhsa_tg_split 0
		.amdhsa_exception_fp_ieee_invalid_op 0
		.amdhsa_exception_fp_denorm_src 0
		.amdhsa_exception_fp_ieee_div_zero 0
		.amdhsa_exception_fp_ieee_overflow 0
		.amdhsa_exception_fp_ieee_underflow 0
		.amdhsa_exception_fp_ieee_inexact 0
		.amdhsa_exception_int_div_zero 0
	.end_amdhsa_kernel
	.section	.text._ZN7rocprim17ROCPRIM_400000_NS6detail17trampoline_kernelINS0_14default_configENS1_35adjacent_difference_config_selectorILb1EjEEZNS1_24adjacent_difference_implIS3_Lb1ELb0EPjS7_N6thrust23THRUST_200600_302600_NS4plusIjEEEE10hipError_tPvRmT2_T3_mT4_P12ihipStream_tbEUlT_E_NS1_11comp_targetILNS1_3genE2ELNS1_11target_archE906ELNS1_3gpuE6ELNS1_3repE0EEENS1_30default_config_static_selectorELNS0_4arch9wavefront6targetE1EEEvT1_,"axG",@progbits,_ZN7rocprim17ROCPRIM_400000_NS6detail17trampoline_kernelINS0_14default_configENS1_35adjacent_difference_config_selectorILb1EjEEZNS1_24adjacent_difference_implIS3_Lb1ELb0EPjS7_N6thrust23THRUST_200600_302600_NS4plusIjEEEE10hipError_tPvRmT2_T3_mT4_P12ihipStream_tbEUlT_E_NS1_11comp_targetILNS1_3genE2ELNS1_11target_archE906ELNS1_3gpuE6ELNS1_3repE0EEENS1_30default_config_static_selectorELNS0_4arch9wavefront6targetE1EEEvT1_,comdat
.Lfunc_end412:
	.size	_ZN7rocprim17ROCPRIM_400000_NS6detail17trampoline_kernelINS0_14default_configENS1_35adjacent_difference_config_selectorILb1EjEEZNS1_24adjacent_difference_implIS3_Lb1ELb0EPjS7_N6thrust23THRUST_200600_302600_NS4plusIjEEEE10hipError_tPvRmT2_T3_mT4_P12ihipStream_tbEUlT_E_NS1_11comp_targetILNS1_3genE2ELNS1_11target_archE906ELNS1_3gpuE6ELNS1_3repE0EEENS1_30default_config_static_selectorELNS0_4arch9wavefront6targetE1EEEvT1_, .Lfunc_end412-_ZN7rocprim17ROCPRIM_400000_NS6detail17trampoline_kernelINS0_14default_configENS1_35adjacent_difference_config_selectorILb1EjEEZNS1_24adjacent_difference_implIS3_Lb1ELb0EPjS7_N6thrust23THRUST_200600_302600_NS4plusIjEEEE10hipError_tPvRmT2_T3_mT4_P12ihipStream_tbEUlT_E_NS1_11comp_targetILNS1_3genE2ELNS1_11target_archE906ELNS1_3gpuE6ELNS1_3repE0EEENS1_30default_config_static_selectorELNS0_4arch9wavefront6targetE1EEEvT1_
                                        ; -- End function
	.section	.AMDGPU.csdata,"",@progbits
; Kernel info:
; codeLenInByte = 0
; NumSgprs: 4
; NumVgprs: 0
; NumAgprs: 0
; TotalNumVgprs: 0
; ScratchSize: 0
; MemoryBound: 0
; FloatMode: 240
; IeeeMode: 1
; LDSByteSize: 0 bytes/workgroup (compile time only)
; SGPRBlocks: 0
; VGPRBlocks: 0
; NumSGPRsForWavesPerEU: 4
; NumVGPRsForWavesPerEU: 1
; AccumOffset: 4
; Occupancy: 8
; WaveLimiterHint : 0
; COMPUTE_PGM_RSRC2:SCRATCH_EN: 0
; COMPUTE_PGM_RSRC2:USER_SGPR: 6
; COMPUTE_PGM_RSRC2:TRAP_HANDLER: 0
; COMPUTE_PGM_RSRC2:TGID_X_EN: 1
; COMPUTE_PGM_RSRC2:TGID_Y_EN: 0
; COMPUTE_PGM_RSRC2:TGID_Z_EN: 0
; COMPUTE_PGM_RSRC2:TIDIG_COMP_CNT: 0
; COMPUTE_PGM_RSRC3_GFX90A:ACCUM_OFFSET: 0
; COMPUTE_PGM_RSRC3_GFX90A:TG_SPLIT: 0
	.section	.text._ZN7rocprim17ROCPRIM_400000_NS6detail17trampoline_kernelINS0_14default_configENS1_35adjacent_difference_config_selectorILb1EjEEZNS1_24adjacent_difference_implIS3_Lb1ELb0EPjS7_N6thrust23THRUST_200600_302600_NS4plusIjEEEE10hipError_tPvRmT2_T3_mT4_P12ihipStream_tbEUlT_E_NS1_11comp_targetILNS1_3genE9ELNS1_11target_archE1100ELNS1_3gpuE3ELNS1_3repE0EEENS1_30default_config_static_selectorELNS0_4arch9wavefront6targetE1EEEvT1_,"axG",@progbits,_ZN7rocprim17ROCPRIM_400000_NS6detail17trampoline_kernelINS0_14default_configENS1_35adjacent_difference_config_selectorILb1EjEEZNS1_24adjacent_difference_implIS3_Lb1ELb0EPjS7_N6thrust23THRUST_200600_302600_NS4plusIjEEEE10hipError_tPvRmT2_T3_mT4_P12ihipStream_tbEUlT_E_NS1_11comp_targetILNS1_3genE9ELNS1_11target_archE1100ELNS1_3gpuE3ELNS1_3repE0EEENS1_30default_config_static_selectorELNS0_4arch9wavefront6targetE1EEEvT1_,comdat
	.protected	_ZN7rocprim17ROCPRIM_400000_NS6detail17trampoline_kernelINS0_14default_configENS1_35adjacent_difference_config_selectorILb1EjEEZNS1_24adjacent_difference_implIS3_Lb1ELb0EPjS7_N6thrust23THRUST_200600_302600_NS4plusIjEEEE10hipError_tPvRmT2_T3_mT4_P12ihipStream_tbEUlT_E_NS1_11comp_targetILNS1_3genE9ELNS1_11target_archE1100ELNS1_3gpuE3ELNS1_3repE0EEENS1_30default_config_static_selectorELNS0_4arch9wavefront6targetE1EEEvT1_ ; -- Begin function _ZN7rocprim17ROCPRIM_400000_NS6detail17trampoline_kernelINS0_14default_configENS1_35adjacent_difference_config_selectorILb1EjEEZNS1_24adjacent_difference_implIS3_Lb1ELb0EPjS7_N6thrust23THRUST_200600_302600_NS4plusIjEEEE10hipError_tPvRmT2_T3_mT4_P12ihipStream_tbEUlT_E_NS1_11comp_targetILNS1_3genE9ELNS1_11target_archE1100ELNS1_3gpuE3ELNS1_3repE0EEENS1_30default_config_static_selectorELNS0_4arch9wavefront6targetE1EEEvT1_
	.globl	_ZN7rocprim17ROCPRIM_400000_NS6detail17trampoline_kernelINS0_14default_configENS1_35adjacent_difference_config_selectorILb1EjEEZNS1_24adjacent_difference_implIS3_Lb1ELb0EPjS7_N6thrust23THRUST_200600_302600_NS4plusIjEEEE10hipError_tPvRmT2_T3_mT4_P12ihipStream_tbEUlT_E_NS1_11comp_targetILNS1_3genE9ELNS1_11target_archE1100ELNS1_3gpuE3ELNS1_3repE0EEENS1_30default_config_static_selectorELNS0_4arch9wavefront6targetE1EEEvT1_
	.p2align	8
	.type	_ZN7rocprim17ROCPRIM_400000_NS6detail17trampoline_kernelINS0_14default_configENS1_35adjacent_difference_config_selectorILb1EjEEZNS1_24adjacent_difference_implIS3_Lb1ELb0EPjS7_N6thrust23THRUST_200600_302600_NS4plusIjEEEE10hipError_tPvRmT2_T3_mT4_P12ihipStream_tbEUlT_E_NS1_11comp_targetILNS1_3genE9ELNS1_11target_archE1100ELNS1_3gpuE3ELNS1_3repE0EEENS1_30default_config_static_selectorELNS0_4arch9wavefront6targetE1EEEvT1_,@function
_ZN7rocprim17ROCPRIM_400000_NS6detail17trampoline_kernelINS0_14default_configENS1_35adjacent_difference_config_selectorILb1EjEEZNS1_24adjacent_difference_implIS3_Lb1ELb0EPjS7_N6thrust23THRUST_200600_302600_NS4plusIjEEEE10hipError_tPvRmT2_T3_mT4_P12ihipStream_tbEUlT_E_NS1_11comp_targetILNS1_3genE9ELNS1_11target_archE1100ELNS1_3gpuE3ELNS1_3repE0EEENS1_30default_config_static_selectorELNS0_4arch9wavefront6targetE1EEEvT1_: ; @_ZN7rocprim17ROCPRIM_400000_NS6detail17trampoline_kernelINS0_14default_configENS1_35adjacent_difference_config_selectorILb1EjEEZNS1_24adjacent_difference_implIS3_Lb1ELb0EPjS7_N6thrust23THRUST_200600_302600_NS4plusIjEEEE10hipError_tPvRmT2_T3_mT4_P12ihipStream_tbEUlT_E_NS1_11comp_targetILNS1_3genE9ELNS1_11target_archE1100ELNS1_3gpuE3ELNS1_3repE0EEENS1_30default_config_static_selectorELNS0_4arch9wavefront6targetE1EEEvT1_
; %bb.0:
	.section	.rodata,"a",@progbits
	.p2align	6, 0x0
	.amdhsa_kernel _ZN7rocprim17ROCPRIM_400000_NS6detail17trampoline_kernelINS0_14default_configENS1_35adjacent_difference_config_selectorILb1EjEEZNS1_24adjacent_difference_implIS3_Lb1ELb0EPjS7_N6thrust23THRUST_200600_302600_NS4plusIjEEEE10hipError_tPvRmT2_T3_mT4_P12ihipStream_tbEUlT_E_NS1_11comp_targetILNS1_3genE9ELNS1_11target_archE1100ELNS1_3gpuE3ELNS1_3repE0EEENS1_30default_config_static_selectorELNS0_4arch9wavefront6targetE1EEEvT1_
		.amdhsa_group_segment_fixed_size 0
		.amdhsa_private_segment_fixed_size 0
		.amdhsa_kernarg_size 56
		.amdhsa_user_sgpr_count 6
		.amdhsa_user_sgpr_private_segment_buffer 1
		.amdhsa_user_sgpr_dispatch_ptr 0
		.amdhsa_user_sgpr_queue_ptr 0
		.amdhsa_user_sgpr_kernarg_segment_ptr 1
		.amdhsa_user_sgpr_dispatch_id 0
		.amdhsa_user_sgpr_flat_scratch_init 0
		.amdhsa_user_sgpr_kernarg_preload_length 0
		.amdhsa_user_sgpr_kernarg_preload_offset 0
		.amdhsa_user_sgpr_private_segment_size 0
		.amdhsa_uses_dynamic_stack 0
		.amdhsa_system_sgpr_private_segment_wavefront_offset 0
		.amdhsa_system_sgpr_workgroup_id_x 1
		.amdhsa_system_sgpr_workgroup_id_y 0
		.amdhsa_system_sgpr_workgroup_id_z 0
		.amdhsa_system_sgpr_workgroup_info 0
		.amdhsa_system_vgpr_workitem_id 0
		.amdhsa_next_free_vgpr 1
		.amdhsa_next_free_sgpr 0
		.amdhsa_accum_offset 4
		.amdhsa_reserve_vcc 0
		.amdhsa_reserve_flat_scratch 0
		.amdhsa_float_round_mode_32 0
		.amdhsa_float_round_mode_16_64 0
		.amdhsa_float_denorm_mode_32 3
		.amdhsa_float_denorm_mode_16_64 3
		.amdhsa_dx10_clamp 1
		.amdhsa_ieee_mode 1
		.amdhsa_fp16_overflow 0
		.amdhsa_tg_split 0
		.amdhsa_exception_fp_ieee_invalid_op 0
		.amdhsa_exception_fp_denorm_src 0
		.amdhsa_exception_fp_ieee_div_zero 0
		.amdhsa_exception_fp_ieee_overflow 0
		.amdhsa_exception_fp_ieee_underflow 0
		.amdhsa_exception_fp_ieee_inexact 0
		.amdhsa_exception_int_div_zero 0
	.end_amdhsa_kernel
	.section	.text._ZN7rocprim17ROCPRIM_400000_NS6detail17trampoline_kernelINS0_14default_configENS1_35adjacent_difference_config_selectorILb1EjEEZNS1_24adjacent_difference_implIS3_Lb1ELb0EPjS7_N6thrust23THRUST_200600_302600_NS4plusIjEEEE10hipError_tPvRmT2_T3_mT4_P12ihipStream_tbEUlT_E_NS1_11comp_targetILNS1_3genE9ELNS1_11target_archE1100ELNS1_3gpuE3ELNS1_3repE0EEENS1_30default_config_static_selectorELNS0_4arch9wavefront6targetE1EEEvT1_,"axG",@progbits,_ZN7rocprim17ROCPRIM_400000_NS6detail17trampoline_kernelINS0_14default_configENS1_35adjacent_difference_config_selectorILb1EjEEZNS1_24adjacent_difference_implIS3_Lb1ELb0EPjS7_N6thrust23THRUST_200600_302600_NS4plusIjEEEE10hipError_tPvRmT2_T3_mT4_P12ihipStream_tbEUlT_E_NS1_11comp_targetILNS1_3genE9ELNS1_11target_archE1100ELNS1_3gpuE3ELNS1_3repE0EEENS1_30default_config_static_selectorELNS0_4arch9wavefront6targetE1EEEvT1_,comdat
.Lfunc_end413:
	.size	_ZN7rocprim17ROCPRIM_400000_NS6detail17trampoline_kernelINS0_14default_configENS1_35adjacent_difference_config_selectorILb1EjEEZNS1_24adjacent_difference_implIS3_Lb1ELb0EPjS7_N6thrust23THRUST_200600_302600_NS4plusIjEEEE10hipError_tPvRmT2_T3_mT4_P12ihipStream_tbEUlT_E_NS1_11comp_targetILNS1_3genE9ELNS1_11target_archE1100ELNS1_3gpuE3ELNS1_3repE0EEENS1_30default_config_static_selectorELNS0_4arch9wavefront6targetE1EEEvT1_, .Lfunc_end413-_ZN7rocprim17ROCPRIM_400000_NS6detail17trampoline_kernelINS0_14default_configENS1_35adjacent_difference_config_selectorILb1EjEEZNS1_24adjacent_difference_implIS3_Lb1ELb0EPjS7_N6thrust23THRUST_200600_302600_NS4plusIjEEEE10hipError_tPvRmT2_T3_mT4_P12ihipStream_tbEUlT_E_NS1_11comp_targetILNS1_3genE9ELNS1_11target_archE1100ELNS1_3gpuE3ELNS1_3repE0EEENS1_30default_config_static_selectorELNS0_4arch9wavefront6targetE1EEEvT1_
                                        ; -- End function
	.section	.AMDGPU.csdata,"",@progbits
; Kernel info:
; codeLenInByte = 0
; NumSgprs: 4
; NumVgprs: 0
; NumAgprs: 0
; TotalNumVgprs: 0
; ScratchSize: 0
; MemoryBound: 0
; FloatMode: 240
; IeeeMode: 1
; LDSByteSize: 0 bytes/workgroup (compile time only)
; SGPRBlocks: 0
; VGPRBlocks: 0
; NumSGPRsForWavesPerEU: 4
; NumVGPRsForWavesPerEU: 1
; AccumOffset: 4
; Occupancy: 8
; WaveLimiterHint : 0
; COMPUTE_PGM_RSRC2:SCRATCH_EN: 0
; COMPUTE_PGM_RSRC2:USER_SGPR: 6
; COMPUTE_PGM_RSRC2:TRAP_HANDLER: 0
; COMPUTE_PGM_RSRC2:TGID_X_EN: 1
; COMPUTE_PGM_RSRC2:TGID_Y_EN: 0
; COMPUTE_PGM_RSRC2:TGID_Z_EN: 0
; COMPUTE_PGM_RSRC2:TIDIG_COMP_CNT: 0
; COMPUTE_PGM_RSRC3_GFX90A:ACCUM_OFFSET: 0
; COMPUTE_PGM_RSRC3_GFX90A:TG_SPLIT: 0
	.section	.text._ZN7rocprim17ROCPRIM_400000_NS6detail17trampoline_kernelINS0_14default_configENS1_35adjacent_difference_config_selectorILb1EjEEZNS1_24adjacent_difference_implIS3_Lb1ELb0EPjS7_N6thrust23THRUST_200600_302600_NS4plusIjEEEE10hipError_tPvRmT2_T3_mT4_P12ihipStream_tbEUlT_E_NS1_11comp_targetILNS1_3genE8ELNS1_11target_archE1030ELNS1_3gpuE2ELNS1_3repE0EEENS1_30default_config_static_selectorELNS0_4arch9wavefront6targetE1EEEvT1_,"axG",@progbits,_ZN7rocprim17ROCPRIM_400000_NS6detail17trampoline_kernelINS0_14default_configENS1_35adjacent_difference_config_selectorILb1EjEEZNS1_24adjacent_difference_implIS3_Lb1ELb0EPjS7_N6thrust23THRUST_200600_302600_NS4plusIjEEEE10hipError_tPvRmT2_T3_mT4_P12ihipStream_tbEUlT_E_NS1_11comp_targetILNS1_3genE8ELNS1_11target_archE1030ELNS1_3gpuE2ELNS1_3repE0EEENS1_30default_config_static_selectorELNS0_4arch9wavefront6targetE1EEEvT1_,comdat
	.protected	_ZN7rocprim17ROCPRIM_400000_NS6detail17trampoline_kernelINS0_14default_configENS1_35adjacent_difference_config_selectorILb1EjEEZNS1_24adjacent_difference_implIS3_Lb1ELb0EPjS7_N6thrust23THRUST_200600_302600_NS4plusIjEEEE10hipError_tPvRmT2_T3_mT4_P12ihipStream_tbEUlT_E_NS1_11comp_targetILNS1_3genE8ELNS1_11target_archE1030ELNS1_3gpuE2ELNS1_3repE0EEENS1_30default_config_static_selectorELNS0_4arch9wavefront6targetE1EEEvT1_ ; -- Begin function _ZN7rocprim17ROCPRIM_400000_NS6detail17trampoline_kernelINS0_14default_configENS1_35adjacent_difference_config_selectorILb1EjEEZNS1_24adjacent_difference_implIS3_Lb1ELb0EPjS7_N6thrust23THRUST_200600_302600_NS4plusIjEEEE10hipError_tPvRmT2_T3_mT4_P12ihipStream_tbEUlT_E_NS1_11comp_targetILNS1_3genE8ELNS1_11target_archE1030ELNS1_3gpuE2ELNS1_3repE0EEENS1_30default_config_static_selectorELNS0_4arch9wavefront6targetE1EEEvT1_
	.globl	_ZN7rocprim17ROCPRIM_400000_NS6detail17trampoline_kernelINS0_14default_configENS1_35adjacent_difference_config_selectorILb1EjEEZNS1_24adjacent_difference_implIS3_Lb1ELb0EPjS7_N6thrust23THRUST_200600_302600_NS4plusIjEEEE10hipError_tPvRmT2_T3_mT4_P12ihipStream_tbEUlT_E_NS1_11comp_targetILNS1_3genE8ELNS1_11target_archE1030ELNS1_3gpuE2ELNS1_3repE0EEENS1_30default_config_static_selectorELNS0_4arch9wavefront6targetE1EEEvT1_
	.p2align	8
	.type	_ZN7rocprim17ROCPRIM_400000_NS6detail17trampoline_kernelINS0_14default_configENS1_35adjacent_difference_config_selectorILb1EjEEZNS1_24adjacent_difference_implIS3_Lb1ELb0EPjS7_N6thrust23THRUST_200600_302600_NS4plusIjEEEE10hipError_tPvRmT2_T3_mT4_P12ihipStream_tbEUlT_E_NS1_11comp_targetILNS1_3genE8ELNS1_11target_archE1030ELNS1_3gpuE2ELNS1_3repE0EEENS1_30default_config_static_selectorELNS0_4arch9wavefront6targetE1EEEvT1_,@function
_ZN7rocprim17ROCPRIM_400000_NS6detail17trampoline_kernelINS0_14default_configENS1_35adjacent_difference_config_selectorILb1EjEEZNS1_24adjacent_difference_implIS3_Lb1ELb0EPjS7_N6thrust23THRUST_200600_302600_NS4plusIjEEEE10hipError_tPvRmT2_T3_mT4_P12ihipStream_tbEUlT_E_NS1_11comp_targetILNS1_3genE8ELNS1_11target_archE1030ELNS1_3gpuE2ELNS1_3repE0EEENS1_30default_config_static_selectorELNS0_4arch9wavefront6targetE1EEEvT1_: ; @_ZN7rocprim17ROCPRIM_400000_NS6detail17trampoline_kernelINS0_14default_configENS1_35adjacent_difference_config_selectorILb1EjEEZNS1_24adjacent_difference_implIS3_Lb1ELb0EPjS7_N6thrust23THRUST_200600_302600_NS4plusIjEEEE10hipError_tPvRmT2_T3_mT4_P12ihipStream_tbEUlT_E_NS1_11comp_targetILNS1_3genE8ELNS1_11target_archE1030ELNS1_3gpuE2ELNS1_3repE0EEENS1_30default_config_static_selectorELNS0_4arch9wavefront6targetE1EEEvT1_
; %bb.0:
	.section	.rodata,"a",@progbits
	.p2align	6, 0x0
	.amdhsa_kernel _ZN7rocprim17ROCPRIM_400000_NS6detail17trampoline_kernelINS0_14default_configENS1_35adjacent_difference_config_selectorILb1EjEEZNS1_24adjacent_difference_implIS3_Lb1ELb0EPjS7_N6thrust23THRUST_200600_302600_NS4plusIjEEEE10hipError_tPvRmT2_T3_mT4_P12ihipStream_tbEUlT_E_NS1_11comp_targetILNS1_3genE8ELNS1_11target_archE1030ELNS1_3gpuE2ELNS1_3repE0EEENS1_30default_config_static_selectorELNS0_4arch9wavefront6targetE1EEEvT1_
		.amdhsa_group_segment_fixed_size 0
		.amdhsa_private_segment_fixed_size 0
		.amdhsa_kernarg_size 56
		.amdhsa_user_sgpr_count 6
		.amdhsa_user_sgpr_private_segment_buffer 1
		.amdhsa_user_sgpr_dispatch_ptr 0
		.amdhsa_user_sgpr_queue_ptr 0
		.amdhsa_user_sgpr_kernarg_segment_ptr 1
		.amdhsa_user_sgpr_dispatch_id 0
		.amdhsa_user_sgpr_flat_scratch_init 0
		.amdhsa_user_sgpr_kernarg_preload_length 0
		.amdhsa_user_sgpr_kernarg_preload_offset 0
		.amdhsa_user_sgpr_private_segment_size 0
		.amdhsa_uses_dynamic_stack 0
		.amdhsa_system_sgpr_private_segment_wavefront_offset 0
		.amdhsa_system_sgpr_workgroup_id_x 1
		.amdhsa_system_sgpr_workgroup_id_y 0
		.amdhsa_system_sgpr_workgroup_id_z 0
		.amdhsa_system_sgpr_workgroup_info 0
		.amdhsa_system_vgpr_workitem_id 0
		.amdhsa_next_free_vgpr 1
		.amdhsa_next_free_sgpr 0
		.amdhsa_accum_offset 4
		.amdhsa_reserve_vcc 0
		.amdhsa_reserve_flat_scratch 0
		.amdhsa_float_round_mode_32 0
		.amdhsa_float_round_mode_16_64 0
		.amdhsa_float_denorm_mode_32 3
		.amdhsa_float_denorm_mode_16_64 3
		.amdhsa_dx10_clamp 1
		.amdhsa_ieee_mode 1
		.amdhsa_fp16_overflow 0
		.amdhsa_tg_split 0
		.amdhsa_exception_fp_ieee_invalid_op 0
		.amdhsa_exception_fp_denorm_src 0
		.amdhsa_exception_fp_ieee_div_zero 0
		.amdhsa_exception_fp_ieee_overflow 0
		.amdhsa_exception_fp_ieee_underflow 0
		.amdhsa_exception_fp_ieee_inexact 0
		.amdhsa_exception_int_div_zero 0
	.end_amdhsa_kernel
	.section	.text._ZN7rocprim17ROCPRIM_400000_NS6detail17trampoline_kernelINS0_14default_configENS1_35adjacent_difference_config_selectorILb1EjEEZNS1_24adjacent_difference_implIS3_Lb1ELb0EPjS7_N6thrust23THRUST_200600_302600_NS4plusIjEEEE10hipError_tPvRmT2_T3_mT4_P12ihipStream_tbEUlT_E_NS1_11comp_targetILNS1_3genE8ELNS1_11target_archE1030ELNS1_3gpuE2ELNS1_3repE0EEENS1_30default_config_static_selectorELNS0_4arch9wavefront6targetE1EEEvT1_,"axG",@progbits,_ZN7rocprim17ROCPRIM_400000_NS6detail17trampoline_kernelINS0_14default_configENS1_35adjacent_difference_config_selectorILb1EjEEZNS1_24adjacent_difference_implIS3_Lb1ELb0EPjS7_N6thrust23THRUST_200600_302600_NS4plusIjEEEE10hipError_tPvRmT2_T3_mT4_P12ihipStream_tbEUlT_E_NS1_11comp_targetILNS1_3genE8ELNS1_11target_archE1030ELNS1_3gpuE2ELNS1_3repE0EEENS1_30default_config_static_selectorELNS0_4arch9wavefront6targetE1EEEvT1_,comdat
.Lfunc_end414:
	.size	_ZN7rocprim17ROCPRIM_400000_NS6detail17trampoline_kernelINS0_14default_configENS1_35adjacent_difference_config_selectorILb1EjEEZNS1_24adjacent_difference_implIS3_Lb1ELb0EPjS7_N6thrust23THRUST_200600_302600_NS4plusIjEEEE10hipError_tPvRmT2_T3_mT4_P12ihipStream_tbEUlT_E_NS1_11comp_targetILNS1_3genE8ELNS1_11target_archE1030ELNS1_3gpuE2ELNS1_3repE0EEENS1_30default_config_static_selectorELNS0_4arch9wavefront6targetE1EEEvT1_, .Lfunc_end414-_ZN7rocprim17ROCPRIM_400000_NS6detail17trampoline_kernelINS0_14default_configENS1_35adjacent_difference_config_selectorILb1EjEEZNS1_24adjacent_difference_implIS3_Lb1ELb0EPjS7_N6thrust23THRUST_200600_302600_NS4plusIjEEEE10hipError_tPvRmT2_T3_mT4_P12ihipStream_tbEUlT_E_NS1_11comp_targetILNS1_3genE8ELNS1_11target_archE1030ELNS1_3gpuE2ELNS1_3repE0EEENS1_30default_config_static_selectorELNS0_4arch9wavefront6targetE1EEEvT1_
                                        ; -- End function
	.section	.AMDGPU.csdata,"",@progbits
; Kernel info:
; codeLenInByte = 0
; NumSgprs: 4
; NumVgprs: 0
; NumAgprs: 0
; TotalNumVgprs: 0
; ScratchSize: 0
; MemoryBound: 0
; FloatMode: 240
; IeeeMode: 1
; LDSByteSize: 0 bytes/workgroup (compile time only)
; SGPRBlocks: 0
; VGPRBlocks: 0
; NumSGPRsForWavesPerEU: 4
; NumVGPRsForWavesPerEU: 1
; AccumOffset: 4
; Occupancy: 8
; WaveLimiterHint : 0
; COMPUTE_PGM_RSRC2:SCRATCH_EN: 0
; COMPUTE_PGM_RSRC2:USER_SGPR: 6
; COMPUTE_PGM_RSRC2:TRAP_HANDLER: 0
; COMPUTE_PGM_RSRC2:TGID_X_EN: 1
; COMPUTE_PGM_RSRC2:TGID_Y_EN: 0
; COMPUTE_PGM_RSRC2:TGID_Z_EN: 0
; COMPUTE_PGM_RSRC2:TIDIG_COMP_CNT: 0
; COMPUTE_PGM_RSRC3_GFX90A:ACCUM_OFFSET: 0
; COMPUTE_PGM_RSRC3_GFX90A:TG_SPLIT: 0
	.section	.text._ZN6thrust23THRUST_200600_302600_NS11hip_rocprim14__parallel_for6kernelILj256ENS1_20__uninitialized_fill7functorINS0_10device_ptrIdEEdEEmLj1EEEvT0_T1_SA_,"axG",@progbits,_ZN6thrust23THRUST_200600_302600_NS11hip_rocprim14__parallel_for6kernelILj256ENS1_20__uninitialized_fill7functorINS0_10device_ptrIdEEdEEmLj1EEEvT0_T1_SA_,comdat
	.protected	_ZN6thrust23THRUST_200600_302600_NS11hip_rocprim14__parallel_for6kernelILj256ENS1_20__uninitialized_fill7functorINS0_10device_ptrIdEEdEEmLj1EEEvT0_T1_SA_ ; -- Begin function _ZN6thrust23THRUST_200600_302600_NS11hip_rocprim14__parallel_for6kernelILj256ENS1_20__uninitialized_fill7functorINS0_10device_ptrIdEEdEEmLj1EEEvT0_T1_SA_
	.globl	_ZN6thrust23THRUST_200600_302600_NS11hip_rocprim14__parallel_for6kernelILj256ENS1_20__uninitialized_fill7functorINS0_10device_ptrIdEEdEEmLj1EEEvT0_T1_SA_
	.p2align	8
	.type	_ZN6thrust23THRUST_200600_302600_NS11hip_rocprim14__parallel_for6kernelILj256ENS1_20__uninitialized_fill7functorINS0_10device_ptrIdEEdEEmLj1EEEvT0_T1_SA_,@function
_ZN6thrust23THRUST_200600_302600_NS11hip_rocprim14__parallel_for6kernelILj256ENS1_20__uninitialized_fill7functorINS0_10device_ptrIdEEdEEmLj1EEEvT0_T1_SA_: ; @_ZN6thrust23THRUST_200600_302600_NS11hip_rocprim14__parallel_for6kernelILj256ENS1_20__uninitialized_fill7functorINS0_10device_ptrIdEEdEEmLj1EEEvT0_T1_SA_
; %bb.0:
	s_load_dwordx8 s[8:15], s[4:5], 0x0
	s_lshl_b32 s0, s6, 8
	v_mov_b32_e32 v2, 0x100
	v_mov_b32_e32 v3, 0
	s_waitcnt lgkmcnt(0)
	s_add_u32 s0, s0, s14
	s_addc_u32 s1, 0, s15
	s_sub_u32 s2, s12, s0
	s_subb_u32 s3, s13, s1
	v_cmp_lt_u64_e32 vcc, s[2:3], v[2:3]
	s_cbranch_vccz .LBB415_2
; %bb.1:
	v_cmp_gt_u32_e32 vcc, s2, v0
	s_and_b64 s[2:3], vcc, exec
	s_cbranch_execz .LBB415_3
	s_branch .LBB415_4
.LBB415_2:
	s_mov_b64 s[2:3], 0
.LBB415_3:
	s_or_b64 s[2:3], s[2:3], exec
.LBB415_4:
	s_and_saveexec_b64 s[4:5], s[2:3]
	s_cbranch_execnz .LBB415_6
; %bb.5:
	s_endpgm
.LBB415_6:
	s_lshl_b64 s[0:1], s[0:1], 3
	v_mov_b32_e32 v1, 0
	s_add_u32 s0, s8, s0
	s_addc_u32 s1, s9, s1
	v_lshlrev_b64 v[0:1], 3, v[0:1]
	v_mov_b32_e32 v4, s1
	v_add_co_u32_e32 v0, vcc, s0, v0
	v_mov_b32_e32 v2, s10
	v_mov_b32_e32 v3, s11
	v_addc_co_u32_e32 v1, vcc, v4, v1, vcc
	flat_store_dwordx2 v[0:1], v[2:3]
	s_endpgm
	.section	.rodata,"a",@progbits
	.p2align	6, 0x0
	.amdhsa_kernel _ZN6thrust23THRUST_200600_302600_NS11hip_rocprim14__parallel_for6kernelILj256ENS1_20__uninitialized_fill7functorINS0_10device_ptrIdEEdEEmLj1EEEvT0_T1_SA_
		.amdhsa_group_segment_fixed_size 0
		.amdhsa_private_segment_fixed_size 0
		.amdhsa_kernarg_size 32
		.amdhsa_user_sgpr_count 6
		.amdhsa_user_sgpr_private_segment_buffer 1
		.amdhsa_user_sgpr_dispatch_ptr 0
		.amdhsa_user_sgpr_queue_ptr 0
		.amdhsa_user_sgpr_kernarg_segment_ptr 1
		.amdhsa_user_sgpr_dispatch_id 0
		.amdhsa_user_sgpr_flat_scratch_init 0
		.amdhsa_user_sgpr_kernarg_preload_length 0
		.amdhsa_user_sgpr_kernarg_preload_offset 0
		.amdhsa_user_sgpr_private_segment_size 0
		.amdhsa_uses_dynamic_stack 0
		.amdhsa_system_sgpr_private_segment_wavefront_offset 0
		.amdhsa_system_sgpr_workgroup_id_x 1
		.amdhsa_system_sgpr_workgroup_id_y 0
		.amdhsa_system_sgpr_workgroup_id_z 0
		.amdhsa_system_sgpr_workgroup_info 0
		.amdhsa_system_vgpr_workitem_id 0
		.amdhsa_next_free_vgpr 5
		.amdhsa_next_free_sgpr 16
		.amdhsa_accum_offset 8
		.amdhsa_reserve_vcc 1
		.amdhsa_reserve_flat_scratch 0
		.amdhsa_float_round_mode_32 0
		.amdhsa_float_round_mode_16_64 0
		.amdhsa_float_denorm_mode_32 3
		.amdhsa_float_denorm_mode_16_64 3
		.amdhsa_dx10_clamp 1
		.amdhsa_ieee_mode 1
		.amdhsa_fp16_overflow 0
		.amdhsa_tg_split 0
		.amdhsa_exception_fp_ieee_invalid_op 0
		.amdhsa_exception_fp_denorm_src 0
		.amdhsa_exception_fp_ieee_div_zero 0
		.amdhsa_exception_fp_ieee_overflow 0
		.amdhsa_exception_fp_ieee_underflow 0
		.amdhsa_exception_fp_ieee_inexact 0
		.amdhsa_exception_int_div_zero 0
	.end_amdhsa_kernel
	.section	.text._ZN6thrust23THRUST_200600_302600_NS11hip_rocprim14__parallel_for6kernelILj256ENS1_20__uninitialized_fill7functorINS0_10device_ptrIdEEdEEmLj1EEEvT0_T1_SA_,"axG",@progbits,_ZN6thrust23THRUST_200600_302600_NS11hip_rocprim14__parallel_for6kernelILj256ENS1_20__uninitialized_fill7functorINS0_10device_ptrIdEEdEEmLj1EEEvT0_T1_SA_,comdat
.Lfunc_end415:
	.size	_ZN6thrust23THRUST_200600_302600_NS11hip_rocprim14__parallel_for6kernelILj256ENS1_20__uninitialized_fill7functorINS0_10device_ptrIdEEdEEmLj1EEEvT0_T1_SA_, .Lfunc_end415-_ZN6thrust23THRUST_200600_302600_NS11hip_rocprim14__parallel_for6kernelILj256ENS1_20__uninitialized_fill7functorINS0_10device_ptrIdEEdEEmLj1EEEvT0_T1_SA_
                                        ; -- End function
	.section	.AMDGPU.csdata,"",@progbits
; Kernel info:
; codeLenInByte = 144
; NumSgprs: 20
; NumVgprs: 5
; NumAgprs: 0
; TotalNumVgprs: 5
; ScratchSize: 0
; MemoryBound: 0
; FloatMode: 240
; IeeeMode: 1
; LDSByteSize: 0 bytes/workgroup (compile time only)
; SGPRBlocks: 2
; VGPRBlocks: 0
; NumSGPRsForWavesPerEU: 20
; NumVGPRsForWavesPerEU: 5
; AccumOffset: 8
; Occupancy: 8
; WaveLimiterHint : 0
; COMPUTE_PGM_RSRC2:SCRATCH_EN: 0
; COMPUTE_PGM_RSRC2:USER_SGPR: 6
; COMPUTE_PGM_RSRC2:TRAP_HANDLER: 0
; COMPUTE_PGM_RSRC2:TGID_X_EN: 1
; COMPUTE_PGM_RSRC2:TGID_Y_EN: 0
; COMPUTE_PGM_RSRC2:TGID_Z_EN: 0
; COMPUTE_PGM_RSRC2:TIDIG_COMP_CNT: 0
; COMPUTE_PGM_RSRC3_GFX90A:ACCUM_OFFSET: 1
; COMPUTE_PGM_RSRC3_GFX90A:TG_SPLIT: 0
	.section	.text._ZN7rocprim17ROCPRIM_400000_NS6detail17trampoline_kernelINS0_14default_configENS1_35adjacent_difference_config_selectorILb0EdEEZNS1_24adjacent_difference_implIS3_Lb0ELb0EPdS7_N6thrust23THRUST_200600_302600_NS5minusIdEEEE10hipError_tPvRmT2_T3_mT4_P12ihipStream_tbEUlT_E_NS1_11comp_targetILNS1_3genE0ELNS1_11target_archE4294967295ELNS1_3gpuE0ELNS1_3repE0EEENS1_30default_config_static_selectorELNS0_4arch9wavefront6targetE1EEEvT1_,"axG",@progbits,_ZN7rocprim17ROCPRIM_400000_NS6detail17trampoline_kernelINS0_14default_configENS1_35adjacent_difference_config_selectorILb0EdEEZNS1_24adjacent_difference_implIS3_Lb0ELb0EPdS7_N6thrust23THRUST_200600_302600_NS5minusIdEEEE10hipError_tPvRmT2_T3_mT4_P12ihipStream_tbEUlT_E_NS1_11comp_targetILNS1_3genE0ELNS1_11target_archE4294967295ELNS1_3gpuE0ELNS1_3repE0EEENS1_30default_config_static_selectorELNS0_4arch9wavefront6targetE1EEEvT1_,comdat
	.protected	_ZN7rocprim17ROCPRIM_400000_NS6detail17trampoline_kernelINS0_14default_configENS1_35adjacent_difference_config_selectorILb0EdEEZNS1_24adjacent_difference_implIS3_Lb0ELb0EPdS7_N6thrust23THRUST_200600_302600_NS5minusIdEEEE10hipError_tPvRmT2_T3_mT4_P12ihipStream_tbEUlT_E_NS1_11comp_targetILNS1_3genE0ELNS1_11target_archE4294967295ELNS1_3gpuE0ELNS1_3repE0EEENS1_30default_config_static_selectorELNS0_4arch9wavefront6targetE1EEEvT1_ ; -- Begin function _ZN7rocprim17ROCPRIM_400000_NS6detail17trampoline_kernelINS0_14default_configENS1_35adjacent_difference_config_selectorILb0EdEEZNS1_24adjacent_difference_implIS3_Lb0ELb0EPdS7_N6thrust23THRUST_200600_302600_NS5minusIdEEEE10hipError_tPvRmT2_T3_mT4_P12ihipStream_tbEUlT_E_NS1_11comp_targetILNS1_3genE0ELNS1_11target_archE4294967295ELNS1_3gpuE0ELNS1_3repE0EEENS1_30default_config_static_selectorELNS0_4arch9wavefront6targetE1EEEvT1_
	.globl	_ZN7rocprim17ROCPRIM_400000_NS6detail17trampoline_kernelINS0_14default_configENS1_35adjacent_difference_config_selectorILb0EdEEZNS1_24adjacent_difference_implIS3_Lb0ELb0EPdS7_N6thrust23THRUST_200600_302600_NS5minusIdEEEE10hipError_tPvRmT2_T3_mT4_P12ihipStream_tbEUlT_E_NS1_11comp_targetILNS1_3genE0ELNS1_11target_archE4294967295ELNS1_3gpuE0ELNS1_3repE0EEENS1_30default_config_static_selectorELNS0_4arch9wavefront6targetE1EEEvT1_
	.p2align	8
	.type	_ZN7rocprim17ROCPRIM_400000_NS6detail17trampoline_kernelINS0_14default_configENS1_35adjacent_difference_config_selectorILb0EdEEZNS1_24adjacent_difference_implIS3_Lb0ELb0EPdS7_N6thrust23THRUST_200600_302600_NS5minusIdEEEE10hipError_tPvRmT2_T3_mT4_P12ihipStream_tbEUlT_E_NS1_11comp_targetILNS1_3genE0ELNS1_11target_archE4294967295ELNS1_3gpuE0ELNS1_3repE0EEENS1_30default_config_static_selectorELNS0_4arch9wavefront6targetE1EEEvT1_,@function
_ZN7rocprim17ROCPRIM_400000_NS6detail17trampoline_kernelINS0_14default_configENS1_35adjacent_difference_config_selectorILb0EdEEZNS1_24adjacent_difference_implIS3_Lb0ELb0EPdS7_N6thrust23THRUST_200600_302600_NS5minusIdEEEE10hipError_tPvRmT2_T3_mT4_P12ihipStream_tbEUlT_E_NS1_11comp_targetILNS1_3genE0ELNS1_11target_archE4294967295ELNS1_3gpuE0ELNS1_3repE0EEENS1_30default_config_static_selectorELNS0_4arch9wavefront6targetE1EEEvT1_: ; @_ZN7rocprim17ROCPRIM_400000_NS6detail17trampoline_kernelINS0_14default_configENS1_35adjacent_difference_config_selectorILb0EdEEZNS1_24adjacent_difference_implIS3_Lb0ELb0EPdS7_N6thrust23THRUST_200600_302600_NS5minusIdEEEE10hipError_tPvRmT2_T3_mT4_P12ihipStream_tbEUlT_E_NS1_11comp_targetILNS1_3genE0ELNS1_11target_archE4294967295ELNS1_3gpuE0ELNS1_3repE0EEENS1_30default_config_static_selectorELNS0_4arch9wavefront6targetE1EEEvT1_
; %bb.0:
	.section	.rodata,"a",@progbits
	.p2align	6, 0x0
	.amdhsa_kernel _ZN7rocprim17ROCPRIM_400000_NS6detail17trampoline_kernelINS0_14default_configENS1_35adjacent_difference_config_selectorILb0EdEEZNS1_24adjacent_difference_implIS3_Lb0ELb0EPdS7_N6thrust23THRUST_200600_302600_NS5minusIdEEEE10hipError_tPvRmT2_T3_mT4_P12ihipStream_tbEUlT_E_NS1_11comp_targetILNS1_3genE0ELNS1_11target_archE4294967295ELNS1_3gpuE0ELNS1_3repE0EEENS1_30default_config_static_selectorELNS0_4arch9wavefront6targetE1EEEvT1_
		.amdhsa_group_segment_fixed_size 0
		.amdhsa_private_segment_fixed_size 0
		.amdhsa_kernarg_size 56
		.amdhsa_user_sgpr_count 6
		.amdhsa_user_sgpr_private_segment_buffer 1
		.amdhsa_user_sgpr_dispatch_ptr 0
		.amdhsa_user_sgpr_queue_ptr 0
		.amdhsa_user_sgpr_kernarg_segment_ptr 1
		.amdhsa_user_sgpr_dispatch_id 0
		.amdhsa_user_sgpr_flat_scratch_init 0
		.amdhsa_user_sgpr_kernarg_preload_length 0
		.amdhsa_user_sgpr_kernarg_preload_offset 0
		.amdhsa_user_sgpr_private_segment_size 0
		.amdhsa_uses_dynamic_stack 0
		.amdhsa_system_sgpr_private_segment_wavefront_offset 0
		.amdhsa_system_sgpr_workgroup_id_x 1
		.amdhsa_system_sgpr_workgroup_id_y 0
		.amdhsa_system_sgpr_workgroup_id_z 0
		.amdhsa_system_sgpr_workgroup_info 0
		.amdhsa_system_vgpr_workitem_id 0
		.amdhsa_next_free_vgpr 1
		.amdhsa_next_free_sgpr 0
		.amdhsa_accum_offset 4
		.amdhsa_reserve_vcc 0
		.amdhsa_reserve_flat_scratch 0
		.amdhsa_float_round_mode_32 0
		.amdhsa_float_round_mode_16_64 0
		.amdhsa_float_denorm_mode_32 3
		.amdhsa_float_denorm_mode_16_64 3
		.amdhsa_dx10_clamp 1
		.amdhsa_ieee_mode 1
		.amdhsa_fp16_overflow 0
		.amdhsa_tg_split 0
		.amdhsa_exception_fp_ieee_invalid_op 0
		.amdhsa_exception_fp_denorm_src 0
		.amdhsa_exception_fp_ieee_div_zero 0
		.amdhsa_exception_fp_ieee_overflow 0
		.amdhsa_exception_fp_ieee_underflow 0
		.amdhsa_exception_fp_ieee_inexact 0
		.amdhsa_exception_int_div_zero 0
	.end_amdhsa_kernel
	.section	.text._ZN7rocprim17ROCPRIM_400000_NS6detail17trampoline_kernelINS0_14default_configENS1_35adjacent_difference_config_selectorILb0EdEEZNS1_24adjacent_difference_implIS3_Lb0ELb0EPdS7_N6thrust23THRUST_200600_302600_NS5minusIdEEEE10hipError_tPvRmT2_T3_mT4_P12ihipStream_tbEUlT_E_NS1_11comp_targetILNS1_3genE0ELNS1_11target_archE4294967295ELNS1_3gpuE0ELNS1_3repE0EEENS1_30default_config_static_selectorELNS0_4arch9wavefront6targetE1EEEvT1_,"axG",@progbits,_ZN7rocprim17ROCPRIM_400000_NS6detail17trampoline_kernelINS0_14default_configENS1_35adjacent_difference_config_selectorILb0EdEEZNS1_24adjacent_difference_implIS3_Lb0ELb0EPdS7_N6thrust23THRUST_200600_302600_NS5minusIdEEEE10hipError_tPvRmT2_T3_mT4_P12ihipStream_tbEUlT_E_NS1_11comp_targetILNS1_3genE0ELNS1_11target_archE4294967295ELNS1_3gpuE0ELNS1_3repE0EEENS1_30default_config_static_selectorELNS0_4arch9wavefront6targetE1EEEvT1_,comdat
.Lfunc_end416:
	.size	_ZN7rocprim17ROCPRIM_400000_NS6detail17trampoline_kernelINS0_14default_configENS1_35adjacent_difference_config_selectorILb0EdEEZNS1_24adjacent_difference_implIS3_Lb0ELb0EPdS7_N6thrust23THRUST_200600_302600_NS5minusIdEEEE10hipError_tPvRmT2_T3_mT4_P12ihipStream_tbEUlT_E_NS1_11comp_targetILNS1_3genE0ELNS1_11target_archE4294967295ELNS1_3gpuE0ELNS1_3repE0EEENS1_30default_config_static_selectorELNS0_4arch9wavefront6targetE1EEEvT1_, .Lfunc_end416-_ZN7rocprim17ROCPRIM_400000_NS6detail17trampoline_kernelINS0_14default_configENS1_35adjacent_difference_config_selectorILb0EdEEZNS1_24adjacent_difference_implIS3_Lb0ELb0EPdS7_N6thrust23THRUST_200600_302600_NS5minusIdEEEE10hipError_tPvRmT2_T3_mT4_P12ihipStream_tbEUlT_E_NS1_11comp_targetILNS1_3genE0ELNS1_11target_archE4294967295ELNS1_3gpuE0ELNS1_3repE0EEENS1_30default_config_static_selectorELNS0_4arch9wavefront6targetE1EEEvT1_
                                        ; -- End function
	.section	.AMDGPU.csdata,"",@progbits
; Kernel info:
; codeLenInByte = 0
; NumSgprs: 4
; NumVgprs: 0
; NumAgprs: 0
; TotalNumVgprs: 0
; ScratchSize: 0
; MemoryBound: 0
; FloatMode: 240
; IeeeMode: 1
; LDSByteSize: 0 bytes/workgroup (compile time only)
; SGPRBlocks: 0
; VGPRBlocks: 0
; NumSGPRsForWavesPerEU: 4
; NumVGPRsForWavesPerEU: 1
; AccumOffset: 4
; Occupancy: 8
; WaveLimiterHint : 0
; COMPUTE_PGM_RSRC2:SCRATCH_EN: 0
; COMPUTE_PGM_RSRC2:USER_SGPR: 6
; COMPUTE_PGM_RSRC2:TRAP_HANDLER: 0
; COMPUTE_PGM_RSRC2:TGID_X_EN: 1
; COMPUTE_PGM_RSRC2:TGID_Y_EN: 0
; COMPUTE_PGM_RSRC2:TGID_Z_EN: 0
; COMPUTE_PGM_RSRC2:TIDIG_COMP_CNT: 0
; COMPUTE_PGM_RSRC3_GFX90A:ACCUM_OFFSET: 0
; COMPUTE_PGM_RSRC3_GFX90A:TG_SPLIT: 0
	.section	.text._ZN7rocprim17ROCPRIM_400000_NS6detail17trampoline_kernelINS0_14default_configENS1_35adjacent_difference_config_selectorILb0EdEEZNS1_24adjacent_difference_implIS3_Lb0ELb0EPdS7_N6thrust23THRUST_200600_302600_NS5minusIdEEEE10hipError_tPvRmT2_T3_mT4_P12ihipStream_tbEUlT_E_NS1_11comp_targetILNS1_3genE10ELNS1_11target_archE1201ELNS1_3gpuE5ELNS1_3repE0EEENS1_30default_config_static_selectorELNS0_4arch9wavefront6targetE1EEEvT1_,"axG",@progbits,_ZN7rocprim17ROCPRIM_400000_NS6detail17trampoline_kernelINS0_14default_configENS1_35adjacent_difference_config_selectorILb0EdEEZNS1_24adjacent_difference_implIS3_Lb0ELb0EPdS7_N6thrust23THRUST_200600_302600_NS5minusIdEEEE10hipError_tPvRmT2_T3_mT4_P12ihipStream_tbEUlT_E_NS1_11comp_targetILNS1_3genE10ELNS1_11target_archE1201ELNS1_3gpuE5ELNS1_3repE0EEENS1_30default_config_static_selectorELNS0_4arch9wavefront6targetE1EEEvT1_,comdat
	.protected	_ZN7rocprim17ROCPRIM_400000_NS6detail17trampoline_kernelINS0_14default_configENS1_35adjacent_difference_config_selectorILb0EdEEZNS1_24adjacent_difference_implIS3_Lb0ELb0EPdS7_N6thrust23THRUST_200600_302600_NS5minusIdEEEE10hipError_tPvRmT2_T3_mT4_P12ihipStream_tbEUlT_E_NS1_11comp_targetILNS1_3genE10ELNS1_11target_archE1201ELNS1_3gpuE5ELNS1_3repE0EEENS1_30default_config_static_selectorELNS0_4arch9wavefront6targetE1EEEvT1_ ; -- Begin function _ZN7rocprim17ROCPRIM_400000_NS6detail17trampoline_kernelINS0_14default_configENS1_35adjacent_difference_config_selectorILb0EdEEZNS1_24adjacent_difference_implIS3_Lb0ELb0EPdS7_N6thrust23THRUST_200600_302600_NS5minusIdEEEE10hipError_tPvRmT2_T3_mT4_P12ihipStream_tbEUlT_E_NS1_11comp_targetILNS1_3genE10ELNS1_11target_archE1201ELNS1_3gpuE5ELNS1_3repE0EEENS1_30default_config_static_selectorELNS0_4arch9wavefront6targetE1EEEvT1_
	.globl	_ZN7rocprim17ROCPRIM_400000_NS6detail17trampoline_kernelINS0_14default_configENS1_35adjacent_difference_config_selectorILb0EdEEZNS1_24adjacent_difference_implIS3_Lb0ELb0EPdS7_N6thrust23THRUST_200600_302600_NS5minusIdEEEE10hipError_tPvRmT2_T3_mT4_P12ihipStream_tbEUlT_E_NS1_11comp_targetILNS1_3genE10ELNS1_11target_archE1201ELNS1_3gpuE5ELNS1_3repE0EEENS1_30default_config_static_selectorELNS0_4arch9wavefront6targetE1EEEvT1_
	.p2align	8
	.type	_ZN7rocprim17ROCPRIM_400000_NS6detail17trampoline_kernelINS0_14default_configENS1_35adjacent_difference_config_selectorILb0EdEEZNS1_24adjacent_difference_implIS3_Lb0ELb0EPdS7_N6thrust23THRUST_200600_302600_NS5minusIdEEEE10hipError_tPvRmT2_T3_mT4_P12ihipStream_tbEUlT_E_NS1_11comp_targetILNS1_3genE10ELNS1_11target_archE1201ELNS1_3gpuE5ELNS1_3repE0EEENS1_30default_config_static_selectorELNS0_4arch9wavefront6targetE1EEEvT1_,@function
_ZN7rocprim17ROCPRIM_400000_NS6detail17trampoline_kernelINS0_14default_configENS1_35adjacent_difference_config_selectorILb0EdEEZNS1_24adjacent_difference_implIS3_Lb0ELb0EPdS7_N6thrust23THRUST_200600_302600_NS5minusIdEEEE10hipError_tPvRmT2_T3_mT4_P12ihipStream_tbEUlT_E_NS1_11comp_targetILNS1_3genE10ELNS1_11target_archE1201ELNS1_3gpuE5ELNS1_3repE0EEENS1_30default_config_static_selectorELNS0_4arch9wavefront6targetE1EEEvT1_: ; @_ZN7rocprim17ROCPRIM_400000_NS6detail17trampoline_kernelINS0_14default_configENS1_35adjacent_difference_config_selectorILb0EdEEZNS1_24adjacent_difference_implIS3_Lb0ELb0EPdS7_N6thrust23THRUST_200600_302600_NS5minusIdEEEE10hipError_tPvRmT2_T3_mT4_P12ihipStream_tbEUlT_E_NS1_11comp_targetILNS1_3genE10ELNS1_11target_archE1201ELNS1_3gpuE5ELNS1_3repE0EEENS1_30default_config_static_selectorELNS0_4arch9wavefront6targetE1EEEvT1_
; %bb.0:
	.section	.rodata,"a",@progbits
	.p2align	6, 0x0
	.amdhsa_kernel _ZN7rocprim17ROCPRIM_400000_NS6detail17trampoline_kernelINS0_14default_configENS1_35adjacent_difference_config_selectorILb0EdEEZNS1_24adjacent_difference_implIS3_Lb0ELb0EPdS7_N6thrust23THRUST_200600_302600_NS5minusIdEEEE10hipError_tPvRmT2_T3_mT4_P12ihipStream_tbEUlT_E_NS1_11comp_targetILNS1_3genE10ELNS1_11target_archE1201ELNS1_3gpuE5ELNS1_3repE0EEENS1_30default_config_static_selectorELNS0_4arch9wavefront6targetE1EEEvT1_
		.amdhsa_group_segment_fixed_size 0
		.amdhsa_private_segment_fixed_size 0
		.amdhsa_kernarg_size 56
		.amdhsa_user_sgpr_count 6
		.amdhsa_user_sgpr_private_segment_buffer 1
		.amdhsa_user_sgpr_dispatch_ptr 0
		.amdhsa_user_sgpr_queue_ptr 0
		.amdhsa_user_sgpr_kernarg_segment_ptr 1
		.amdhsa_user_sgpr_dispatch_id 0
		.amdhsa_user_sgpr_flat_scratch_init 0
		.amdhsa_user_sgpr_kernarg_preload_length 0
		.amdhsa_user_sgpr_kernarg_preload_offset 0
		.amdhsa_user_sgpr_private_segment_size 0
		.amdhsa_uses_dynamic_stack 0
		.amdhsa_system_sgpr_private_segment_wavefront_offset 0
		.amdhsa_system_sgpr_workgroup_id_x 1
		.amdhsa_system_sgpr_workgroup_id_y 0
		.amdhsa_system_sgpr_workgroup_id_z 0
		.amdhsa_system_sgpr_workgroup_info 0
		.amdhsa_system_vgpr_workitem_id 0
		.amdhsa_next_free_vgpr 1
		.amdhsa_next_free_sgpr 0
		.amdhsa_accum_offset 4
		.amdhsa_reserve_vcc 0
		.amdhsa_reserve_flat_scratch 0
		.amdhsa_float_round_mode_32 0
		.amdhsa_float_round_mode_16_64 0
		.amdhsa_float_denorm_mode_32 3
		.amdhsa_float_denorm_mode_16_64 3
		.amdhsa_dx10_clamp 1
		.amdhsa_ieee_mode 1
		.amdhsa_fp16_overflow 0
		.amdhsa_tg_split 0
		.amdhsa_exception_fp_ieee_invalid_op 0
		.amdhsa_exception_fp_denorm_src 0
		.amdhsa_exception_fp_ieee_div_zero 0
		.amdhsa_exception_fp_ieee_overflow 0
		.amdhsa_exception_fp_ieee_underflow 0
		.amdhsa_exception_fp_ieee_inexact 0
		.amdhsa_exception_int_div_zero 0
	.end_amdhsa_kernel
	.section	.text._ZN7rocprim17ROCPRIM_400000_NS6detail17trampoline_kernelINS0_14default_configENS1_35adjacent_difference_config_selectorILb0EdEEZNS1_24adjacent_difference_implIS3_Lb0ELb0EPdS7_N6thrust23THRUST_200600_302600_NS5minusIdEEEE10hipError_tPvRmT2_T3_mT4_P12ihipStream_tbEUlT_E_NS1_11comp_targetILNS1_3genE10ELNS1_11target_archE1201ELNS1_3gpuE5ELNS1_3repE0EEENS1_30default_config_static_selectorELNS0_4arch9wavefront6targetE1EEEvT1_,"axG",@progbits,_ZN7rocprim17ROCPRIM_400000_NS6detail17trampoline_kernelINS0_14default_configENS1_35adjacent_difference_config_selectorILb0EdEEZNS1_24adjacent_difference_implIS3_Lb0ELb0EPdS7_N6thrust23THRUST_200600_302600_NS5minusIdEEEE10hipError_tPvRmT2_T3_mT4_P12ihipStream_tbEUlT_E_NS1_11comp_targetILNS1_3genE10ELNS1_11target_archE1201ELNS1_3gpuE5ELNS1_3repE0EEENS1_30default_config_static_selectorELNS0_4arch9wavefront6targetE1EEEvT1_,comdat
.Lfunc_end417:
	.size	_ZN7rocprim17ROCPRIM_400000_NS6detail17trampoline_kernelINS0_14default_configENS1_35adjacent_difference_config_selectorILb0EdEEZNS1_24adjacent_difference_implIS3_Lb0ELb0EPdS7_N6thrust23THRUST_200600_302600_NS5minusIdEEEE10hipError_tPvRmT2_T3_mT4_P12ihipStream_tbEUlT_E_NS1_11comp_targetILNS1_3genE10ELNS1_11target_archE1201ELNS1_3gpuE5ELNS1_3repE0EEENS1_30default_config_static_selectorELNS0_4arch9wavefront6targetE1EEEvT1_, .Lfunc_end417-_ZN7rocprim17ROCPRIM_400000_NS6detail17trampoline_kernelINS0_14default_configENS1_35adjacent_difference_config_selectorILb0EdEEZNS1_24adjacent_difference_implIS3_Lb0ELb0EPdS7_N6thrust23THRUST_200600_302600_NS5minusIdEEEE10hipError_tPvRmT2_T3_mT4_P12ihipStream_tbEUlT_E_NS1_11comp_targetILNS1_3genE10ELNS1_11target_archE1201ELNS1_3gpuE5ELNS1_3repE0EEENS1_30default_config_static_selectorELNS0_4arch9wavefront6targetE1EEEvT1_
                                        ; -- End function
	.section	.AMDGPU.csdata,"",@progbits
; Kernel info:
; codeLenInByte = 0
; NumSgprs: 4
; NumVgprs: 0
; NumAgprs: 0
; TotalNumVgprs: 0
; ScratchSize: 0
; MemoryBound: 0
; FloatMode: 240
; IeeeMode: 1
; LDSByteSize: 0 bytes/workgroup (compile time only)
; SGPRBlocks: 0
; VGPRBlocks: 0
; NumSGPRsForWavesPerEU: 4
; NumVGPRsForWavesPerEU: 1
; AccumOffset: 4
; Occupancy: 8
; WaveLimiterHint : 0
; COMPUTE_PGM_RSRC2:SCRATCH_EN: 0
; COMPUTE_PGM_RSRC2:USER_SGPR: 6
; COMPUTE_PGM_RSRC2:TRAP_HANDLER: 0
; COMPUTE_PGM_RSRC2:TGID_X_EN: 1
; COMPUTE_PGM_RSRC2:TGID_Y_EN: 0
; COMPUTE_PGM_RSRC2:TGID_Z_EN: 0
; COMPUTE_PGM_RSRC2:TIDIG_COMP_CNT: 0
; COMPUTE_PGM_RSRC3_GFX90A:ACCUM_OFFSET: 0
; COMPUTE_PGM_RSRC3_GFX90A:TG_SPLIT: 0
	.section	.text._ZN7rocprim17ROCPRIM_400000_NS6detail17trampoline_kernelINS0_14default_configENS1_35adjacent_difference_config_selectorILb0EdEEZNS1_24adjacent_difference_implIS3_Lb0ELb0EPdS7_N6thrust23THRUST_200600_302600_NS5minusIdEEEE10hipError_tPvRmT2_T3_mT4_P12ihipStream_tbEUlT_E_NS1_11comp_targetILNS1_3genE5ELNS1_11target_archE942ELNS1_3gpuE9ELNS1_3repE0EEENS1_30default_config_static_selectorELNS0_4arch9wavefront6targetE1EEEvT1_,"axG",@progbits,_ZN7rocprim17ROCPRIM_400000_NS6detail17trampoline_kernelINS0_14default_configENS1_35adjacent_difference_config_selectorILb0EdEEZNS1_24adjacent_difference_implIS3_Lb0ELb0EPdS7_N6thrust23THRUST_200600_302600_NS5minusIdEEEE10hipError_tPvRmT2_T3_mT4_P12ihipStream_tbEUlT_E_NS1_11comp_targetILNS1_3genE5ELNS1_11target_archE942ELNS1_3gpuE9ELNS1_3repE0EEENS1_30default_config_static_selectorELNS0_4arch9wavefront6targetE1EEEvT1_,comdat
	.protected	_ZN7rocprim17ROCPRIM_400000_NS6detail17trampoline_kernelINS0_14default_configENS1_35adjacent_difference_config_selectorILb0EdEEZNS1_24adjacent_difference_implIS3_Lb0ELb0EPdS7_N6thrust23THRUST_200600_302600_NS5minusIdEEEE10hipError_tPvRmT2_T3_mT4_P12ihipStream_tbEUlT_E_NS1_11comp_targetILNS1_3genE5ELNS1_11target_archE942ELNS1_3gpuE9ELNS1_3repE0EEENS1_30default_config_static_selectorELNS0_4arch9wavefront6targetE1EEEvT1_ ; -- Begin function _ZN7rocprim17ROCPRIM_400000_NS6detail17trampoline_kernelINS0_14default_configENS1_35adjacent_difference_config_selectorILb0EdEEZNS1_24adjacent_difference_implIS3_Lb0ELb0EPdS7_N6thrust23THRUST_200600_302600_NS5minusIdEEEE10hipError_tPvRmT2_T3_mT4_P12ihipStream_tbEUlT_E_NS1_11comp_targetILNS1_3genE5ELNS1_11target_archE942ELNS1_3gpuE9ELNS1_3repE0EEENS1_30default_config_static_selectorELNS0_4arch9wavefront6targetE1EEEvT1_
	.globl	_ZN7rocprim17ROCPRIM_400000_NS6detail17trampoline_kernelINS0_14default_configENS1_35adjacent_difference_config_selectorILb0EdEEZNS1_24adjacent_difference_implIS3_Lb0ELb0EPdS7_N6thrust23THRUST_200600_302600_NS5minusIdEEEE10hipError_tPvRmT2_T3_mT4_P12ihipStream_tbEUlT_E_NS1_11comp_targetILNS1_3genE5ELNS1_11target_archE942ELNS1_3gpuE9ELNS1_3repE0EEENS1_30default_config_static_selectorELNS0_4arch9wavefront6targetE1EEEvT1_
	.p2align	8
	.type	_ZN7rocprim17ROCPRIM_400000_NS6detail17trampoline_kernelINS0_14default_configENS1_35adjacent_difference_config_selectorILb0EdEEZNS1_24adjacent_difference_implIS3_Lb0ELb0EPdS7_N6thrust23THRUST_200600_302600_NS5minusIdEEEE10hipError_tPvRmT2_T3_mT4_P12ihipStream_tbEUlT_E_NS1_11comp_targetILNS1_3genE5ELNS1_11target_archE942ELNS1_3gpuE9ELNS1_3repE0EEENS1_30default_config_static_selectorELNS0_4arch9wavefront6targetE1EEEvT1_,@function
_ZN7rocprim17ROCPRIM_400000_NS6detail17trampoline_kernelINS0_14default_configENS1_35adjacent_difference_config_selectorILb0EdEEZNS1_24adjacent_difference_implIS3_Lb0ELb0EPdS7_N6thrust23THRUST_200600_302600_NS5minusIdEEEE10hipError_tPvRmT2_T3_mT4_P12ihipStream_tbEUlT_E_NS1_11comp_targetILNS1_3genE5ELNS1_11target_archE942ELNS1_3gpuE9ELNS1_3repE0EEENS1_30default_config_static_selectorELNS0_4arch9wavefront6targetE1EEEvT1_: ; @_ZN7rocprim17ROCPRIM_400000_NS6detail17trampoline_kernelINS0_14default_configENS1_35adjacent_difference_config_selectorILb0EdEEZNS1_24adjacent_difference_implIS3_Lb0ELb0EPdS7_N6thrust23THRUST_200600_302600_NS5minusIdEEEE10hipError_tPvRmT2_T3_mT4_P12ihipStream_tbEUlT_E_NS1_11comp_targetILNS1_3genE5ELNS1_11target_archE942ELNS1_3gpuE9ELNS1_3repE0EEENS1_30default_config_static_selectorELNS0_4arch9wavefront6targetE1EEEvT1_
; %bb.0:
	.section	.rodata,"a",@progbits
	.p2align	6, 0x0
	.amdhsa_kernel _ZN7rocprim17ROCPRIM_400000_NS6detail17trampoline_kernelINS0_14default_configENS1_35adjacent_difference_config_selectorILb0EdEEZNS1_24adjacent_difference_implIS3_Lb0ELb0EPdS7_N6thrust23THRUST_200600_302600_NS5minusIdEEEE10hipError_tPvRmT2_T3_mT4_P12ihipStream_tbEUlT_E_NS1_11comp_targetILNS1_3genE5ELNS1_11target_archE942ELNS1_3gpuE9ELNS1_3repE0EEENS1_30default_config_static_selectorELNS0_4arch9wavefront6targetE1EEEvT1_
		.amdhsa_group_segment_fixed_size 0
		.amdhsa_private_segment_fixed_size 0
		.amdhsa_kernarg_size 56
		.amdhsa_user_sgpr_count 6
		.amdhsa_user_sgpr_private_segment_buffer 1
		.amdhsa_user_sgpr_dispatch_ptr 0
		.amdhsa_user_sgpr_queue_ptr 0
		.amdhsa_user_sgpr_kernarg_segment_ptr 1
		.amdhsa_user_sgpr_dispatch_id 0
		.amdhsa_user_sgpr_flat_scratch_init 0
		.amdhsa_user_sgpr_kernarg_preload_length 0
		.amdhsa_user_sgpr_kernarg_preload_offset 0
		.amdhsa_user_sgpr_private_segment_size 0
		.amdhsa_uses_dynamic_stack 0
		.amdhsa_system_sgpr_private_segment_wavefront_offset 0
		.amdhsa_system_sgpr_workgroup_id_x 1
		.amdhsa_system_sgpr_workgroup_id_y 0
		.amdhsa_system_sgpr_workgroup_id_z 0
		.amdhsa_system_sgpr_workgroup_info 0
		.amdhsa_system_vgpr_workitem_id 0
		.amdhsa_next_free_vgpr 1
		.amdhsa_next_free_sgpr 0
		.amdhsa_accum_offset 4
		.amdhsa_reserve_vcc 0
		.amdhsa_reserve_flat_scratch 0
		.amdhsa_float_round_mode_32 0
		.amdhsa_float_round_mode_16_64 0
		.amdhsa_float_denorm_mode_32 3
		.amdhsa_float_denorm_mode_16_64 3
		.amdhsa_dx10_clamp 1
		.amdhsa_ieee_mode 1
		.amdhsa_fp16_overflow 0
		.amdhsa_tg_split 0
		.amdhsa_exception_fp_ieee_invalid_op 0
		.amdhsa_exception_fp_denorm_src 0
		.amdhsa_exception_fp_ieee_div_zero 0
		.amdhsa_exception_fp_ieee_overflow 0
		.amdhsa_exception_fp_ieee_underflow 0
		.amdhsa_exception_fp_ieee_inexact 0
		.amdhsa_exception_int_div_zero 0
	.end_amdhsa_kernel
	.section	.text._ZN7rocprim17ROCPRIM_400000_NS6detail17trampoline_kernelINS0_14default_configENS1_35adjacent_difference_config_selectorILb0EdEEZNS1_24adjacent_difference_implIS3_Lb0ELb0EPdS7_N6thrust23THRUST_200600_302600_NS5minusIdEEEE10hipError_tPvRmT2_T3_mT4_P12ihipStream_tbEUlT_E_NS1_11comp_targetILNS1_3genE5ELNS1_11target_archE942ELNS1_3gpuE9ELNS1_3repE0EEENS1_30default_config_static_selectorELNS0_4arch9wavefront6targetE1EEEvT1_,"axG",@progbits,_ZN7rocprim17ROCPRIM_400000_NS6detail17trampoline_kernelINS0_14default_configENS1_35adjacent_difference_config_selectorILb0EdEEZNS1_24adjacent_difference_implIS3_Lb0ELb0EPdS7_N6thrust23THRUST_200600_302600_NS5minusIdEEEE10hipError_tPvRmT2_T3_mT4_P12ihipStream_tbEUlT_E_NS1_11comp_targetILNS1_3genE5ELNS1_11target_archE942ELNS1_3gpuE9ELNS1_3repE0EEENS1_30default_config_static_selectorELNS0_4arch9wavefront6targetE1EEEvT1_,comdat
.Lfunc_end418:
	.size	_ZN7rocprim17ROCPRIM_400000_NS6detail17trampoline_kernelINS0_14default_configENS1_35adjacent_difference_config_selectorILb0EdEEZNS1_24adjacent_difference_implIS3_Lb0ELb0EPdS7_N6thrust23THRUST_200600_302600_NS5minusIdEEEE10hipError_tPvRmT2_T3_mT4_P12ihipStream_tbEUlT_E_NS1_11comp_targetILNS1_3genE5ELNS1_11target_archE942ELNS1_3gpuE9ELNS1_3repE0EEENS1_30default_config_static_selectorELNS0_4arch9wavefront6targetE1EEEvT1_, .Lfunc_end418-_ZN7rocprim17ROCPRIM_400000_NS6detail17trampoline_kernelINS0_14default_configENS1_35adjacent_difference_config_selectorILb0EdEEZNS1_24adjacent_difference_implIS3_Lb0ELb0EPdS7_N6thrust23THRUST_200600_302600_NS5minusIdEEEE10hipError_tPvRmT2_T3_mT4_P12ihipStream_tbEUlT_E_NS1_11comp_targetILNS1_3genE5ELNS1_11target_archE942ELNS1_3gpuE9ELNS1_3repE0EEENS1_30default_config_static_selectorELNS0_4arch9wavefront6targetE1EEEvT1_
                                        ; -- End function
	.section	.AMDGPU.csdata,"",@progbits
; Kernel info:
; codeLenInByte = 0
; NumSgprs: 4
; NumVgprs: 0
; NumAgprs: 0
; TotalNumVgprs: 0
; ScratchSize: 0
; MemoryBound: 0
; FloatMode: 240
; IeeeMode: 1
; LDSByteSize: 0 bytes/workgroup (compile time only)
; SGPRBlocks: 0
; VGPRBlocks: 0
; NumSGPRsForWavesPerEU: 4
; NumVGPRsForWavesPerEU: 1
; AccumOffset: 4
; Occupancy: 8
; WaveLimiterHint : 0
; COMPUTE_PGM_RSRC2:SCRATCH_EN: 0
; COMPUTE_PGM_RSRC2:USER_SGPR: 6
; COMPUTE_PGM_RSRC2:TRAP_HANDLER: 0
; COMPUTE_PGM_RSRC2:TGID_X_EN: 1
; COMPUTE_PGM_RSRC2:TGID_Y_EN: 0
; COMPUTE_PGM_RSRC2:TGID_Z_EN: 0
; COMPUTE_PGM_RSRC2:TIDIG_COMP_CNT: 0
; COMPUTE_PGM_RSRC3_GFX90A:ACCUM_OFFSET: 0
; COMPUTE_PGM_RSRC3_GFX90A:TG_SPLIT: 0
	.section	.text._ZN7rocprim17ROCPRIM_400000_NS6detail17trampoline_kernelINS0_14default_configENS1_35adjacent_difference_config_selectorILb0EdEEZNS1_24adjacent_difference_implIS3_Lb0ELb0EPdS7_N6thrust23THRUST_200600_302600_NS5minusIdEEEE10hipError_tPvRmT2_T3_mT4_P12ihipStream_tbEUlT_E_NS1_11comp_targetILNS1_3genE4ELNS1_11target_archE910ELNS1_3gpuE8ELNS1_3repE0EEENS1_30default_config_static_selectorELNS0_4arch9wavefront6targetE1EEEvT1_,"axG",@progbits,_ZN7rocprim17ROCPRIM_400000_NS6detail17trampoline_kernelINS0_14default_configENS1_35adjacent_difference_config_selectorILb0EdEEZNS1_24adjacent_difference_implIS3_Lb0ELb0EPdS7_N6thrust23THRUST_200600_302600_NS5minusIdEEEE10hipError_tPvRmT2_T3_mT4_P12ihipStream_tbEUlT_E_NS1_11comp_targetILNS1_3genE4ELNS1_11target_archE910ELNS1_3gpuE8ELNS1_3repE0EEENS1_30default_config_static_selectorELNS0_4arch9wavefront6targetE1EEEvT1_,comdat
	.protected	_ZN7rocprim17ROCPRIM_400000_NS6detail17trampoline_kernelINS0_14default_configENS1_35adjacent_difference_config_selectorILb0EdEEZNS1_24adjacent_difference_implIS3_Lb0ELb0EPdS7_N6thrust23THRUST_200600_302600_NS5minusIdEEEE10hipError_tPvRmT2_T3_mT4_P12ihipStream_tbEUlT_E_NS1_11comp_targetILNS1_3genE4ELNS1_11target_archE910ELNS1_3gpuE8ELNS1_3repE0EEENS1_30default_config_static_selectorELNS0_4arch9wavefront6targetE1EEEvT1_ ; -- Begin function _ZN7rocprim17ROCPRIM_400000_NS6detail17trampoline_kernelINS0_14default_configENS1_35adjacent_difference_config_selectorILb0EdEEZNS1_24adjacent_difference_implIS3_Lb0ELb0EPdS7_N6thrust23THRUST_200600_302600_NS5minusIdEEEE10hipError_tPvRmT2_T3_mT4_P12ihipStream_tbEUlT_E_NS1_11comp_targetILNS1_3genE4ELNS1_11target_archE910ELNS1_3gpuE8ELNS1_3repE0EEENS1_30default_config_static_selectorELNS0_4arch9wavefront6targetE1EEEvT1_
	.globl	_ZN7rocprim17ROCPRIM_400000_NS6detail17trampoline_kernelINS0_14default_configENS1_35adjacent_difference_config_selectorILb0EdEEZNS1_24adjacent_difference_implIS3_Lb0ELb0EPdS7_N6thrust23THRUST_200600_302600_NS5minusIdEEEE10hipError_tPvRmT2_T3_mT4_P12ihipStream_tbEUlT_E_NS1_11comp_targetILNS1_3genE4ELNS1_11target_archE910ELNS1_3gpuE8ELNS1_3repE0EEENS1_30default_config_static_selectorELNS0_4arch9wavefront6targetE1EEEvT1_
	.p2align	8
	.type	_ZN7rocprim17ROCPRIM_400000_NS6detail17trampoline_kernelINS0_14default_configENS1_35adjacent_difference_config_selectorILb0EdEEZNS1_24adjacent_difference_implIS3_Lb0ELb0EPdS7_N6thrust23THRUST_200600_302600_NS5minusIdEEEE10hipError_tPvRmT2_T3_mT4_P12ihipStream_tbEUlT_E_NS1_11comp_targetILNS1_3genE4ELNS1_11target_archE910ELNS1_3gpuE8ELNS1_3repE0EEENS1_30default_config_static_selectorELNS0_4arch9wavefront6targetE1EEEvT1_,@function
_ZN7rocprim17ROCPRIM_400000_NS6detail17trampoline_kernelINS0_14default_configENS1_35adjacent_difference_config_selectorILb0EdEEZNS1_24adjacent_difference_implIS3_Lb0ELb0EPdS7_N6thrust23THRUST_200600_302600_NS5minusIdEEEE10hipError_tPvRmT2_T3_mT4_P12ihipStream_tbEUlT_E_NS1_11comp_targetILNS1_3genE4ELNS1_11target_archE910ELNS1_3gpuE8ELNS1_3repE0EEENS1_30default_config_static_selectorELNS0_4arch9wavefront6targetE1EEEvT1_: ; @_ZN7rocprim17ROCPRIM_400000_NS6detail17trampoline_kernelINS0_14default_configENS1_35adjacent_difference_config_selectorILb0EdEEZNS1_24adjacent_difference_implIS3_Lb0ELb0EPdS7_N6thrust23THRUST_200600_302600_NS5minusIdEEEE10hipError_tPvRmT2_T3_mT4_P12ihipStream_tbEUlT_E_NS1_11comp_targetILNS1_3genE4ELNS1_11target_archE910ELNS1_3gpuE8ELNS1_3repE0EEENS1_30default_config_static_selectorELNS0_4arch9wavefront6targetE1EEEvT1_
; %bb.0:
	s_load_dwordx8 s[8:15], s[4:5], 0x0
	s_load_dwordx2 s[0:1], s[4:5], 0x30
	s_mov_b32 s5, 0
	s_mov_b64 s[16:17], -1
	s_waitcnt lgkmcnt(0)
	s_lshl_b64 s[10:11], s[10:11], 3
	s_add_u32 s20, s8, s10
	s_addc_u32 s21, s9, s11
	s_lshl_b32 s4, s6, 9
	s_lshr_b64 s[2:3], s[14:15], 9
	s_and_b32 s8, s14, 0x1ff
	s_mov_b32 s9, s5
	s_cmp_lg_u64 s[8:9], 0
	s_cselect_b64 s[8:9], -1, 0
	v_cndmask_b32_e64 v1, 0, 1, s[8:9]
	v_readfirstlane_b32 s7, v1
	s_add_u32 s2, s2, s7
	s_addc_u32 s3, s3, 0
	s_add_u32 s8, s0, s6
	s_addc_u32 s9, s1, 0
	s_add_u32 s6, s2, -1
	s_addc_u32 s7, s3, -1
	v_pk_mov_b32 v[2:3], s[6:7], s[6:7] op_sel:[0,1]
	v_cmp_ge_u64_e64 s[0:1], s[8:9], v[2:3]
	s_and_b64 vcc, exec, s[0:1]
	s_cbranch_vccz .LBB419_6
; %bb.1:
	s_lshl_b32 s15, s6, 9
	s_sub_i32 s15, s14, s15
	s_lshl_b64 s[16:17], s[4:5], 3
	s_add_u32 s16, s20, s16
	s_addc_u32 s17, s21, s17
	v_cmp_gt_u32_e32 vcc, s15, v0
                                        ; implicit-def: $vgpr2_vgpr3_vgpr4_vgpr5
	s_and_saveexec_b64 s[18:19], vcc
	s_cbranch_execz .LBB419_3
; %bb.2:
	v_lshlrev_b32_e32 v1, 3, v0
	global_load_dwordx2 v[2:3], v1, s[16:17]
.LBB419_3:
	s_or_b64 exec, exec, s[18:19]
	v_or_b32_e32 v1, 0x100, v0
	v_cmp_gt_u32_e32 vcc, s15, v1
	s_and_saveexec_b64 s[18:19], vcc
	s_cbranch_execz .LBB419_5
; %bb.4:
	v_lshlrev_b32_e32 v4, 3, v0
	global_load_dwordx2 v[4:5], v4, s[16:17] offset:2048
.LBB419_5:
	s_or_b64 exec, exec, s[18:19]
	v_lshrrev_b32_e32 v6, 2, v0
	v_lshrrev_b32_e32 v1, 2, v1
	v_and_b32_e32 v6, 56, v6
	v_lshlrev_b32_e32 v7, 3, v0
	v_and_b32_e32 v1, 0x78, v1
	v_add_u32_e32 v6, v6, v7
	v_add_u32_e32 v1, v1, v7
	s_mov_b64 s[16:17], 0
	s_waitcnt vmcnt(0)
	ds_write_b64 v6, v[2:3]
	ds_write_b64 v1, v[4:5] offset:2048
	s_waitcnt lgkmcnt(0)
	s_barrier
.LBB419_6:
	s_and_b64 vcc, exec, s[16:17]
	v_lshlrev_b32_e32 v1, 3, v0
	s_cbranch_vccz .LBB419_8
; %bb.7:
	s_lshl_b64 s[16:17], s[4:5], 3
	s_add_u32 s16, s20, s16
	s_addc_u32 s17, s21, s17
	global_load_dwordx2 v[2:3], v1, s[16:17]
	global_load_dwordx2 v[4:5], v1, s[16:17] offset:2048
	v_lshrrev_b32_e32 v6, 2, v0
	v_or_b32_e32 v7, 0x100, v0
	v_and_b32_e32 v6, 56, v6
	v_lshrrev_b32_e32 v7, 2, v7
	v_add_u32_e32 v6, v6, v1
	v_and_b32_e32 v7, 0x78, v7
	v_add_u32_e32 v7, v7, v1
	s_waitcnt vmcnt(1)
	ds_write_b64 v6, v[2:3]
	s_waitcnt vmcnt(0)
	ds_write_b64 v7, v[4:5] offset:2048
	s_waitcnt lgkmcnt(0)
	s_barrier
.LBB419_8:
	v_lshlrev_b32_e32 v2, 1, v0
	v_lshrrev_b32_e32 v3, 4, v0
	v_add_lshl_u32 v2, v3, v2, 3
	ds_read2_b64 v[2:5], v2 offset1:1
	s_cmp_eq_u64 s[8:9], 0
	s_waitcnt lgkmcnt(0)
	s_barrier
	s_cbranch_scc1 .LBB419_13
; %bb.9:
	s_lshl_b64 s[16:17], s[4:5], 3
	s_add_u32 s5, s20, s16
	s_addc_u32 s15, s21, s17
	s_add_u32 s16, s5, -8
	s_addc_u32 s17, s15, -1
	s_load_dwordx2 s[16:17], s[16:17], 0x0
	s_cmp_eq_u64 s[8:9], s[6:7]
	s_cbranch_scc1 .LBB419_14
; %bb.10:
	v_cmp_ne_u32_e32 vcc, 0, v0
	s_waitcnt lgkmcnt(0)
	v_pk_mov_b32 v[6:7], s[16:17], s[16:17] op_sel:[0,1]
	ds_write_b64 v1, v[4:5]
	s_waitcnt lgkmcnt(0)
	s_barrier
	s_and_saveexec_b64 s[18:19], vcc
	s_cbranch_execz .LBB419_12
; %bb.11:
	v_add_u32_e32 v6, -8, v1
	ds_read_b64 v[6:7], v6
.LBB419_12:
	s_or_b64 exec, exec, s[18:19]
	v_add_f64 v[10:11], v[4:5], -v[2:3]
	s_waitcnt lgkmcnt(0)
	v_add_f64 v[6:7], v[2:3], -v[6:7]
	s_branch .LBB419_18
.LBB419_13:
                                        ; implicit-def: $vgpr10_vgpr11
                                        ; implicit-def: $vgpr6_vgpr7_vgpr8_vgpr9
	s_branch .LBB419_19
.LBB419_14:
                                        ; implicit-def: $vgpr10_vgpr11
                                        ; implicit-def: $vgpr6_vgpr7_vgpr8_vgpr9
	s_cbranch_execz .LBB419_18
; %bb.15:
	v_cmp_ne_u32_e32 vcc, 0, v0
	s_waitcnt lgkmcnt(0)
	v_pk_mov_b32 v[6:7], s[16:17], s[16:17] op_sel:[0,1]
	ds_write_b64 v1, v[4:5]
	s_waitcnt lgkmcnt(0)
	s_barrier
	s_and_saveexec_b64 s[16:17], vcc
	s_cbranch_execz .LBB419_17
; %bb.16:
	v_add_u32_e32 v6, -8, v1
	ds_read_b64 v[6:7], v6
.LBB419_17:
	s_or_b64 exec, exec, s[16:17]
	s_lshl_b32 s5, s8, 9
	v_lshlrev_b32_e32 v12, 1, v0
	s_sub_i32 s5, s14, s5
	v_or_b32_e32 v10, 1, v12
	v_add_f64 v[8:9], v[4:5], -v[2:3]
	v_cmp_gt_u32_e32 vcc, s5, v10
	v_cndmask_b32_e32 v11, v5, v9, vcc
	v_cndmask_b32_e32 v10, v4, v8, vcc
	s_waitcnt lgkmcnt(0)
	v_add_f64 v[6:7], v[2:3], -v[6:7]
	v_cmp_gt_u32_e32 vcc, s5, v12
	v_cndmask_b32_e32 v7, v3, v7, vcc
	v_cndmask_b32_e32 v6, v2, v6, vcc
.LBB419_18:
	s_cbranch_execnz .LBB419_27
.LBB419_19:
	s_cmp_eq_u64 s[2:3], 1
	v_add_f64 v[10:11], v[4:5], -v[2:3]
	v_cmp_ne_u32_e32 vcc, 0, v0
	s_cbranch_scc1 .LBB419_23
; %bb.20:
	v_pk_mov_b32 v[6:7], v[2:3], v[2:3] op_sel:[0,1]
	ds_write_b64 v1, v[4:5]
	s_waitcnt lgkmcnt(0)
	s_barrier
	s_and_saveexec_b64 s[2:3], vcc
	s_cbranch_execz .LBB419_22
; %bb.21:
	v_add_u32_e32 v6, -8, v1
	ds_read_b64 v[6:7], v6
	s_waitcnt lgkmcnt(0)
	v_add_f64 v[6:7], v[2:3], -v[6:7]
.LBB419_22:
	s_or_b64 exec, exec, s[2:3]
	s_cbranch_execz .LBB419_24
	s_branch .LBB419_27
.LBB419_23:
                                        ; implicit-def: $vgpr6_vgpr7_vgpr8_vgpr9
.LBB419_24:
	v_lshlrev_b32_e32 v6, 1, v0
	v_or_b32_e32 v7, 1, v6
	v_cmp_gt_u32_e32 vcc, s14, v7
	v_cndmask_b32_e32 v11, v5, v11, vcc
	v_cndmask_b32_e32 v10, v4, v10, vcc
	v_cmp_ne_u32_e32 vcc, 0, v0
	v_cmp_gt_u32_e64 s[2:3], s14, v6
	s_and_b64 s[8:9], vcc, s[2:3]
	ds_write_b64 v1, v[4:5]
	s_waitcnt lgkmcnt(0)
	s_barrier
	s_and_saveexec_b64 s[2:3], s[8:9]
	s_cbranch_execz .LBB419_26
; %bb.25:
	v_add_u32_e32 v4, -8, v1
	ds_read_b64 v[4:5], v4
	s_waitcnt lgkmcnt(0)
	v_add_f64 v[2:3], v[2:3], -v[4:5]
.LBB419_26:
	s_or_b64 exec, exec, s[2:3]
	v_pk_mov_b32 v[6:7], v[2:3], v[2:3] op_sel:[0,1]
.LBB419_27:
	s_add_u32 s7, s12, s10
	s_addc_u32 s8, s13, s11
	s_and_b64 vcc, exec, s[0:1]
	v_lshrrev_b32_e32 v8, 1, v0
	s_waitcnt lgkmcnt(0)
	s_barrier
	s_cbranch_vccz .LBB419_31
; %bb.28:
	v_and_b32_e32 v2, 0x78, v8
	v_lshl_add_u32 v2, v0, 4, v2
	v_or_b32_e32 v9, 0x100, v0
	s_lshl_b32 s0, s6, 9
	s_mov_b32 s5, 0
	ds_write2_b64 v2, v[6:7], v[10:11] offset1:1
	v_lshrrev_b32_e32 v2, 5, v9
	s_sub_i32 s2, s14, s0
	s_lshl_b64 s[0:1], s[4:5], 3
	v_add_lshl_u32 v2, v2, v0, 3
	s_add_u32 s0, s7, s0
	s_waitcnt lgkmcnt(0)
	s_barrier
	ds_read_b64 v[2:3], v2 offset:2048
	s_addc_u32 s1, s8, s1
	v_mov_b32_e32 v5, s1
	v_add_co_u32_e32 v4, vcc, s0, v1
	v_addc_co_u32_e32 v5, vcc, 0, v5, vcc
	v_cmp_gt_u32_e32 vcc, s2, v0
	s_and_saveexec_b64 s[0:1], vcc
	s_cbranch_execz .LBB419_30
; %bb.29:
	v_lshrrev_b32_e32 v12, 5, v0
	v_add_lshl_u32 v12, v12, v0, 3
	ds_read_b64 v[12:13], v12
	s_waitcnt lgkmcnt(0)
	global_store_dwordx2 v[4:5], v[12:13], off
.LBB419_30:
	s_or_b64 exec, exec, s[0:1]
	v_cmp_gt_u32_e64 s[0:1], s2, v9
	s_branch .LBB419_33
.LBB419_31:
	s_mov_b64 s[0:1], 0
                                        ; implicit-def: $vgpr2_vgpr3
                                        ; implicit-def: $vgpr4_vgpr5
	s_cbranch_execz .LBB419_33
; %bb.32:
	s_waitcnt lgkmcnt(0)
	v_and_b32_e32 v2, 0x78, v8
	v_lshl_add_u32 v2, v0, 4, v2
	s_mov_b32 s5, 0
	ds_write2_b64 v2, v[6:7], v[10:11] offset1:1
	v_lshrrev_b32_e32 v2, 5, v0
	v_or_b32_e32 v3, 0x100, v0
	s_lshl_b64 s[2:3], s[4:5], 3
	v_add_lshl_u32 v2, v2, v0, 3
	v_lshrrev_b32_e32 v3, 5, v3
	s_add_u32 s2, s7, s2
	s_waitcnt lgkmcnt(0)
	s_barrier
	v_add_lshl_u32 v0, v3, v0, 3
	ds_read_b64 v[6:7], v2
	ds_read_b64 v[2:3], v0 offset:2048
	s_addc_u32 s3, s8, s3
	v_mov_b32_e32 v0, s3
	v_add_co_u32_e32 v4, vcc, s2, v1
	v_addc_co_u32_e32 v5, vcc, 0, v0, vcc
	s_or_b64 s[0:1], s[0:1], exec
	s_waitcnt lgkmcnt(1)
	global_store_dwordx2 v1, v[6:7], s[2:3]
.LBB419_33:
	s_and_saveexec_b64 s[2:3], s[0:1]
	s_cbranch_execnz .LBB419_35
; %bb.34:
	s_endpgm
.LBB419_35:
	s_waitcnt lgkmcnt(0)
	global_store_dwordx2 v[4:5], v[2:3], off offset:2048
	s_endpgm
	.section	.rodata,"a",@progbits
	.p2align	6, 0x0
	.amdhsa_kernel _ZN7rocprim17ROCPRIM_400000_NS6detail17trampoline_kernelINS0_14default_configENS1_35adjacent_difference_config_selectorILb0EdEEZNS1_24adjacent_difference_implIS3_Lb0ELb0EPdS7_N6thrust23THRUST_200600_302600_NS5minusIdEEEE10hipError_tPvRmT2_T3_mT4_P12ihipStream_tbEUlT_E_NS1_11comp_targetILNS1_3genE4ELNS1_11target_archE910ELNS1_3gpuE8ELNS1_3repE0EEENS1_30default_config_static_selectorELNS0_4arch9wavefront6targetE1EEEvT1_
		.amdhsa_group_segment_fixed_size 4224
		.amdhsa_private_segment_fixed_size 0
		.amdhsa_kernarg_size 56
		.amdhsa_user_sgpr_count 6
		.amdhsa_user_sgpr_private_segment_buffer 1
		.amdhsa_user_sgpr_dispatch_ptr 0
		.amdhsa_user_sgpr_queue_ptr 0
		.amdhsa_user_sgpr_kernarg_segment_ptr 1
		.amdhsa_user_sgpr_dispatch_id 0
		.amdhsa_user_sgpr_flat_scratch_init 0
		.amdhsa_user_sgpr_kernarg_preload_length 0
		.amdhsa_user_sgpr_kernarg_preload_offset 0
		.amdhsa_user_sgpr_private_segment_size 0
		.amdhsa_uses_dynamic_stack 0
		.amdhsa_system_sgpr_private_segment_wavefront_offset 0
		.amdhsa_system_sgpr_workgroup_id_x 1
		.amdhsa_system_sgpr_workgroup_id_y 0
		.amdhsa_system_sgpr_workgroup_id_z 0
		.amdhsa_system_sgpr_workgroup_info 0
		.amdhsa_system_vgpr_workitem_id 0
		.amdhsa_next_free_vgpr 14
		.amdhsa_next_free_sgpr 22
		.amdhsa_accum_offset 16
		.amdhsa_reserve_vcc 1
		.amdhsa_reserve_flat_scratch 0
		.amdhsa_float_round_mode_32 0
		.amdhsa_float_round_mode_16_64 0
		.amdhsa_float_denorm_mode_32 3
		.amdhsa_float_denorm_mode_16_64 3
		.amdhsa_dx10_clamp 1
		.amdhsa_ieee_mode 1
		.amdhsa_fp16_overflow 0
		.amdhsa_tg_split 0
		.amdhsa_exception_fp_ieee_invalid_op 0
		.amdhsa_exception_fp_denorm_src 0
		.amdhsa_exception_fp_ieee_div_zero 0
		.amdhsa_exception_fp_ieee_overflow 0
		.amdhsa_exception_fp_ieee_underflow 0
		.amdhsa_exception_fp_ieee_inexact 0
		.amdhsa_exception_int_div_zero 0
	.end_amdhsa_kernel
	.section	.text._ZN7rocprim17ROCPRIM_400000_NS6detail17trampoline_kernelINS0_14default_configENS1_35adjacent_difference_config_selectorILb0EdEEZNS1_24adjacent_difference_implIS3_Lb0ELb0EPdS7_N6thrust23THRUST_200600_302600_NS5minusIdEEEE10hipError_tPvRmT2_T3_mT4_P12ihipStream_tbEUlT_E_NS1_11comp_targetILNS1_3genE4ELNS1_11target_archE910ELNS1_3gpuE8ELNS1_3repE0EEENS1_30default_config_static_selectorELNS0_4arch9wavefront6targetE1EEEvT1_,"axG",@progbits,_ZN7rocprim17ROCPRIM_400000_NS6detail17trampoline_kernelINS0_14default_configENS1_35adjacent_difference_config_selectorILb0EdEEZNS1_24adjacent_difference_implIS3_Lb0ELb0EPdS7_N6thrust23THRUST_200600_302600_NS5minusIdEEEE10hipError_tPvRmT2_T3_mT4_P12ihipStream_tbEUlT_E_NS1_11comp_targetILNS1_3genE4ELNS1_11target_archE910ELNS1_3gpuE8ELNS1_3repE0EEENS1_30default_config_static_selectorELNS0_4arch9wavefront6targetE1EEEvT1_,comdat
.Lfunc_end419:
	.size	_ZN7rocprim17ROCPRIM_400000_NS6detail17trampoline_kernelINS0_14default_configENS1_35adjacent_difference_config_selectorILb0EdEEZNS1_24adjacent_difference_implIS3_Lb0ELb0EPdS7_N6thrust23THRUST_200600_302600_NS5minusIdEEEE10hipError_tPvRmT2_T3_mT4_P12ihipStream_tbEUlT_E_NS1_11comp_targetILNS1_3genE4ELNS1_11target_archE910ELNS1_3gpuE8ELNS1_3repE0EEENS1_30default_config_static_selectorELNS0_4arch9wavefront6targetE1EEEvT1_, .Lfunc_end419-_ZN7rocprim17ROCPRIM_400000_NS6detail17trampoline_kernelINS0_14default_configENS1_35adjacent_difference_config_selectorILb0EdEEZNS1_24adjacent_difference_implIS3_Lb0ELb0EPdS7_N6thrust23THRUST_200600_302600_NS5minusIdEEEE10hipError_tPvRmT2_T3_mT4_P12ihipStream_tbEUlT_E_NS1_11comp_targetILNS1_3genE4ELNS1_11target_archE910ELNS1_3gpuE8ELNS1_3repE0EEENS1_30default_config_static_selectorELNS0_4arch9wavefront6targetE1EEEvT1_
                                        ; -- End function
	.section	.AMDGPU.csdata,"",@progbits
; Kernel info:
; codeLenInByte = 1200
; NumSgprs: 26
; NumVgprs: 14
; NumAgprs: 0
; TotalNumVgprs: 14
; ScratchSize: 0
; MemoryBound: 0
; FloatMode: 240
; IeeeMode: 1
; LDSByteSize: 4224 bytes/workgroup (compile time only)
; SGPRBlocks: 3
; VGPRBlocks: 1
; NumSGPRsForWavesPerEU: 26
; NumVGPRsForWavesPerEU: 14
; AccumOffset: 16
; Occupancy: 8
; WaveLimiterHint : 1
; COMPUTE_PGM_RSRC2:SCRATCH_EN: 0
; COMPUTE_PGM_RSRC2:USER_SGPR: 6
; COMPUTE_PGM_RSRC2:TRAP_HANDLER: 0
; COMPUTE_PGM_RSRC2:TGID_X_EN: 1
; COMPUTE_PGM_RSRC2:TGID_Y_EN: 0
; COMPUTE_PGM_RSRC2:TGID_Z_EN: 0
; COMPUTE_PGM_RSRC2:TIDIG_COMP_CNT: 0
; COMPUTE_PGM_RSRC3_GFX90A:ACCUM_OFFSET: 3
; COMPUTE_PGM_RSRC3_GFX90A:TG_SPLIT: 0
	.section	.text._ZN7rocprim17ROCPRIM_400000_NS6detail17trampoline_kernelINS0_14default_configENS1_35adjacent_difference_config_selectorILb0EdEEZNS1_24adjacent_difference_implIS3_Lb0ELb0EPdS7_N6thrust23THRUST_200600_302600_NS5minusIdEEEE10hipError_tPvRmT2_T3_mT4_P12ihipStream_tbEUlT_E_NS1_11comp_targetILNS1_3genE3ELNS1_11target_archE908ELNS1_3gpuE7ELNS1_3repE0EEENS1_30default_config_static_selectorELNS0_4arch9wavefront6targetE1EEEvT1_,"axG",@progbits,_ZN7rocprim17ROCPRIM_400000_NS6detail17trampoline_kernelINS0_14default_configENS1_35adjacent_difference_config_selectorILb0EdEEZNS1_24adjacent_difference_implIS3_Lb0ELb0EPdS7_N6thrust23THRUST_200600_302600_NS5minusIdEEEE10hipError_tPvRmT2_T3_mT4_P12ihipStream_tbEUlT_E_NS1_11comp_targetILNS1_3genE3ELNS1_11target_archE908ELNS1_3gpuE7ELNS1_3repE0EEENS1_30default_config_static_selectorELNS0_4arch9wavefront6targetE1EEEvT1_,comdat
	.protected	_ZN7rocprim17ROCPRIM_400000_NS6detail17trampoline_kernelINS0_14default_configENS1_35adjacent_difference_config_selectorILb0EdEEZNS1_24adjacent_difference_implIS3_Lb0ELb0EPdS7_N6thrust23THRUST_200600_302600_NS5minusIdEEEE10hipError_tPvRmT2_T3_mT4_P12ihipStream_tbEUlT_E_NS1_11comp_targetILNS1_3genE3ELNS1_11target_archE908ELNS1_3gpuE7ELNS1_3repE0EEENS1_30default_config_static_selectorELNS0_4arch9wavefront6targetE1EEEvT1_ ; -- Begin function _ZN7rocprim17ROCPRIM_400000_NS6detail17trampoline_kernelINS0_14default_configENS1_35adjacent_difference_config_selectorILb0EdEEZNS1_24adjacent_difference_implIS3_Lb0ELb0EPdS7_N6thrust23THRUST_200600_302600_NS5minusIdEEEE10hipError_tPvRmT2_T3_mT4_P12ihipStream_tbEUlT_E_NS1_11comp_targetILNS1_3genE3ELNS1_11target_archE908ELNS1_3gpuE7ELNS1_3repE0EEENS1_30default_config_static_selectorELNS0_4arch9wavefront6targetE1EEEvT1_
	.globl	_ZN7rocprim17ROCPRIM_400000_NS6detail17trampoline_kernelINS0_14default_configENS1_35adjacent_difference_config_selectorILb0EdEEZNS1_24adjacent_difference_implIS3_Lb0ELb0EPdS7_N6thrust23THRUST_200600_302600_NS5minusIdEEEE10hipError_tPvRmT2_T3_mT4_P12ihipStream_tbEUlT_E_NS1_11comp_targetILNS1_3genE3ELNS1_11target_archE908ELNS1_3gpuE7ELNS1_3repE0EEENS1_30default_config_static_selectorELNS0_4arch9wavefront6targetE1EEEvT1_
	.p2align	8
	.type	_ZN7rocprim17ROCPRIM_400000_NS6detail17trampoline_kernelINS0_14default_configENS1_35adjacent_difference_config_selectorILb0EdEEZNS1_24adjacent_difference_implIS3_Lb0ELb0EPdS7_N6thrust23THRUST_200600_302600_NS5minusIdEEEE10hipError_tPvRmT2_T3_mT4_P12ihipStream_tbEUlT_E_NS1_11comp_targetILNS1_3genE3ELNS1_11target_archE908ELNS1_3gpuE7ELNS1_3repE0EEENS1_30default_config_static_selectorELNS0_4arch9wavefront6targetE1EEEvT1_,@function
_ZN7rocprim17ROCPRIM_400000_NS6detail17trampoline_kernelINS0_14default_configENS1_35adjacent_difference_config_selectorILb0EdEEZNS1_24adjacent_difference_implIS3_Lb0ELb0EPdS7_N6thrust23THRUST_200600_302600_NS5minusIdEEEE10hipError_tPvRmT2_T3_mT4_P12ihipStream_tbEUlT_E_NS1_11comp_targetILNS1_3genE3ELNS1_11target_archE908ELNS1_3gpuE7ELNS1_3repE0EEENS1_30default_config_static_selectorELNS0_4arch9wavefront6targetE1EEEvT1_: ; @_ZN7rocprim17ROCPRIM_400000_NS6detail17trampoline_kernelINS0_14default_configENS1_35adjacent_difference_config_selectorILb0EdEEZNS1_24adjacent_difference_implIS3_Lb0ELb0EPdS7_N6thrust23THRUST_200600_302600_NS5minusIdEEEE10hipError_tPvRmT2_T3_mT4_P12ihipStream_tbEUlT_E_NS1_11comp_targetILNS1_3genE3ELNS1_11target_archE908ELNS1_3gpuE7ELNS1_3repE0EEENS1_30default_config_static_selectorELNS0_4arch9wavefront6targetE1EEEvT1_
; %bb.0:
	.section	.rodata,"a",@progbits
	.p2align	6, 0x0
	.amdhsa_kernel _ZN7rocprim17ROCPRIM_400000_NS6detail17trampoline_kernelINS0_14default_configENS1_35adjacent_difference_config_selectorILb0EdEEZNS1_24adjacent_difference_implIS3_Lb0ELb0EPdS7_N6thrust23THRUST_200600_302600_NS5minusIdEEEE10hipError_tPvRmT2_T3_mT4_P12ihipStream_tbEUlT_E_NS1_11comp_targetILNS1_3genE3ELNS1_11target_archE908ELNS1_3gpuE7ELNS1_3repE0EEENS1_30default_config_static_selectorELNS0_4arch9wavefront6targetE1EEEvT1_
		.amdhsa_group_segment_fixed_size 0
		.amdhsa_private_segment_fixed_size 0
		.amdhsa_kernarg_size 56
		.amdhsa_user_sgpr_count 6
		.amdhsa_user_sgpr_private_segment_buffer 1
		.amdhsa_user_sgpr_dispatch_ptr 0
		.amdhsa_user_sgpr_queue_ptr 0
		.amdhsa_user_sgpr_kernarg_segment_ptr 1
		.amdhsa_user_sgpr_dispatch_id 0
		.amdhsa_user_sgpr_flat_scratch_init 0
		.amdhsa_user_sgpr_kernarg_preload_length 0
		.amdhsa_user_sgpr_kernarg_preload_offset 0
		.amdhsa_user_sgpr_private_segment_size 0
		.amdhsa_uses_dynamic_stack 0
		.amdhsa_system_sgpr_private_segment_wavefront_offset 0
		.amdhsa_system_sgpr_workgroup_id_x 1
		.amdhsa_system_sgpr_workgroup_id_y 0
		.amdhsa_system_sgpr_workgroup_id_z 0
		.amdhsa_system_sgpr_workgroup_info 0
		.amdhsa_system_vgpr_workitem_id 0
		.amdhsa_next_free_vgpr 1
		.amdhsa_next_free_sgpr 0
		.amdhsa_accum_offset 4
		.amdhsa_reserve_vcc 0
		.amdhsa_reserve_flat_scratch 0
		.amdhsa_float_round_mode_32 0
		.amdhsa_float_round_mode_16_64 0
		.amdhsa_float_denorm_mode_32 3
		.amdhsa_float_denorm_mode_16_64 3
		.amdhsa_dx10_clamp 1
		.amdhsa_ieee_mode 1
		.amdhsa_fp16_overflow 0
		.amdhsa_tg_split 0
		.amdhsa_exception_fp_ieee_invalid_op 0
		.amdhsa_exception_fp_denorm_src 0
		.amdhsa_exception_fp_ieee_div_zero 0
		.amdhsa_exception_fp_ieee_overflow 0
		.amdhsa_exception_fp_ieee_underflow 0
		.amdhsa_exception_fp_ieee_inexact 0
		.amdhsa_exception_int_div_zero 0
	.end_amdhsa_kernel
	.section	.text._ZN7rocprim17ROCPRIM_400000_NS6detail17trampoline_kernelINS0_14default_configENS1_35adjacent_difference_config_selectorILb0EdEEZNS1_24adjacent_difference_implIS3_Lb0ELb0EPdS7_N6thrust23THRUST_200600_302600_NS5minusIdEEEE10hipError_tPvRmT2_T3_mT4_P12ihipStream_tbEUlT_E_NS1_11comp_targetILNS1_3genE3ELNS1_11target_archE908ELNS1_3gpuE7ELNS1_3repE0EEENS1_30default_config_static_selectorELNS0_4arch9wavefront6targetE1EEEvT1_,"axG",@progbits,_ZN7rocprim17ROCPRIM_400000_NS6detail17trampoline_kernelINS0_14default_configENS1_35adjacent_difference_config_selectorILb0EdEEZNS1_24adjacent_difference_implIS3_Lb0ELb0EPdS7_N6thrust23THRUST_200600_302600_NS5minusIdEEEE10hipError_tPvRmT2_T3_mT4_P12ihipStream_tbEUlT_E_NS1_11comp_targetILNS1_3genE3ELNS1_11target_archE908ELNS1_3gpuE7ELNS1_3repE0EEENS1_30default_config_static_selectorELNS0_4arch9wavefront6targetE1EEEvT1_,comdat
.Lfunc_end420:
	.size	_ZN7rocprim17ROCPRIM_400000_NS6detail17trampoline_kernelINS0_14default_configENS1_35adjacent_difference_config_selectorILb0EdEEZNS1_24adjacent_difference_implIS3_Lb0ELb0EPdS7_N6thrust23THRUST_200600_302600_NS5minusIdEEEE10hipError_tPvRmT2_T3_mT4_P12ihipStream_tbEUlT_E_NS1_11comp_targetILNS1_3genE3ELNS1_11target_archE908ELNS1_3gpuE7ELNS1_3repE0EEENS1_30default_config_static_selectorELNS0_4arch9wavefront6targetE1EEEvT1_, .Lfunc_end420-_ZN7rocprim17ROCPRIM_400000_NS6detail17trampoline_kernelINS0_14default_configENS1_35adjacent_difference_config_selectorILb0EdEEZNS1_24adjacent_difference_implIS3_Lb0ELb0EPdS7_N6thrust23THRUST_200600_302600_NS5minusIdEEEE10hipError_tPvRmT2_T3_mT4_P12ihipStream_tbEUlT_E_NS1_11comp_targetILNS1_3genE3ELNS1_11target_archE908ELNS1_3gpuE7ELNS1_3repE0EEENS1_30default_config_static_selectorELNS0_4arch9wavefront6targetE1EEEvT1_
                                        ; -- End function
	.section	.AMDGPU.csdata,"",@progbits
; Kernel info:
; codeLenInByte = 0
; NumSgprs: 4
; NumVgprs: 0
; NumAgprs: 0
; TotalNumVgprs: 0
; ScratchSize: 0
; MemoryBound: 0
; FloatMode: 240
; IeeeMode: 1
; LDSByteSize: 0 bytes/workgroup (compile time only)
; SGPRBlocks: 0
; VGPRBlocks: 0
; NumSGPRsForWavesPerEU: 4
; NumVGPRsForWavesPerEU: 1
; AccumOffset: 4
; Occupancy: 8
; WaveLimiterHint : 0
; COMPUTE_PGM_RSRC2:SCRATCH_EN: 0
; COMPUTE_PGM_RSRC2:USER_SGPR: 6
; COMPUTE_PGM_RSRC2:TRAP_HANDLER: 0
; COMPUTE_PGM_RSRC2:TGID_X_EN: 1
; COMPUTE_PGM_RSRC2:TGID_Y_EN: 0
; COMPUTE_PGM_RSRC2:TGID_Z_EN: 0
; COMPUTE_PGM_RSRC2:TIDIG_COMP_CNT: 0
; COMPUTE_PGM_RSRC3_GFX90A:ACCUM_OFFSET: 0
; COMPUTE_PGM_RSRC3_GFX90A:TG_SPLIT: 0
	.section	.text._ZN7rocprim17ROCPRIM_400000_NS6detail17trampoline_kernelINS0_14default_configENS1_35adjacent_difference_config_selectorILb0EdEEZNS1_24adjacent_difference_implIS3_Lb0ELb0EPdS7_N6thrust23THRUST_200600_302600_NS5minusIdEEEE10hipError_tPvRmT2_T3_mT4_P12ihipStream_tbEUlT_E_NS1_11comp_targetILNS1_3genE2ELNS1_11target_archE906ELNS1_3gpuE6ELNS1_3repE0EEENS1_30default_config_static_selectorELNS0_4arch9wavefront6targetE1EEEvT1_,"axG",@progbits,_ZN7rocprim17ROCPRIM_400000_NS6detail17trampoline_kernelINS0_14default_configENS1_35adjacent_difference_config_selectorILb0EdEEZNS1_24adjacent_difference_implIS3_Lb0ELb0EPdS7_N6thrust23THRUST_200600_302600_NS5minusIdEEEE10hipError_tPvRmT2_T3_mT4_P12ihipStream_tbEUlT_E_NS1_11comp_targetILNS1_3genE2ELNS1_11target_archE906ELNS1_3gpuE6ELNS1_3repE0EEENS1_30default_config_static_selectorELNS0_4arch9wavefront6targetE1EEEvT1_,comdat
	.protected	_ZN7rocprim17ROCPRIM_400000_NS6detail17trampoline_kernelINS0_14default_configENS1_35adjacent_difference_config_selectorILb0EdEEZNS1_24adjacent_difference_implIS3_Lb0ELb0EPdS7_N6thrust23THRUST_200600_302600_NS5minusIdEEEE10hipError_tPvRmT2_T3_mT4_P12ihipStream_tbEUlT_E_NS1_11comp_targetILNS1_3genE2ELNS1_11target_archE906ELNS1_3gpuE6ELNS1_3repE0EEENS1_30default_config_static_selectorELNS0_4arch9wavefront6targetE1EEEvT1_ ; -- Begin function _ZN7rocprim17ROCPRIM_400000_NS6detail17trampoline_kernelINS0_14default_configENS1_35adjacent_difference_config_selectorILb0EdEEZNS1_24adjacent_difference_implIS3_Lb0ELb0EPdS7_N6thrust23THRUST_200600_302600_NS5minusIdEEEE10hipError_tPvRmT2_T3_mT4_P12ihipStream_tbEUlT_E_NS1_11comp_targetILNS1_3genE2ELNS1_11target_archE906ELNS1_3gpuE6ELNS1_3repE0EEENS1_30default_config_static_selectorELNS0_4arch9wavefront6targetE1EEEvT1_
	.globl	_ZN7rocprim17ROCPRIM_400000_NS6detail17trampoline_kernelINS0_14default_configENS1_35adjacent_difference_config_selectorILb0EdEEZNS1_24adjacent_difference_implIS3_Lb0ELb0EPdS7_N6thrust23THRUST_200600_302600_NS5minusIdEEEE10hipError_tPvRmT2_T3_mT4_P12ihipStream_tbEUlT_E_NS1_11comp_targetILNS1_3genE2ELNS1_11target_archE906ELNS1_3gpuE6ELNS1_3repE0EEENS1_30default_config_static_selectorELNS0_4arch9wavefront6targetE1EEEvT1_
	.p2align	8
	.type	_ZN7rocprim17ROCPRIM_400000_NS6detail17trampoline_kernelINS0_14default_configENS1_35adjacent_difference_config_selectorILb0EdEEZNS1_24adjacent_difference_implIS3_Lb0ELb0EPdS7_N6thrust23THRUST_200600_302600_NS5minusIdEEEE10hipError_tPvRmT2_T3_mT4_P12ihipStream_tbEUlT_E_NS1_11comp_targetILNS1_3genE2ELNS1_11target_archE906ELNS1_3gpuE6ELNS1_3repE0EEENS1_30default_config_static_selectorELNS0_4arch9wavefront6targetE1EEEvT1_,@function
_ZN7rocprim17ROCPRIM_400000_NS6detail17trampoline_kernelINS0_14default_configENS1_35adjacent_difference_config_selectorILb0EdEEZNS1_24adjacent_difference_implIS3_Lb0ELb0EPdS7_N6thrust23THRUST_200600_302600_NS5minusIdEEEE10hipError_tPvRmT2_T3_mT4_P12ihipStream_tbEUlT_E_NS1_11comp_targetILNS1_3genE2ELNS1_11target_archE906ELNS1_3gpuE6ELNS1_3repE0EEENS1_30default_config_static_selectorELNS0_4arch9wavefront6targetE1EEEvT1_: ; @_ZN7rocprim17ROCPRIM_400000_NS6detail17trampoline_kernelINS0_14default_configENS1_35adjacent_difference_config_selectorILb0EdEEZNS1_24adjacent_difference_implIS3_Lb0ELb0EPdS7_N6thrust23THRUST_200600_302600_NS5minusIdEEEE10hipError_tPvRmT2_T3_mT4_P12ihipStream_tbEUlT_E_NS1_11comp_targetILNS1_3genE2ELNS1_11target_archE906ELNS1_3gpuE6ELNS1_3repE0EEENS1_30default_config_static_selectorELNS0_4arch9wavefront6targetE1EEEvT1_
; %bb.0:
	.section	.rodata,"a",@progbits
	.p2align	6, 0x0
	.amdhsa_kernel _ZN7rocprim17ROCPRIM_400000_NS6detail17trampoline_kernelINS0_14default_configENS1_35adjacent_difference_config_selectorILb0EdEEZNS1_24adjacent_difference_implIS3_Lb0ELb0EPdS7_N6thrust23THRUST_200600_302600_NS5minusIdEEEE10hipError_tPvRmT2_T3_mT4_P12ihipStream_tbEUlT_E_NS1_11comp_targetILNS1_3genE2ELNS1_11target_archE906ELNS1_3gpuE6ELNS1_3repE0EEENS1_30default_config_static_selectorELNS0_4arch9wavefront6targetE1EEEvT1_
		.amdhsa_group_segment_fixed_size 0
		.amdhsa_private_segment_fixed_size 0
		.amdhsa_kernarg_size 56
		.amdhsa_user_sgpr_count 6
		.amdhsa_user_sgpr_private_segment_buffer 1
		.amdhsa_user_sgpr_dispatch_ptr 0
		.amdhsa_user_sgpr_queue_ptr 0
		.amdhsa_user_sgpr_kernarg_segment_ptr 1
		.amdhsa_user_sgpr_dispatch_id 0
		.amdhsa_user_sgpr_flat_scratch_init 0
		.amdhsa_user_sgpr_kernarg_preload_length 0
		.amdhsa_user_sgpr_kernarg_preload_offset 0
		.amdhsa_user_sgpr_private_segment_size 0
		.amdhsa_uses_dynamic_stack 0
		.amdhsa_system_sgpr_private_segment_wavefront_offset 0
		.amdhsa_system_sgpr_workgroup_id_x 1
		.amdhsa_system_sgpr_workgroup_id_y 0
		.amdhsa_system_sgpr_workgroup_id_z 0
		.amdhsa_system_sgpr_workgroup_info 0
		.amdhsa_system_vgpr_workitem_id 0
		.amdhsa_next_free_vgpr 1
		.amdhsa_next_free_sgpr 0
		.amdhsa_accum_offset 4
		.amdhsa_reserve_vcc 0
		.amdhsa_reserve_flat_scratch 0
		.amdhsa_float_round_mode_32 0
		.amdhsa_float_round_mode_16_64 0
		.amdhsa_float_denorm_mode_32 3
		.amdhsa_float_denorm_mode_16_64 3
		.amdhsa_dx10_clamp 1
		.amdhsa_ieee_mode 1
		.amdhsa_fp16_overflow 0
		.amdhsa_tg_split 0
		.amdhsa_exception_fp_ieee_invalid_op 0
		.amdhsa_exception_fp_denorm_src 0
		.amdhsa_exception_fp_ieee_div_zero 0
		.amdhsa_exception_fp_ieee_overflow 0
		.amdhsa_exception_fp_ieee_underflow 0
		.amdhsa_exception_fp_ieee_inexact 0
		.amdhsa_exception_int_div_zero 0
	.end_amdhsa_kernel
	.section	.text._ZN7rocprim17ROCPRIM_400000_NS6detail17trampoline_kernelINS0_14default_configENS1_35adjacent_difference_config_selectorILb0EdEEZNS1_24adjacent_difference_implIS3_Lb0ELb0EPdS7_N6thrust23THRUST_200600_302600_NS5minusIdEEEE10hipError_tPvRmT2_T3_mT4_P12ihipStream_tbEUlT_E_NS1_11comp_targetILNS1_3genE2ELNS1_11target_archE906ELNS1_3gpuE6ELNS1_3repE0EEENS1_30default_config_static_selectorELNS0_4arch9wavefront6targetE1EEEvT1_,"axG",@progbits,_ZN7rocprim17ROCPRIM_400000_NS6detail17trampoline_kernelINS0_14default_configENS1_35adjacent_difference_config_selectorILb0EdEEZNS1_24adjacent_difference_implIS3_Lb0ELb0EPdS7_N6thrust23THRUST_200600_302600_NS5minusIdEEEE10hipError_tPvRmT2_T3_mT4_P12ihipStream_tbEUlT_E_NS1_11comp_targetILNS1_3genE2ELNS1_11target_archE906ELNS1_3gpuE6ELNS1_3repE0EEENS1_30default_config_static_selectorELNS0_4arch9wavefront6targetE1EEEvT1_,comdat
.Lfunc_end421:
	.size	_ZN7rocprim17ROCPRIM_400000_NS6detail17trampoline_kernelINS0_14default_configENS1_35adjacent_difference_config_selectorILb0EdEEZNS1_24adjacent_difference_implIS3_Lb0ELb0EPdS7_N6thrust23THRUST_200600_302600_NS5minusIdEEEE10hipError_tPvRmT2_T3_mT4_P12ihipStream_tbEUlT_E_NS1_11comp_targetILNS1_3genE2ELNS1_11target_archE906ELNS1_3gpuE6ELNS1_3repE0EEENS1_30default_config_static_selectorELNS0_4arch9wavefront6targetE1EEEvT1_, .Lfunc_end421-_ZN7rocprim17ROCPRIM_400000_NS6detail17trampoline_kernelINS0_14default_configENS1_35adjacent_difference_config_selectorILb0EdEEZNS1_24adjacent_difference_implIS3_Lb0ELb0EPdS7_N6thrust23THRUST_200600_302600_NS5minusIdEEEE10hipError_tPvRmT2_T3_mT4_P12ihipStream_tbEUlT_E_NS1_11comp_targetILNS1_3genE2ELNS1_11target_archE906ELNS1_3gpuE6ELNS1_3repE0EEENS1_30default_config_static_selectorELNS0_4arch9wavefront6targetE1EEEvT1_
                                        ; -- End function
	.section	.AMDGPU.csdata,"",@progbits
; Kernel info:
; codeLenInByte = 0
; NumSgprs: 4
; NumVgprs: 0
; NumAgprs: 0
; TotalNumVgprs: 0
; ScratchSize: 0
; MemoryBound: 0
; FloatMode: 240
; IeeeMode: 1
; LDSByteSize: 0 bytes/workgroup (compile time only)
; SGPRBlocks: 0
; VGPRBlocks: 0
; NumSGPRsForWavesPerEU: 4
; NumVGPRsForWavesPerEU: 1
; AccumOffset: 4
; Occupancy: 8
; WaveLimiterHint : 0
; COMPUTE_PGM_RSRC2:SCRATCH_EN: 0
; COMPUTE_PGM_RSRC2:USER_SGPR: 6
; COMPUTE_PGM_RSRC2:TRAP_HANDLER: 0
; COMPUTE_PGM_RSRC2:TGID_X_EN: 1
; COMPUTE_PGM_RSRC2:TGID_Y_EN: 0
; COMPUTE_PGM_RSRC2:TGID_Z_EN: 0
; COMPUTE_PGM_RSRC2:TIDIG_COMP_CNT: 0
; COMPUTE_PGM_RSRC3_GFX90A:ACCUM_OFFSET: 0
; COMPUTE_PGM_RSRC3_GFX90A:TG_SPLIT: 0
	.section	.text._ZN7rocprim17ROCPRIM_400000_NS6detail17trampoline_kernelINS0_14default_configENS1_35adjacent_difference_config_selectorILb0EdEEZNS1_24adjacent_difference_implIS3_Lb0ELb0EPdS7_N6thrust23THRUST_200600_302600_NS5minusIdEEEE10hipError_tPvRmT2_T3_mT4_P12ihipStream_tbEUlT_E_NS1_11comp_targetILNS1_3genE9ELNS1_11target_archE1100ELNS1_3gpuE3ELNS1_3repE0EEENS1_30default_config_static_selectorELNS0_4arch9wavefront6targetE1EEEvT1_,"axG",@progbits,_ZN7rocprim17ROCPRIM_400000_NS6detail17trampoline_kernelINS0_14default_configENS1_35adjacent_difference_config_selectorILb0EdEEZNS1_24adjacent_difference_implIS3_Lb0ELb0EPdS7_N6thrust23THRUST_200600_302600_NS5minusIdEEEE10hipError_tPvRmT2_T3_mT4_P12ihipStream_tbEUlT_E_NS1_11comp_targetILNS1_3genE9ELNS1_11target_archE1100ELNS1_3gpuE3ELNS1_3repE0EEENS1_30default_config_static_selectorELNS0_4arch9wavefront6targetE1EEEvT1_,comdat
	.protected	_ZN7rocprim17ROCPRIM_400000_NS6detail17trampoline_kernelINS0_14default_configENS1_35adjacent_difference_config_selectorILb0EdEEZNS1_24adjacent_difference_implIS3_Lb0ELb0EPdS7_N6thrust23THRUST_200600_302600_NS5minusIdEEEE10hipError_tPvRmT2_T3_mT4_P12ihipStream_tbEUlT_E_NS1_11comp_targetILNS1_3genE9ELNS1_11target_archE1100ELNS1_3gpuE3ELNS1_3repE0EEENS1_30default_config_static_selectorELNS0_4arch9wavefront6targetE1EEEvT1_ ; -- Begin function _ZN7rocprim17ROCPRIM_400000_NS6detail17trampoline_kernelINS0_14default_configENS1_35adjacent_difference_config_selectorILb0EdEEZNS1_24adjacent_difference_implIS3_Lb0ELb0EPdS7_N6thrust23THRUST_200600_302600_NS5minusIdEEEE10hipError_tPvRmT2_T3_mT4_P12ihipStream_tbEUlT_E_NS1_11comp_targetILNS1_3genE9ELNS1_11target_archE1100ELNS1_3gpuE3ELNS1_3repE0EEENS1_30default_config_static_selectorELNS0_4arch9wavefront6targetE1EEEvT1_
	.globl	_ZN7rocprim17ROCPRIM_400000_NS6detail17trampoline_kernelINS0_14default_configENS1_35adjacent_difference_config_selectorILb0EdEEZNS1_24adjacent_difference_implIS3_Lb0ELb0EPdS7_N6thrust23THRUST_200600_302600_NS5minusIdEEEE10hipError_tPvRmT2_T3_mT4_P12ihipStream_tbEUlT_E_NS1_11comp_targetILNS1_3genE9ELNS1_11target_archE1100ELNS1_3gpuE3ELNS1_3repE0EEENS1_30default_config_static_selectorELNS0_4arch9wavefront6targetE1EEEvT1_
	.p2align	8
	.type	_ZN7rocprim17ROCPRIM_400000_NS6detail17trampoline_kernelINS0_14default_configENS1_35adjacent_difference_config_selectorILb0EdEEZNS1_24adjacent_difference_implIS3_Lb0ELb0EPdS7_N6thrust23THRUST_200600_302600_NS5minusIdEEEE10hipError_tPvRmT2_T3_mT4_P12ihipStream_tbEUlT_E_NS1_11comp_targetILNS1_3genE9ELNS1_11target_archE1100ELNS1_3gpuE3ELNS1_3repE0EEENS1_30default_config_static_selectorELNS0_4arch9wavefront6targetE1EEEvT1_,@function
_ZN7rocprim17ROCPRIM_400000_NS6detail17trampoline_kernelINS0_14default_configENS1_35adjacent_difference_config_selectorILb0EdEEZNS1_24adjacent_difference_implIS3_Lb0ELb0EPdS7_N6thrust23THRUST_200600_302600_NS5minusIdEEEE10hipError_tPvRmT2_T3_mT4_P12ihipStream_tbEUlT_E_NS1_11comp_targetILNS1_3genE9ELNS1_11target_archE1100ELNS1_3gpuE3ELNS1_3repE0EEENS1_30default_config_static_selectorELNS0_4arch9wavefront6targetE1EEEvT1_: ; @_ZN7rocprim17ROCPRIM_400000_NS6detail17trampoline_kernelINS0_14default_configENS1_35adjacent_difference_config_selectorILb0EdEEZNS1_24adjacent_difference_implIS3_Lb0ELb0EPdS7_N6thrust23THRUST_200600_302600_NS5minusIdEEEE10hipError_tPvRmT2_T3_mT4_P12ihipStream_tbEUlT_E_NS1_11comp_targetILNS1_3genE9ELNS1_11target_archE1100ELNS1_3gpuE3ELNS1_3repE0EEENS1_30default_config_static_selectorELNS0_4arch9wavefront6targetE1EEEvT1_
; %bb.0:
	.section	.rodata,"a",@progbits
	.p2align	6, 0x0
	.amdhsa_kernel _ZN7rocprim17ROCPRIM_400000_NS6detail17trampoline_kernelINS0_14default_configENS1_35adjacent_difference_config_selectorILb0EdEEZNS1_24adjacent_difference_implIS3_Lb0ELb0EPdS7_N6thrust23THRUST_200600_302600_NS5minusIdEEEE10hipError_tPvRmT2_T3_mT4_P12ihipStream_tbEUlT_E_NS1_11comp_targetILNS1_3genE9ELNS1_11target_archE1100ELNS1_3gpuE3ELNS1_3repE0EEENS1_30default_config_static_selectorELNS0_4arch9wavefront6targetE1EEEvT1_
		.amdhsa_group_segment_fixed_size 0
		.amdhsa_private_segment_fixed_size 0
		.amdhsa_kernarg_size 56
		.amdhsa_user_sgpr_count 6
		.amdhsa_user_sgpr_private_segment_buffer 1
		.amdhsa_user_sgpr_dispatch_ptr 0
		.amdhsa_user_sgpr_queue_ptr 0
		.amdhsa_user_sgpr_kernarg_segment_ptr 1
		.amdhsa_user_sgpr_dispatch_id 0
		.amdhsa_user_sgpr_flat_scratch_init 0
		.amdhsa_user_sgpr_kernarg_preload_length 0
		.amdhsa_user_sgpr_kernarg_preload_offset 0
		.amdhsa_user_sgpr_private_segment_size 0
		.amdhsa_uses_dynamic_stack 0
		.amdhsa_system_sgpr_private_segment_wavefront_offset 0
		.amdhsa_system_sgpr_workgroup_id_x 1
		.amdhsa_system_sgpr_workgroup_id_y 0
		.amdhsa_system_sgpr_workgroup_id_z 0
		.amdhsa_system_sgpr_workgroup_info 0
		.amdhsa_system_vgpr_workitem_id 0
		.amdhsa_next_free_vgpr 1
		.amdhsa_next_free_sgpr 0
		.amdhsa_accum_offset 4
		.amdhsa_reserve_vcc 0
		.amdhsa_reserve_flat_scratch 0
		.amdhsa_float_round_mode_32 0
		.amdhsa_float_round_mode_16_64 0
		.amdhsa_float_denorm_mode_32 3
		.amdhsa_float_denorm_mode_16_64 3
		.amdhsa_dx10_clamp 1
		.amdhsa_ieee_mode 1
		.amdhsa_fp16_overflow 0
		.amdhsa_tg_split 0
		.amdhsa_exception_fp_ieee_invalid_op 0
		.amdhsa_exception_fp_denorm_src 0
		.amdhsa_exception_fp_ieee_div_zero 0
		.amdhsa_exception_fp_ieee_overflow 0
		.amdhsa_exception_fp_ieee_underflow 0
		.amdhsa_exception_fp_ieee_inexact 0
		.amdhsa_exception_int_div_zero 0
	.end_amdhsa_kernel
	.section	.text._ZN7rocprim17ROCPRIM_400000_NS6detail17trampoline_kernelINS0_14default_configENS1_35adjacent_difference_config_selectorILb0EdEEZNS1_24adjacent_difference_implIS3_Lb0ELb0EPdS7_N6thrust23THRUST_200600_302600_NS5minusIdEEEE10hipError_tPvRmT2_T3_mT4_P12ihipStream_tbEUlT_E_NS1_11comp_targetILNS1_3genE9ELNS1_11target_archE1100ELNS1_3gpuE3ELNS1_3repE0EEENS1_30default_config_static_selectorELNS0_4arch9wavefront6targetE1EEEvT1_,"axG",@progbits,_ZN7rocprim17ROCPRIM_400000_NS6detail17trampoline_kernelINS0_14default_configENS1_35adjacent_difference_config_selectorILb0EdEEZNS1_24adjacent_difference_implIS3_Lb0ELb0EPdS7_N6thrust23THRUST_200600_302600_NS5minusIdEEEE10hipError_tPvRmT2_T3_mT4_P12ihipStream_tbEUlT_E_NS1_11comp_targetILNS1_3genE9ELNS1_11target_archE1100ELNS1_3gpuE3ELNS1_3repE0EEENS1_30default_config_static_selectorELNS0_4arch9wavefront6targetE1EEEvT1_,comdat
.Lfunc_end422:
	.size	_ZN7rocprim17ROCPRIM_400000_NS6detail17trampoline_kernelINS0_14default_configENS1_35adjacent_difference_config_selectorILb0EdEEZNS1_24adjacent_difference_implIS3_Lb0ELb0EPdS7_N6thrust23THRUST_200600_302600_NS5minusIdEEEE10hipError_tPvRmT2_T3_mT4_P12ihipStream_tbEUlT_E_NS1_11comp_targetILNS1_3genE9ELNS1_11target_archE1100ELNS1_3gpuE3ELNS1_3repE0EEENS1_30default_config_static_selectorELNS0_4arch9wavefront6targetE1EEEvT1_, .Lfunc_end422-_ZN7rocprim17ROCPRIM_400000_NS6detail17trampoline_kernelINS0_14default_configENS1_35adjacent_difference_config_selectorILb0EdEEZNS1_24adjacent_difference_implIS3_Lb0ELb0EPdS7_N6thrust23THRUST_200600_302600_NS5minusIdEEEE10hipError_tPvRmT2_T3_mT4_P12ihipStream_tbEUlT_E_NS1_11comp_targetILNS1_3genE9ELNS1_11target_archE1100ELNS1_3gpuE3ELNS1_3repE0EEENS1_30default_config_static_selectorELNS0_4arch9wavefront6targetE1EEEvT1_
                                        ; -- End function
	.section	.AMDGPU.csdata,"",@progbits
; Kernel info:
; codeLenInByte = 0
; NumSgprs: 4
; NumVgprs: 0
; NumAgprs: 0
; TotalNumVgprs: 0
; ScratchSize: 0
; MemoryBound: 0
; FloatMode: 240
; IeeeMode: 1
; LDSByteSize: 0 bytes/workgroup (compile time only)
; SGPRBlocks: 0
; VGPRBlocks: 0
; NumSGPRsForWavesPerEU: 4
; NumVGPRsForWavesPerEU: 1
; AccumOffset: 4
; Occupancy: 8
; WaveLimiterHint : 0
; COMPUTE_PGM_RSRC2:SCRATCH_EN: 0
; COMPUTE_PGM_RSRC2:USER_SGPR: 6
; COMPUTE_PGM_RSRC2:TRAP_HANDLER: 0
; COMPUTE_PGM_RSRC2:TGID_X_EN: 1
; COMPUTE_PGM_RSRC2:TGID_Y_EN: 0
; COMPUTE_PGM_RSRC2:TGID_Z_EN: 0
; COMPUTE_PGM_RSRC2:TIDIG_COMP_CNT: 0
; COMPUTE_PGM_RSRC3_GFX90A:ACCUM_OFFSET: 0
; COMPUTE_PGM_RSRC3_GFX90A:TG_SPLIT: 0
	.section	.text._ZN7rocprim17ROCPRIM_400000_NS6detail17trampoline_kernelINS0_14default_configENS1_35adjacent_difference_config_selectorILb0EdEEZNS1_24adjacent_difference_implIS3_Lb0ELb0EPdS7_N6thrust23THRUST_200600_302600_NS5minusIdEEEE10hipError_tPvRmT2_T3_mT4_P12ihipStream_tbEUlT_E_NS1_11comp_targetILNS1_3genE8ELNS1_11target_archE1030ELNS1_3gpuE2ELNS1_3repE0EEENS1_30default_config_static_selectorELNS0_4arch9wavefront6targetE1EEEvT1_,"axG",@progbits,_ZN7rocprim17ROCPRIM_400000_NS6detail17trampoline_kernelINS0_14default_configENS1_35adjacent_difference_config_selectorILb0EdEEZNS1_24adjacent_difference_implIS3_Lb0ELb0EPdS7_N6thrust23THRUST_200600_302600_NS5minusIdEEEE10hipError_tPvRmT2_T3_mT4_P12ihipStream_tbEUlT_E_NS1_11comp_targetILNS1_3genE8ELNS1_11target_archE1030ELNS1_3gpuE2ELNS1_3repE0EEENS1_30default_config_static_selectorELNS0_4arch9wavefront6targetE1EEEvT1_,comdat
	.protected	_ZN7rocprim17ROCPRIM_400000_NS6detail17trampoline_kernelINS0_14default_configENS1_35adjacent_difference_config_selectorILb0EdEEZNS1_24adjacent_difference_implIS3_Lb0ELb0EPdS7_N6thrust23THRUST_200600_302600_NS5minusIdEEEE10hipError_tPvRmT2_T3_mT4_P12ihipStream_tbEUlT_E_NS1_11comp_targetILNS1_3genE8ELNS1_11target_archE1030ELNS1_3gpuE2ELNS1_3repE0EEENS1_30default_config_static_selectorELNS0_4arch9wavefront6targetE1EEEvT1_ ; -- Begin function _ZN7rocprim17ROCPRIM_400000_NS6detail17trampoline_kernelINS0_14default_configENS1_35adjacent_difference_config_selectorILb0EdEEZNS1_24adjacent_difference_implIS3_Lb0ELb0EPdS7_N6thrust23THRUST_200600_302600_NS5minusIdEEEE10hipError_tPvRmT2_T3_mT4_P12ihipStream_tbEUlT_E_NS1_11comp_targetILNS1_3genE8ELNS1_11target_archE1030ELNS1_3gpuE2ELNS1_3repE0EEENS1_30default_config_static_selectorELNS0_4arch9wavefront6targetE1EEEvT1_
	.globl	_ZN7rocprim17ROCPRIM_400000_NS6detail17trampoline_kernelINS0_14default_configENS1_35adjacent_difference_config_selectorILb0EdEEZNS1_24adjacent_difference_implIS3_Lb0ELb0EPdS7_N6thrust23THRUST_200600_302600_NS5minusIdEEEE10hipError_tPvRmT2_T3_mT4_P12ihipStream_tbEUlT_E_NS1_11comp_targetILNS1_3genE8ELNS1_11target_archE1030ELNS1_3gpuE2ELNS1_3repE0EEENS1_30default_config_static_selectorELNS0_4arch9wavefront6targetE1EEEvT1_
	.p2align	8
	.type	_ZN7rocprim17ROCPRIM_400000_NS6detail17trampoline_kernelINS0_14default_configENS1_35adjacent_difference_config_selectorILb0EdEEZNS1_24adjacent_difference_implIS3_Lb0ELb0EPdS7_N6thrust23THRUST_200600_302600_NS5minusIdEEEE10hipError_tPvRmT2_T3_mT4_P12ihipStream_tbEUlT_E_NS1_11comp_targetILNS1_3genE8ELNS1_11target_archE1030ELNS1_3gpuE2ELNS1_3repE0EEENS1_30default_config_static_selectorELNS0_4arch9wavefront6targetE1EEEvT1_,@function
_ZN7rocprim17ROCPRIM_400000_NS6detail17trampoline_kernelINS0_14default_configENS1_35adjacent_difference_config_selectorILb0EdEEZNS1_24adjacent_difference_implIS3_Lb0ELb0EPdS7_N6thrust23THRUST_200600_302600_NS5minusIdEEEE10hipError_tPvRmT2_T3_mT4_P12ihipStream_tbEUlT_E_NS1_11comp_targetILNS1_3genE8ELNS1_11target_archE1030ELNS1_3gpuE2ELNS1_3repE0EEENS1_30default_config_static_selectorELNS0_4arch9wavefront6targetE1EEEvT1_: ; @_ZN7rocprim17ROCPRIM_400000_NS6detail17trampoline_kernelINS0_14default_configENS1_35adjacent_difference_config_selectorILb0EdEEZNS1_24adjacent_difference_implIS3_Lb0ELb0EPdS7_N6thrust23THRUST_200600_302600_NS5minusIdEEEE10hipError_tPvRmT2_T3_mT4_P12ihipStream_tbEUlT_E_NS1_11comp_targetILNS1_3genE8ELNS1_11target_archE1030ELNS1_3gpuE2ELNS1_3repE0EEENS1_30default_config_static_selectorELNS0_4arch9wavefront6targetE1EEEvT1_
; %bb.0:
	.section	.rodata,"a",@progbits
	.p2align	6, 0x0
	.amdhsa_kernel _ZN7rocprim17ROCPRIM_400000_NS6detail17trampoline_kernelINS0_14default_configENS1_35adjacent_difference_config_selectorILb0EdEEZNS1_24adjacent_difference_implIS3_Lb0ELb0EPdS7_N6thrust23THRUST_200600_302600_NS5minusIdEEEE10hipError_tPvRmT2_T3_mT4_P12ihipStream_tbEUlT_E_NS1_11comp_targetILNS1_3genE8ELNS1_11target_archE1030ELNS1_3gpuE2ELNS1_3repE0EEENS1_30default_config_static_selectorELNS0_4arch9wavefront6targetE1EEEvT1_
		.amdhsa_group_segment_fixed_size 0
		.amdhsa_private_segment_fixed_size 0
		.amdhsa_kernarg_size 56
		.amdhsa_user_sgpr_count 6
		.amdhsa_user_sgpr_private_segment_buffer 1
		.amdhsa_user_sgpr_dispatch_ptr 0
		.amdhsa_user_sgpr_queue_ptr 0
		.amdhsa_user_sgpr_kernarg_segment_ptr 1
		.amdhsa_user_sgpr_dispatch_id 0
		.amdhsa_user_sgpr_flat_scratch_init 0
		.amdhsa_user_sgpr_kernarg_preload_length 0
		.amdhsa_user_sgpr_kernarg_preload_offset 0
		.amdhsa_user_sgpr_private_segment_size 0
		.amdhsa_uses_dynamic_stack 0
		.amdhsa_system_sgpr_private_segment_wavefront_offset 0
		.amdhsa_system_sgpr_workgroup_id_x 1
		.amdhsa_system_sgpr_workgroup_id_y 0
		.amdhsa_system_sgpr_workgroup_id_z 0
		.amdhsa_system_sgpr_workgroup_info 0
		.amdhsa_system_vgpr_workitem_id 0
		.amdhsa_next_free_vgpr 1
		.amdhsa_next_free_sgpr 0
		.amdhsa_accum_offset 4
		.amdhsa_reserve_vcc 0
		.amdhsa_reserve_flat_scratch 0
		.amdhsa_float_round_mode_32 0
		.amdhsa_float_round_mode_16_64 0
		.amdhsa_float_denorm_mode_32 3
		.amdhsa_float_denorm_mode_16_64 3
		.amdhsa_dx10_clamp 1
		.amdhsa_ieee_mode 1
		.amdhsa_fp16_overflow 0
		.amdhsa_tg_split 0
		.amdhsa_exception_fp_ieee_invalid_op 0
		.amdhsa_exception_fp_denorm_src 0
		.amdhsa_exception_fp_ieee_div_zero 0
		.amdhsa_exception_fp_ieee_overflow 0
		.amdhsa_exception_fp_ieee_underflow 0
		.amdhsa_exception_fp_ieee_inexact 0
		.amdhsa_exception_int_div_zero 0
	.end_amdhsa_kernel
	.section	.text._ZN7rocprim17ROCPRIM_400000_NS6detail17trampoline_kernelINS0_14default_configENS1_35adjacent_difference_config_selectorILb0EdEEZNS1_24adjacent_difference_implIS3_Lb0ELb0EPdS7_N6thrust23THRUST_200600_302600_NS5minusIdEEEE10hipError_tPvRmT2_T3_mT4_P12ihipStream_tbEUlT_E_NS1_11comp_targetILNS1_3genE8ELNS1_11target_archE1030ELNS1_3gpuE2ELNS1_3repE0EEENS1_30default_config_static_selectorELNS0_4arch9wavefront6targetE1EEEvT1_,"axG",@progbits,_ZN7rocprim17ROCPRIM_400000_NS6detail17trampoline_kernelINS0_14default_configENS1_35adjacent_difference_config_selectorILb0EdEEZNS1_24adjacent_difference_implIS3_Lb0ELb0EPdS7_N6thrust23THRUST_200600_302600_NS5minusIdEEEE10hipError_tPvRmT2_T3_mT4_P12ihipStream_tbEUlT_E_NS1_11comp_targetILNS1_3genE8ELNS1_11target_archE1030ELNS1_3gpuE2ELNS1_3repE0EEENS1_30default_config_static_selectorELNS0_4arch9wavefront6targetE1EEEvT1_,comdat
.Lfunc_end423:
	.size	_ZN7rocprim17ROCPRIM_400000_NS6detail17trampoline_kernelINS0_14default_configENS1_35adjacent_difference_config_selectorILb0EdEEZNS1_24adjacent_difference_implIS3_Lb0ELb0EPdS7_N6thrust23THRUST_200600_302600_NS5minusIdEEEE10hipError_tPvRmT2_T3_mT4_P12ihipStream_tbEUlT_E_NS1_11comp_targetILNS1_3genE8ELNS1_11target_archE1030ELNS1_3gpuE2ELNS1_3repE0EEENS1_30default_config_static_selectorELNS0_4arch9wavefront6targetE1EEEvT1_, .Lfunc_end423-_ZN7rocprim17ROCPRIM_400000_NS6detail17trampoline_kernelINS0_14default_configENS1_35adjacent_difference_config_selectorILb0EdEEZNS1_24adjacent_difference_implIS3_Lb0ELb0EPdS7_N6thrust23THRUST_200600_302600_NS5minusIdEEEE10hipError_tPvRmT2_T3_mT4_P12ihipStream_tbEUlT_E_NS1_11comp_targetILNS1_3genE8ELNS1_11target_archE1030ELNS1_3gpuE2ELNS1_3repE0EEENS1_30default_config_static_selectorELNS0_4arch9wavefront6targetE1EEEvT1_
                                        ; -- End function
	.section	.AMDGPU.csdata,"",@progbits
; Kernel info:
; codeLenInByte = 0
; NumSgprs: 4
; NumVgprs: 0
; NumAgprs: 0
; TotalNumVgprs: 0
; ScratchSize: 0
; MemoryBound: 0
; FloatMode: 240
; IeeeMode: 1
; LDSByteSize: 0 bytes/workgroup (compile time only)
; SGPRBlocks: 0
; VGPRBlocks: 0
; NumSGPRsForWavesPerEU: 4
; NumVGPRsForWavesPerEU: 1
; AccumOffset: 4
; Occupancy: 8
; WaveLimiterHint : 0
; COMPUTE_PGM_RSRC2:SCRATCH_EN: 0
; COMPUTE_PGM_RSRC2:USER_SGPR: 6
; COMPUTE_PGM_RSRC2:TRAP_HANDLER: 0
; COMPUTE_PGM_RSRC2:TGID_X_EN: 1
; COMPUTE_PGM_RSRC2:TGID_Y_EN: 0
; COMPUTE_PGM_RSRC2:TGID_Z_EN: 0
; COMPUTE_PGM_RSRC2:TIDIG_COMP_CNT: 0
; COMPUTE_PGM_RSRC3_GFX90A:ACCUM_OFFSET: 0
; COMPUTE_PGM_RSRC3_GFX90A:TG_SPLIT: 0
	.section	.text._ZN7rocprim17ROCPRIM_400000_NS6detail17trampoline_kernelINS0_14default_configENS1_25transform_config_selectorIdLb0EEEZNS1_14transform_implILb0ES3_S5_NS0_18transform_iteratorINS0_17counting_iteratorImlEEZNS1_24adjacent_difference_implIS3_Lb1ELb0EPdSB_N6thrust23THRUST_200600_302600_NS5minusIdEEEE10hipError_tPvRmT2_T3_mT4_P12ihipStream_tbEUlmE_dEESB_NS0_8identityIvEEEESG_SJ_SK_mSL_SN_bEUlT_E_NS1_11comp_targetILNS1_3genE0ELNS1_11target_archE4294967295ELNS1_3gpuE0ELNS1_3repE0EEENS1_30default_config_static_selectorELNS0_4arch9wavefront6targetE1EEEvT1_,"axG",@progbits,_ZN7rocprim17ROCPRIM_400000_NS6detail17trampoline_kernelINS0_14default_configENS1_25transform_config_selectorIdLb0EEEZNS1_14transform_implILb0ES3_S5_NS0_18transform_iteratorINS0_17counting_iteratorImlEEZNS1_24adjacent_difference_implIS3_Lb1ELb0EPdSB_N6thrust23THRUST_200600_302600_NS5minusIdEEEE10hipError_tPvRmT2_T3_mT4_P12ihipStream_tbEUlmE_dEESB_NS0_8identityIvEEEESG_SJ_SK_mSL_SN_bEUlT_E_NS1_11comp_targetILNS1_3genE0ELNS1_11target_archE4294967295ELNS1_3gpuE0ELNS1_3repE0EEENS1_30default_config_static_selectorELNS0_4arch9wavefront6targetE1EEEvT1_,comdat
	.protected	_ZN7rocprim17ROCPRIM_400000_NS6detail17trampoline_kernelINS0_14default_configENS1_25transform_config_selectorIdLb0EEEZNS1_14transform_implILb0ES3_S5_NS0_18transform_iteratorINS0_17counting_iteratorImlEEZNS1_24adjacent_difference_implIS3_Lb1ELb0EPdSB_N6thrust23THRUST_200600_302600_NS5minusIdEEEE10hipError_tPvRmT2_T3_mT4_P12ihipStream_tbEUlmE_dEESB_NS0_8identityIvEEEESG_SJ_SK_mSL_SN_bEUlT_E_NS1_11comp_targetILNS1_3genE0ELNS1_11target_archE4294967295ELNS1_3gpuE0ELNS1_3repE0EEENS1_30default_config_static_selectorELNS0_4arch9wavefront6targetE1EEEvT1_ ; -- Begin function _ZN7rocprim17ROCPRIM_400000_NS6detail17trampoline_kernelINS0_14default_configENS1_25transform_config_selectorIdLb0EEEZNS1_14transform_implILb0ES3_S5_NS0_18transform_iteratorINS0_17counting_iteratorImlEEZNS1_24adjacent_difference_implIS3_Lb1ELb0EPdSB_N6thrust23THRUST_200600_302600_NS5minusIdEEEE10hipError_tPvRmT2_T3_mT4_P12ihipStream_tbEUlmE_dEESB_NS0_8identityIvEEEESG_SJ_SK_mSL_SN_bEUlT_E_NS1_11comp_targetILNS1_3genE0ELNS1_11target_archE4294967295ELNS1_3gpuE0ELNS1_3repE0EEENS1_30default_config_static_selectorELNS0_4arch9wavefront6targetE1EEEvT1_
	.globl	_ZN7rocprim17ROCPRIM_400000_NS6detail17trampoline_kernelINS0_14default_configENS1_25transform_config_selectorIdLb0EEEZNS1_14transform_implILb0ES3_S5_NS0_18transform_iteratorINS0_17counting_iteratorImlEEZNS1_24adjacent_difference_implIS3_Lb1ELb0EPdSB_N6thrust23THRUST_200600_302600_NS5minusIdEEEE10hipError_tPvRmT2_T3_mT4_P12ihipStream_tbEUlmE_dEESB_NS0_8identityIvEEEESG_SJ_SK_mSL_SN_bEUlT_E_NS1_11comp_targetILNS1_3genE0ELNS1_11target_archE4294967295ELNS1_3gpuE0ELNS1_3repE0EEENS1_30default_config_static_selectorELNS0_4arch9wavefront6targetE1EEEvT1_
	.p2align	8
	.type	_ZN7rocprim17ROCPRIM_400000_NS6detail17trampoline_kernelINS0_14default_configENS1_25transform_config_selectorIdLb0EEEZNS1_14transform_implILb0ES3_S5_NS0_18transform_iteratorINS0_17counting_iteratorImlEEZNS1_24adjacent_difference_implIS3_Lb1ELb0EPdSB_N6thrust23THRUST_200600_302600_NS5minusIdEEEE10hipError_tPvRmT2_T3_mT4_P12ihipStream_tbEUlmE_dEESB_NS0_8identityIvEEEESG_SJ_SK_mSL_SN_bEUlT_E_NS1_11comp_targetILNS1_3genE0ELNS1_11target_archE4294967295ELNS1_3gpuE0ELNS1_3repE0EEENS1_30default_config_static_selectorELNS0_4arch9wavefront6targetE1EEEvT1_,@function
_ZN7rocprim17ROCPRIM_400000_NS6detail17trampoline_kernelINS0_14default_configENS1_25transform_config_selectorIdLb0EEEZNS1_14transform_implILb0ES3_S5_NS0_18transform_iteratorINS0_17counting_iteratorImlEEZNS1_24adjacent_difference_implIS3_Lb1ELb0EPdSB_N6thrust23THRUST_200600_302600_NS5minusIdEEEE10hipError_tPvRmT2_T3_mT4_P12ihipStream_tbEUlmE_dEESB_NS0_8identityIvEEEESG_SJ_SK_mSL_SN_bEUlT_E_NS1_11comp_targetILNS1_3genE0ELNS1_11target_archE4294967295ELNS1_3gpuE0ELNS1_3repE0EEENS1_30default_config_static_selectorELNS0_4arch9wavefront6targetE1EEEvT1_: ; @_ZN7rocprim17ROCPRIM_400000_NS6detail17trampoline_kernelINS0_14default_configENS1_25transform_config_selectorIdLb0EEEZNS1_14transform_implILb0ES3_S5_NS0_18transform_iteratorINS0_17counting_iteratorImlEEZNS1_24adjacent_difference_implIS3_Lb1ELb0EPdSB_N6thrust23THRUST_200600_302600_NS5minusIdEEEE10hipError_tPvRmT2_T3_mT4_P12ihipStream_tbEUlmE_dEESB_NS0_8identityIvEEEESG_SJ_SK_mSL_SN_bEUlT_E_NS1_11comp_targetILNS1_3genE0ELNS1_11target_archE4294967295ELNS1_3gpuE0ELNS1_3repE0EEENS1_30default_config_static_selectorELNS0_4arch9wavefront6targetE1EEEvT1_
; %bb.0:
	.section	.rodata,"a",@progbits
	.p2align	6, 0x0
	.amdhsa_kernel _ZN7rocprim17ROCPRIM_400000_NS6detail17trampoline_kernelINS0_14default_configENS1_25transform_config_selectorIdLb0EEEZNS1_14transform_implILb0ES3_S5_NS0_18transform_iteratorINS0_17counting_iteratorImlEEZNS1_24adjacent_difference_implIS3_Lb1ELb0EPdSB_N6thrust23THRUST_200600_302600_NS5minusIdEEEE10hipError_tPvRmT2_T3_mT4_P12ihipStream_tbEUlmE_dEESB_NS0_8identityIvEEEESG_SJ_SK_mSL_SN_bEUlT_E_NS1_11comp_targetILNS1_3genE0ELNS1_11target_archE4294967295ELNS1_3gpuE0ELNS1_3repE0EEENS1_30default_config_static_selectorELNS0_4arch9wavefront6targetE1EEEvT1_
		.amdhsa_group_segment_fixed_size 0
		.amdhsa_private_segment_fixed_size 0
		.amdhsa_kernarg_size 56
		.amdhsa_user_sgpr_count 6
		.amdhsa_user_sgpr_private_segment_buffer 1
		.amdhsa_user_sgpr_dispatch_ptr 0
		.amdhsa_user_sgpr_queue_ptr 0
		.amdhsa_user_sgpr_kernarg_segment_ptr 1
		.amdhsa_user_sgpr_dispatch_id 0
		.amdhsa_user_sgpr_flat_scratch_init 0
		.amdhsa_user_sgpr_kernarg_preload_length 0
		.amdhsa_user_sgpr_kernarg_preload_offset 0
		.amdhsa_user_sgpr_private_segment_size 0
		.amdhsa_uses_dynamic_stack 0
		.amdhsa_system_sgpr_private_segment_wavefront_offset 0
		.amdhsa_system_sgpr_workgroup_id_x 1
		.amdhsa_system_sgpr_workgroup_id_y 0
		.amdhsa_system_sgpr_workgroup_id_z 0
		.amdhsa_system_sgpr_workgroup_info 0
		.amdhsa_system_vgpr_workitem_id 0
		.amdhsa_next_free_vgpr 1
		.amdhsa_next_free_sgpr 0
		.amdhsa_accum_offset 4
		.amdhsa_reserve_vcc 0
		.amdhsa_reserve_flat_scratch 0
		.amdhsa_float_round_mode_32 0
		.amdhsa_float_round_mode_16_64 0
		.amdhsa_float_denorm_mode_32 3
		.amdhsa_float_denorm_mode_16_64 3
		.amdhsa_dx10_clamp 1
		.amdhsa_ieee_mode 1
		.amdhsa_fp16_overflow 0
		.amdhsa_tg_split 0
		.amdhsa_exception_fp_ieee_invalid_op 0
		.amdhsa_exception_fp_denorm_src 0
		.amdhsa_exception_fp_ieee_div_zero 0
		.amdhsa_exception_fp_ieee_overflow 0
		.amdhsa_exception_fp_ieee_underflow 0
		.amdhsa_exception_fp_ieee_inexact 0
		.amdhsa_exception_int_div_zero 0
	.end_amdhsa_kernel
	.section	.text._ZN7rocprim17ROCPRIM_400000_NS6detail17trampoline_kernelINS0_14default_configENS1_25transform_config_selectorIdLb0EEEZNS1_14transform_implILb0ES3_S5_NS0_18transform_iteratorINS0_17counting_iteratorImlEEZNS1_24adjacent_difference_implIS3_Lb1ELb0EPdSB_N6thrust23THRUST_200600_302600_NS5minusIdEEEE10hipError_tPvRmT2_T3_mT4_P12ihipStream_tbEUlmE_dEESB_NS0_8identityIvEEEESG_SJ_SK_mSL_SN_bEUlT_E_NS1_11comp_targetILNS1_3genE0ELNS1_11target_archE4294967295ELNS1_3gpuE0ELNS1_3repE0EEENS1_30default_config_static_selectorELNS0_4arch9wavefront6targetE1EEEvT1_,"axG",@progbits,_ZN7rocprim17ROCPRIM_400000_NS6detail17trampoline_kernelINS0_14default_configENS1_25transform_config_selectorIdLb0EEEZNS1_14transform_implILb0ES3_S5_NS0_18transform_iteratorINS0_17counting_iteratorImlEEZNS1_24adjacent_difference_implIS3_Lb1ELb0EPdSB_N6thrust23THRUST_200600_302600_NS5minusIdEEEE10hipError_tPvRmT2_T3_mT4_P12ihipStream_tbEUlmE_dEESB_NS0_8identityIvEEEESG_SJ_SK_mSL_SN_bEUlT_E_NS1_11comp_targetILNS1_3genE0ELNS1_11target_archE4294967295ELNS1_3gpuE0ELNS1_3repE0EEENS1_30default_config_static_selectorELNS0_4arch9wavefront6targetE1EEEvT1_,comdat
.Lfunc_end424:
	.size	_ZN7rocprim17ROCPRIM_400000_NS6detail17trampoline_kernelINS0_14default_configENS1_25transform_config_selectorIdLb0EEEZNS1_14transform_implILb0ES3_S5_NS0_18transform_iteratorINS0_17counting_iteratorImlEEZNS1_24adjacent_difference_implIS3_Lb1ELb0EPdSB_N6thrust23THRUST_200600_302600_NS5minusIdEEEE10hipError_tPvRmT2_T3_mT4_P12ihipStream_tbEUlmE_dEESB_NS0_8identityIvEEEESG_SJ_SK_mSL_SN_bEUlT_E_NS1_11comp_targetILNS1_3genE0ELNS1_11target_archE4294967295ELNS1_3gpuE0ELNS1_3repE0EEENS1_30default_config_static_selectorELNS0_4arch9wavefront6targetE1EEEvT1_, .Lfunc_end424-_ZN7rocprim17ROCPRIM_400000_NS6detail17trampoline_kernelINS0_14default_configENS1_25transform_config_selectorIdLb0EEEZNS1_14transform_implILb0ES3_S5_NS0_18transform_iteratorINS0_17counting_iteratorImlEEZNS1_24adjacent_difference_implIS3_Lb1ELb0EPdSB_N6thrust23THRUST_200600_302600_NS5minusIdEEEE10hipError_tPvRmT2_T3_mT4_P12ihipStream_tbEUlmE_dEESB_NS0_8identityIvEEEESG_SJ_SK_mSL_SN_bEUlT_E_NS1_11comp_targetILNS1_3genE0ELNS1_11target_archE4294967295ELNS1_3gpuE0ELNS1_3repE0EEENS1_30default_config_static_selectorELNS0_4arch9wavefront6targetE1EEEvT1_
                                        ; -- End function
	.section	.AMDGPU.csdata,"",@progbits
; Kernel info:
; codeLenInByte = 0
; NumSgprs: 4
; NumVgprs: 0
; NumAgprs: 0
; TotalNumVgprs: 0
; ScratchSize: 0
; MemoryBound: 0
; FloatMode: 240
; IeeeMode: 1
; LDSByteSize: 0 bytes/workgroup (compile time only)
; SGPRBlocks: 0
; VGPRBlocks: 0
; NumSGPRsForWavesPerEU: 4
; NumVGPRsForWavesPerEU: 1
; AccumOffset: 4
; Occupancy: 8
; WaveLimiterHint : 0
; COMPUTE_PGM_RSRC2:SCRATCH_EN: 0
; COMPUTE_PGM_RSRC2:USER_SGPR: 6
; COMPUTE_PGM_RSRC2:TRAP_HANDLER: 0
; COMPUTE_PGM_RSRC2:TGID_X_EN: 1
; COMPUTE_PGM_RSRC2:TGID_Y_EN: 0
; COMPUTE_PGM_RSRC2:TGID_Z_EN: 0
; COMPUTE_PGM_RSRC2:TIDIG_COMP_CNT: 0
; COMPUTE_PGM_RSRC3_GFX90A:ACCUM_OFFSET: 0
; COMPUTE_PGM_RSRC3_GFX90A:TG_SPLIT: 0
	.section	.text._ZN7rocprim17ROCPRIM_400000_NS6detail17trampoline_kernelINS0_14default_configENS1_25transform_config_selectorIdLb0EEEZNS1_14transform_implILb0ES3_S5_NS0_18transform_iteratorINS0_17counting_iteratorImlEEZNS1_24adjacent_difference_implIS3_Lb1ELb0EPdSB_N6thrust23THRUST_200600_302600_NS5minusIdEEEE10hipError_tPvRmT2_T3_mT4_P12ihipStream_tbEUlmE_dEESB_NS0_8identityIvEEEESG_SJ_SK_mSL_SN_bEUlT_E_NS1_11comp_targetILNS1_3genE5ELNS1_11target_archE942ELNS1_3gpuE9ELNS1_3repE0EEENS1_30default_config_static_selectorELNS0_4arch9wavefront6targetE1EEEvT1_,"axG",@progbits,_ZN7rocprim17ROCPRIM_400000_NS6detail17trampoline_kernelINS0_14default_configENS1_25transform_config_selectorIdLb0EEEZNS1_14transform_implILb0ES3_S5_NS0_18transform_iteratorINS0_17counting_iteratorImlEEZNS1_24adjacent_difference_implIS3_Lb1ELb0EPdSB_N6thrust23THRUST_200600_302600_NS5minusIdEEEE10hipError_tPvRmT2_T3_mT4_P12ihipStream_tbEUlmE_dEESB_NS0_8identityIvEEEESG_SJ_SK_mSL_SN_bEUlT_E_NS1_11comp_targetILNS1_3genE5ELNS1_11target_archE942ELNS1_3gpuE9ELNS1_3repE0EEENS1_30default_config_static_selectorELNS0_4arch9wavefront6targetE1EEEvT1_,comdat
	.protected	_ZN7rocprim17ROCPRIM_400000_NS6detail17trampoline_kernelINS0_14default_configENS1_25transform_config_selectorIdLb0EEEZNS1_14transform_implILb0ES3_S5_NS0_18transform_iteratorINS0_17counting_iteratorImlEEZNS1_24adjacent_difference_implIS3_Lb1ELb0EPdSB_N6thrust23THRUST_200600_302600_NS5minusIdEEEE10hipError_tPvRmT2_T3_mT4_P12ihipStream_tbEUlmE_dEESB_NS0_8identityIvEEEESG_SJ_SK_mSL_SN_bEUlT_E_NS1_11comp_targetILNS1_3genE5ELNS1_11target_archE942ELNS1_3gpuE9ELNS1_3repE0EEENS1_30default_config_static_selectorELNS0_4arch9wavefront6targetE1EEEvT1_ ; -- Begin function _ZN7rocprim17ROCPRIM_400000_NS6detail17trampoline_kernelINS0_14default_configENS1_25transform_config_selectorIdLb0EEEZNS1_14transform_implILb0ES3_S5_NS0_18transform_iteratorINS0_17counting_iteratorImlEEZNS1_24adjacent_difference_implIS3_Lb1ELb0EPdSB_N6thrust23THRUST_200600_302600_NS5minusIdEEEE10hipError_tPvRmT2_T3_mT4_P12ihipStream_tbEUlmE_dEESB_NS0_8identityIvEEEESG_SJ_SK_mSL_SN_bEUlT_E_NS1_11comp_targetILNS1_3genE5ELNS1_11target_archE942ELNS1_3gpuE9ELNS1_3repE0EEENS1_30default_config_static_selectorELNS0_4arch9wavefront6targetE1EEEvT1_
	.globl	_ZN7rocprim17ROCPRIM_400000_NS6detail17trampoline_kernelINS0_14default_configENS1_25transform_config_selectorIdLb0EEEZNS1_14transform_implILb0ES3_S5_NS0_18transform_iteratorINS0_17counting_iteratorImlEEZNS1_24adjacent_difference_implIS3_Lb1ELb0EPdSB_N6thrust23THRUST_200600_302600_NS5minusIdEEEE10hipError_tPvRmT2_T3_mT4_P12ihipStream_tbEUlmE_dEESB_NS0_8identityIvEEEESG_SJ_SK_mSL_SN_bEUlT_E_NS1_11comp_targetILNS1_3genE5ELNS1_11target_archE942ELNS1_3gpuE9ELNS1_3repE0EEENS1_30default_config_static_selectorELNS0_4arch9wavefront6targetE1EEEvT1_
	.p2align	8
	.type	_ZN7rocprim17ROCPRIM_400000_NS6detail17trampoline_kernelINS0_14default_configENS1_25transform_config_selectorIdLb0EEEZNS1_14transform_implILb0ES3_S5_NS0_18transform_iteratorINS0_17counting_iteratorImlEEZNS1_24adjacent_difference_implIS3_Lb1ELb0EPdSB_N6thrust23THRUST_200600_302600_NS5minusIdEEEE10hipError_tPvRmT2_T3_mT4_P12ihipStream_tbEUlmE_dEESB_NS0_8identityIvEEEESG_SJ_SK_mSL_SN_bEUlT_E_NS1_11comp_targetILNS1_3genE5ELNS1_11target_archE942ELNS1_3gpuE9ELNS1_3repE0EEENS1_30default_config_static_selectorELNS0_4arch9wavefront6targetE1EEEvT1_,@function
_ZN7rocprim17ROCPRIM_400000_NS6detail17trampoline_kernelINS0_14default_configENS1_25transform_config_selectorIdLb0EEEZNS1_14transform_implILb0ES3_S5_NS0_18transform_iteratorINS0_17counting_iteratorImlEEZNS1_24adjacent_difference_implIS3_Lb1ELb0EPdSB_N6thrust23THRUST_200600_302600_NS5minusIdEEEE10hipError_tPvRmT2_T3_mT4_P12ihipStream_tbEUlmE_dEESB_NS0_8identityIvEEEESG_SJ_SK_mSL_SN_bEUlT_E_NS1_11comp_targetILNS1_3genE5ELNS1_11target_archE942ELNS1_3gpuE9ELNS1_3repE0EEENS1_30default_config_static_selectorELNS0_4arch9wavefront6targetE1EEEvT1_: ; @_ZN7rocprim17ROCPRIM_400000_NS6detail17trampoline_kernelINS0_14default_configENS1_25transform_config_selectorIdLb0EEEZNS1_14transform_implILb0ES3_S5_NS0_18transform_iteratorINS0_17counting_iteratorImlEEZNS1_24adjacent_difference_implIS3_Lb1ELb0EPdSB_N6thrust23THRUST_200600_302600_NS5minusIdEEEE10hipError_tPvRmT2_T3_mT4_P12ihipStream_tbEUlmE_dEESB_NS0_8identityIvEEEESG_SJ_SK_mSL_SN_bEUlT_E_NS1_11comp_targetILNS1_3genE5ELNS1_11target_archE942ELNS1_3gpuE9ELNS1_3repE0EEENS1_30default_config_static_selectorELNS0_4arch9wavefront6targetE1EEEvT1_
; %bb.0:
	.section	.rodata,"a",@progbits
	.p2align	6, 0x0
	.amdhsa_kernel _ZN7rocprim17ROCPRIM_400000_NS6detail17trampoline_kernelINS0_14default_configENS1_25transform_config_selectorIdLb0EEEZNS1_14transform_implILb0ES3_S5_NS0_18transform_iteratorINS0_17counting_iteratorImlEEZNS1_24adjacent_difference_implIS3_Lb1ELb0EPdSB_N6thrust23THRUST_200600_302600_NS5minusIdEEEE10hipError_tPvRmT2_T3_mT4_P12ihipStream_tbEUlmE_dEESB_NS0_8identityIvEEEESG_SJ_SK_mSL_SN_bEUlT_E_NS1_11comp_targetILNS1_3genE5ELNS1_11target_archE942ELNS1_3gpuE9ELNS1_3repE0EEENS1_30default_config_static_selectorELNS0_4arch9wavefront6targetE1EEEvT1_
		.amdhsa_group_segment_fixed_size 0
		.amdhsa_private_segment_fixed_size 0
		.amdhsa_kernarg_size 56
		.amdhsa_user_sgpr_count 6
		.amdhsa_user_sgpr_private_segment_buffer 1
		.amdhsa_user_sgpr_dispatch_ptr 0
		.amdhsa_user_sgpr_queue_ptr 0
		.amdhsa_user_sgpr_kernarg_segment_ptr 1
		.amdhsa_user_sgpr_dispatch_id 0
		.amdhsa_user_sgpr_flat_scratch_init 0
		.amdhsa_user_sgpr_kernarg_preload_length 0
		.amdhsa_user_sgpr_kernarg_preload_offset 0
		.amdhsa_user_sgpr_private_segment_size 0
		.amdhsa_uses_dynamic_stack 0
		.amdhsa_system_sgpr_private_segment_wavefront_offset 0
		.amdhsa_system_sgpr_workgroup_id_x 1
		.amdhsa_system_sgpr_workgroup_id_y 0
		.amdhsa_system_sgpr_workgroup_id_z 0
		.amdhsa_system_sgpr_workgroup_info 0
		.amdhsa_system_vgpr_workitem_id 0
		.amdhsa_next_free_vgpr 1
		.amdhsa_next_free_sgpr 0
		.amdhsa_accum_offset 4
		.amdhsa_reserve_vcc 0
		.amdhsa_reserve_flat_scratch 0
		.amdhsa_float_round_mode_32 0
		.amdhsa_float_round_mode_16_64 0
		.amdhsa_float_denorm_mode_32 3
		.amdhsa_float_denorm_mode_16_64 3
		.amdhsa_dx10_clamp 1
		.amdhsa_ieee_mode 1
		.amdhsa_fp16_overflow 0
		.amdhsa_tg_split 0
		.amdhsa_exception_fp_ieee_invalid_op 0
		.amdhsa_exception_fp_denorm_src 0
		.amdhsa_exception_fp_ieee_div_zero 0
		.amdhsa_exception_fp_ieee_overflow 0
		.amdhsa_exception_fp_ieee_underflow 0
		.amdhsa_exception_fp_ieee_inexact 0
		.amdhsa_exception_int_div_zero 0
	.end_amdhsa_kernel
	.section	.text._ZN7rocprim17ROCPRIM_400000_NS6detail17trampoline_kernelINS0_14default_configENS1_25transform_config_selectorIdLb0EEEZNS1_14transform_implILb0ES3_S5_NS0_18transform_iteratorINS0_17counting_iteratorImlEEZNS1_24adjacent_difference_implIS3_Lb1ELb0EPdSB_N6thrust23THRUST_200600_302600_NS5minusIdEEEE10hipError_tPvRmT2_T3_mT4_P12ihipStream_tbEUlmE_dEESB_NS0_8identityIvEEEESG_SJ_SK_mSL_SN_bEUlT_E_NS1_11comp_targetILNS1_3genE5ELNS1_11target_archE942ELNS1_3gpuE9ELNS1_3repE0EEENS1_30default_config_static_selectorELNS0_4arch9wavefront6targetE1EEEvT1_,"axG",@progbits,_ZN7rocprim17ROCPRIM_400000_NS6detail17trampoline_kernelINS0_14default_configENS1_25transform_config_selectorIdLb0EEEZNS1_14transform_implILb0ES3_S5_NS0_18transform_iteratorINS0_17counting_iteratorImlEEZNS1_24adjacent_difference_implIS3_Lb1ELb0EPdSB_N6thrust23THRUST_200600_302600_NS5minusIdEEEE10hipError_tPvRmT2_T3_mT4_P12ihipStream_tbEUlmE_dEESB_NS0_8identityIvEEEESG_SJ_SK_mSL_SN_bEUlT_E_NS1_11comp_targetILNS1_3genE5ELNS1_11target_archE942ELNS1_3gpuE9ELNS1_3repE0EEENS1_30default_config_static_selectorELNS0_4arch9wavefront6targetE1EEEvT1_,comdat
.Lfunc_end425:
	.size	_ZN7rocprim17ROCPRIM_400000_NS6detail17trampoline_kernelINS0_14default_configENS1_25transform_config_selectorIdLb0EEEZNS1_14transform_implILb0ES3_S5_NS0_18transform_iteratorINS0_17counting_iteratorImlEEZNS1_24adjacent_difference_implIS3_Lb1ELb0EPdSB_N6thrust23THRUST_200600_302600_NS5minusIdEEEE10hipError_tPvRmT2_T3_mT4_P12ihipStream_tbEUlmE_dEESB_NS0_8identityIvEEEESG_SJ_SK_mSL_SN_bEUlT_E_NS1_11comp_targetILNS1_3genE5ELNS1_11target_archE942ELNS1_3gpuE9ELNS1_3repE0EEENS1_30default_config_static_selectorELNS0_4arch9wavefront6targetE1EEEvT1_, .Lfunc_end425-_ZN7rocprim17ROCPRIM_400000_NS6detail17trampoline_kernelINS0_14default_configENS1_25transform_config_selectorIdLb0EEEZNS1_14transform_implILb0ES3_S5_NS0_18transform_iteratorINS0_17counting_iteratorImlEEZNS1_24adjacent_difference_implIS3_Lb1ELb0EPdSB_N6thrust23THRUST_200600_302600_NS5minusIdEEEE10hipError_tPvRmT2_T3_mT4_P12ihipStream_tbEUlmE_dEESB_NS0_8identityIvEEEESG_SJ_SK_mSL_SN_bEUlT_E_NS1_11comp_targetILNS1_3genE5ELNS1_11target_archE942ELNS1_3gpuE9ELNS1_3repE0EEENS1_30default_config_static_selectorELNS0_4arch9wavefront6targetE1EEEvT1_
                                        ; -- End function
	.section	.AMDGPU.csdata,"",@progbits
; Kernel info:
; codeLenInByte = 0
; NumSgprs: 4
; NumVgprs: 0
; NumAgprs: 0
; TotalNumVgprs: 0
; ScratchSize: 0
; MemoryBound: 0
; FloatMode: 240
; IeeeMode: 1
; LDSByteSize: 0 bytes/workgroup (compile time only)
; SGPRBlocks: 0
; VGPRBlocks: 0
; NumSGPRsForWavesPerEU: 4
; NumVGPRsForWavesPerEU: 1
; AccumOffset: 4
; Occupancy: 8
; WaveLimiterHint : 0
; COMPUTE_PGM_RSRC2:SCRATCH_EN: 0
; COMPUTE_PGM_RSRC2:USER_SGPR: 6
; COMPUTE_PGM_RSRC2:TRAP_HANDLER: 0
; COMPUTE_PGM_RSRC2:TGID_X_EN: 1
; COMPUTE_PGM_RSRC2:TGID_Y_EN: 0
; COMPUTE_PGM_RSRC2:TGID_Z_EN: 0
; COMPUTE_PGM_RSRC2:TIDIG_COMP_CNT: 0
; COMPUTE_PGM_RSRC3_GFX90A:ACCUM_OFFSET: 0
; COMPUTE_PGM_RSRC3_GFX90A:TG_SPLIT: 0
	.section	.text._ZN7rocprim17ROCPRIM_400000_NS6detail17trampoline_kernelINS0_14default_configENS1_25transform_config_selectorIdLb0EEEZNS1_14transform_implILb0ES3_S5_NS0_18transform_iteratorINS0_17counting_iteratorImlEEZNS1_24adjacent_difference_implIS3_Lb1ELb0EPdSB_N6thrust23THRUST_200600_302600_NS5minusIdEEEE10hipError_tPvRmT2_T3_mT4_P12ihipStream_tbEUlmE_dEESB_NS0_8identityIvEEEESG_SJ_SK_mSL_SN_bEUlT_E_NS1_11comp_targetILNS1_3genE4ELNS1_11target_archE910ELNS1_3gpuE8ELNS1_3repE0EEENS1_30default_config_static_selectorELNS0_4arch9wavefront6targetE1EEEvT1_,"axG",@progbits,_ZN7rocprim17ROCPRIM_400000_NS6detail17trampoline_kernelINS0_14default_configENS1_25transform_config_selectorIdLb0EEEZNS1_14transform_implILb0ES3_S5_NS0_18transform_iteratorINS0_17counting_iteratorImlEEZNS1_24adjacent_difference_implIS3_Lb1ELb0EPdSB_N6thrust23THRUST_200600_302600_NS5minusIdEEEE10hipError_tPvRmT2_T3_mT4_P12ihipStream_tbEUlmE_dEESB_NS0_8identityIvEEEESG_SJ_SK_mSL_SN_bEUlT_E_NS1_11comp_targetILNS1_3genE4ELNS1_11target_archE910ELNS1_3gpuE8ELNS1_3repE0EEENS1_30default_config_static_selectorELNS0_4arch9wavefront6targetE1EEEvT1_,comdat
	.protected	_ZN7rocprim17ROCPRIM_400000_NS6detail17trampoline_kernelINS0_14default_configENS1_25transform_config_selectorIdLb0EEEZNS1_14transform_implILb0ES3_S5_NS0_18transform_iteratorINS0_17counting_iteratorImlEEZNS1_24adjacent_difference_implIS3_Lb1ELb0EPdSB_N6thrust23THRUST_200600_302600_NS5minusIdEEEE10hipError_tPvRmT2_T3_mT4_P12ihipStream_tbEUlmE_dEESB_NS0_8identityIvEEEESG_SJ_SK_mSL_SN_bEUlT_E_NS1_11comp_targetILNS1_3genE4ELNS1_11target_archE910ELNS1_3gpuE8ELNS1_3repE0EEENS1_30default_config_static_selectorELNS0_4arch9wavefront6targetE1EEEvT1_ ; -- Begin function _ZN7rocprim17ROCPRIM_400000_NS6detail17trampoline_kernelINS0_14default_configENS1_25transform_config_selectorIdLb0EEEZNS1_14transform_implILb0ES3_S5_NS0_18transform_iteratorINS0_17counting_iteratorImlEEZNS1_24adjacent_difference_implIS3_Lb1ELb0EPdSB_N6thrust23THRUST_200600_302600_NS5minusIdEEEE10hipError_tPvRmT2_T3_mT4_P12ihipStream_tbEUlmE_dEESB_NS0_8identityIvEEEESG_SJ_SK_mSL_SN_bEUlT_E_NS1_11comp_targetILNS1_3genE4ELNS1_11target_archE910ELNS1_3gpuE8ELNS1_3repE0EEENS1_30default_config_static_selectorELNS0_4arch9wavefront6targetE1EEEvT1_
	.globl	_ZN7rocprim17ROCPRIM_400000_NS6detail17trampoline_kernelINS0_14default_configENS1_25transform_config_selectorIdLb0EEEZNS1_14transform_implILb0ES3_S5_NS0_18transform_iteratorINS0_17counting_iteratorImlEEZNS1_24adjacent_difference_implIS3_Lb1ELb0EPdSB_N6thrust23THRUST_200600_302600_NS5minusIdEEEE10hipError_tPvRmT2_T3_mT4_P12ihipStream_tbEUlmE_dEESB_NS0_8identityIvEEEESG_SJ_SK_mSL_SN_bEUlT_E_NS1_11comp_targetILNS1_3genE4ELNS1_11target_archE910ELNS1_3gpuE8ELNS1_3repE0EEENS1_30default_config_static_selectorELNS0_4arch9wavefront6targetE1EEEvT1_
	.p2align	8
	.type	_ZN7rocprim17ROCPRIM_400000_NS6detail17trampoline_kernelINS0_14default_configENS1_25transform_config_selectorIdLb0EEEZNS1_14transform_implILb0ES3_S5_NS0_18transform_iteratorINS0_17counting_iteratorImlEEZNS1_24adjacent_difference_implIS3_Lb1ELb0EPdSB_N6thrust23THRUST_200600_302600_NS5minusIdEEEE10hipError_tPvRmT2_T3_mT4_P12ihipStream_tbEUlmE_dEESB_NS0_8identityIvEEEESG_SJ_SK_mSL_SN_bEUlT_E_NS1_11comp_targetILNS1_3genE4ELNS1_11target_archE910ELNS1_3gpuE8ELNS1_3repE0EEENS1_30default_config_static_selectorELNS0_4arch9wavefront6targetE1EEEvT1_,@function
_ZN7rocprim17ROCPRIM_400000_NS6detail17trampoline_kernelINS0_14default_configENS1_25transform_config_selectorIdLb0EEEZNS1_14transform_implILb0ES3_S5_NS0_18transform_iteratorINS0_17counting_iteratorImlEEZNS1_24adjacent_difference_implIS3_Lb1ELb0EPdSB_N6thrust23THRUST_200600_302600_NS5minusIdEEEE10hipError_tPvRmT2_T3_mT4_P12ihipStream_tbEUlmE_dEESB_NS0_8identityIvEEEESG_SJ_SK_mSL_SN_bEUlT_E_NS1_11comp_targetILNS1_3genE4ELNS1_11target_archE910ELNS1_3gpuE8ELNS1_3repE0EEENS1_30default_config_static_selectorELNS0_4arch9wavefront6targetE1EEEvT1_: ; @_ZN7rocprim17ROCPRIM_400000_NS6detail17trampoline_kernelINS0_14default_configENS1_25transform_config_selectorIdLb0EEEZNS1_14transform_implILb0ES3_S5_NS0_18transform_iteratorINS0_17counting_iteratorImlEEZNS1_24adjacent_difference_implIS3_Lb1ELb0EPdSB_N6thrust23THRUST_200600_302600_NS5minusIdEEEE10hipError_tPvRmT2_T3_mT4_P12ihipStream_tbEUlmE_dEESB_NS0_8identityIvEEEESG_SJ_SK_mSL_SN_bEUlT_E_NS1_11comp_targetILNS1_3genE4ELNS1_11target_archE910ELNS1_3gpuE8ELNS1_3repE0EEENS1_30default_config_static_selectorELNS0_4arch9wavefront6targetE1EEEvT1_
; %bb.0:
	s_load_dwordx4 s[0:3], s[4:5], 0x18
	s_load_dwordx2 s[14:15], s[4:5], 0x28
	s_load_dwordx4 s[8:11], s[4:5], 0x0
	s_load_dword s12, s[4:5], 0x10
	s_waitcnt lgkmcnt(0)
	s_load_dword s3, s[4:5], 0x38
                                        ; kill: killed $sgpr4_sgpr5
	s_lshl_b64 s[4:5], s[0:1], 3
	s_add_u32 s14, s14, s4
	s_addc_u32 s15, s15, s5
	s_lshl_b32 s4, s6, 9
	s_waitcnt lgkmcnt(0)
	s_add_i32 s3, s3, -1
	s_add_u32 s7, s8, s4
	s_addc_u32 s8, s9, 0
	s_add_u32 s16, s7, s0
	s_addc_u32 s17, s8, s1
	s_mov_b32 s5, 0
	s_cmp_lg_u32 s6, s3
	v_lshlrev_b32_e32 v1, 3, v0
	s_cbranch_scc0 .LBB426_2
; %bb.1:
	v_mov_b32_e32 v2, s17
	v_add_co_u32_e32 v3, vcc, s16, v0
	v_addc_co_u32_e32 v5, vcc, 0, v2, vcc
	v_mad_u64_u32 v[2:3], s[0:1], v3, s12, 0
	v_mov_b32_e32 v4, v3
	v_mad_u64_u32 v[4:5], s[0:1], v5, s12, v[4:5]
	v_mov_b32_e32 v3, v4
	v_lshlrev_b64 v[2:3], 3, v[2:3]
	s_mov_b32 s13, s5
	v_mov_b32_e32 v4, s11
	v_add_co_u32_e32 v2, vcc, s10, v2
	v_addc_co_u32_e32 v3, vcc, v4, v3, vcc
	s_lshl_b64 s[0:1], s[12:13], 11
	global_load_dwordx2 v[8:9], v[2:3], off
	v_mov_b32_e32 v4, s1
	v_add_co_u32_e32 v2, vcc, s0, v2
	v_addc_co_u32_e32 v3, vcc, v3, v4, vcc
	global_load_dwordx2 v[4:5], v[2:3], off
	s_lshl_b64 s[6:7], s[4:5], 3
	s_add_u32 s6, s14, s6
	s_addc_u32 s7, s15, s7
	v_mov_b32_e32 v2, s7
	v_add_co_u32_e32 v6, vcc, s6, v1
	v_addc_co_u32_e32 v7, vcc, 0, v2, vcc
	s_waitcnt vmcnt(1)
	global_store_dwordx2 v1, v[8:9], s[6:7]
	s_mov_b64 s[6:7], -1
	s_cbranch_execz .LBB426_3
	s_branch .LBB426_12
.LBB426_2:
	s_mov_b64 s[6:7], 0
                                        ; implicit-def: $vgpr4_vgpr5
                                        ; implicit-def: $vgpr6_vgpr7
.LBB426_3:
	s_sub_i32 s8, s2, s4
	v_cmp_gt_u32_e32 vcc, s8, v0
                                        ; implicit-def: $vgpr2_vgpr3_vgpr4_vgpr5
	s_and_saveexec_b64 s[2:3], vcc
	s_cbranch_execz .LBB426_5
; %bb.4:
	v_mov_b32_e32 v2, s17
	v_add_co_u32_e64 v3, s[0:1], s16, v0
	s_waitcnt vmcnt(1)
	v_addc_co_u32_e64 v5, s[0:1], 0, v2, s[0:1]
	v_mad_u64_u32 v[2:3], s[0:1], v3, s12, 0
	v_mov_b32_e32 v4, v3
	v_mad_u64_u32 v[4:5], s[0:1], v5, s12, v[4:5]
	v_mov_b32_e32 v3, v4
	v_lshlrev_b64 v[2:3], 3, v[2:3]
	v_mov_b32_e32 v4, s11
	v_add_co_u32_e64 v2, s[0:1], s10, v2
	v_addc_co_u32_e64 v3, s[0:1], v4, v3, s[0:1]
	global_load_dwordx2 v[2:3], v[2:3], off
.LBB426_5:
	s_or_b64 exec, exec, s[2:3]
	v_or_b32_e32 v0, 0x100, v0
	v_cmp_gt_u32_e64 s[0:1], s8, v0
	s_and_saveexec_b64 s[8:9], s[0:1]
	s_cbranch_execz .LBB426_7
; %bb.6:
	s_waitcnt vmcnt(1)
	v_mov_b32_e32 v4, s17
	v_add_co_u32_e64 v0, s[2:3], s16, v0
	v_addc_co_u32_e64 v6, s[2:3], 0, v4, s[2:3]
	v_mad_u64_u32 v[4:5], s[2:3], v0, s12, 0
	v_mov_b32_e32 v0, v5
	v_mad_u64_u32 v[6:7], s[2:3], v6, s12, v[0:1]
	v_mov_b32_e32 v5, v6
	v_lshlrev_b64 v[4:5], 3, v[4:5]
	v_mov_b32_e32 v0, s11
	v_add_co_u32_e64 v4, s[2:3], s10, v4
	v_addc_co_u32_e64 v5, s[2:3], v0, v5, s[2:3]
	global_load_dwordx2 v[4:5], v[4:5], off
.LBB426_7:
	s_or_b64 exec, exec, s[8:9]
	s_lshl_b64 s[2:3], s[4:5], 3
	s_add_u32 s2, s14, s2
	s_addc_u32 s3, s15, s3
	v_mov_b32_e32 v0, s3
	v_add_co_u32_e64 v6, s[2:3], s2, v1
	v_addc_co_u32_e64 v7, s[2:3], 0, v0, s[2:3]
	s_and_saveexec_b64 s[2:3], vcc
	s_cbranch_execz .LBB426_9
; %bb.8:
	s_waitcnt vmcnt(0)
	global_store_dwordx2 v[6:7], v[2:3], off
.LBB426_9:
	s_or_b64 exec, exec, s[2:3]
	s_and_saveexec_b64 s[2:3], s[0:1]
; %bb.10:
	s_or_b64 s[6:7], s[6:7], exec
; %bb.11:
	s_or_b64 exec, exec, s[2:3]
.LBB426_12:
	s_and_saveexec_b64 s[0:1], s[6:7]
	s_cbranch_execnz .LBB426_14
; %bb.13:
	s_endpgm
.LBB426_14:
	s_waitcnt vmcnt(0)
	global_store_dwordx2 v[6:7], v[4:5], off offset:2048
	s_endpgm
	.section	.rodata,"a",@progbits
	.p2align	6, 0x0
	.amdhsa_kernel _ZN7rocprim17ROCPRIM_400000_NS6detail17trampoline_kernelINS0_14default_configENS1_25transform_config_selectorIdLb0EEEZNS1_14transform_implILb0ES3_S5_NS0_18transform_iteratorINS0_17counting_iteratorImlEEZNS1_24adjacent_difference_implIS3_Lb1ELb0EPdSB_N6thrust23THRUST_200600_302600_NS5minusIdEEEE10hipError_tPvRmT2_T3_mT4_P12ihipStream_tbEUlmE_dEESB_NS0_8identityIvEEEESG_SJ_SK_mSL_SN_bEUlT_E_NS1_11comp_targetILNS1_3genE4ELNS1_11target_archE910ELNS1_3gpuE8ELNS1_3repE0EEENS1_30default_config_static_selectorELNS0_4arch9wavefront6targetE1EEEvT1_
		.amdhsa_group_segment_fixed_size 0
		.amdhsa_private_segment_fixed_size 0
		.amdhsa_kernarg_size 312
		.amdhsa_user_sgpr_count 6
		.amdhsa_user_sgpr_private_segment_buffer 1
		.amdhsa_user_sgpr_dispatch_ptr 0
		.amdhsa_user_sgpr_queue_ptr 0
		.amdhsa_user_sgpr_kernarg_segment_ptr 1
		.amdhsa_user_sgpr_dispatch_id 0
		.amdhsa_user_sgpr_flat_scratch_init 0
		.amdhsa_user_sgpr_kernarg_preload_length 0
		.amdhsa_user_sgpr_kernarg_preload_offset 0
		.amdhsa_user_sgpr_private_segment_size 0
		.amdhsa_uses_dynamic_stack 0
		.amdhsa_system_sgpr_private_segment_wavefront_offset 0
		.amdhsa_system_sgpr_workgroup_id_x 1
		.amdhsa_system_sgpr_workgroup_id_y 0
		.amdhsa_system_sgpr_workgroup_id_z 0
		.amdhsa_system_sgpr_workgroup_info 0
		.amdhsa_system_vgpr_workitem_id 0
		.amdhsa_next_free_vgpr 10
		.amdhsa_next_free_sgpr 18
		.amdhsa_accum_offset 12
		.amdhsa_reserve_vcc 1
		.amdhsa_reserve_flat_scratch 0
		.amdhsa_float_round_mode_32 0
		.amdhsa_float_round_mode_16_64 0
		.amdhsa_float_denorm_mode_32 3
		.amdhsa_float_denorm_mode_16_64 3
		.amdhsa_dx10_clamp 1
		.amdhsa_ieee_mode 1
		.amdhsa_fp16_overflow 0
		.amdhsa_tg_split 0
		.amdhsa_exception_fp_ieee_invalid_op 0
		.amdhsa_exception_fp_denorm_src 0
		.amdhsa_exception_fp_ieee_div_zero 0
		.amdhsa_exception_fp_ieee_overflow 0
		.amdhsa_exception_fp_ieee_underflow 0
		.amdhsa_exception_fp_ieee_inexact 0
		.amdhsa_exception_int_div_zero 0
	.end_amdhsa_kernel
	.section	.text._ZN7rocprim17ROCPRIM_400000_NS6detail17trampoline_kernelINS0_14default_configENS1_25transform_config_selectorIdLb0EEEZNS1_14transform_implILb0ES3_S5_NS0_18transform_iteratorINS0_17counting_iteratorImlEEZNS1_24adjacent_difference_implIS3_Lb1ELb0EPdSB_N6thrust23THRUST_200600_302600_NS5minusIdEEEE10hipError_tPvRmT2_T3_mT4_P12ihipStream_tbEUlmE_dEESB_NS0_8identityIvEEEESG_SJ_SK_mSL_SN_bEUlT_E_NS1_11comp_targetILNS1_3genE4ELNS1_11target_archE910ELNS1_3gpuE8ELNS1_3repE0EEENS1_30default_config_static_selectorELNS0_4arch9wavefront6targetE1EEEvT1_,"axG",@progbits,_ZN7rocprim17ROCPRIM_400000_NS6detail17trampoline_kernelINS0_14default_configENS1_25transform_config_selectorIdLb0EEEZNS1_14transform_implILb0ES3_S5_NS0_18transform_iteratorINS0_17counting_iteratorImlEEZNS1_24adjacent_difference_implIS3_Lb1ELb0EPdSB_N6thrust23THRUST_200600_302600_NS5minusIdEEEE10hipError_tPvRmT2_T3_mT4_P12ihipStream_tbEUlmE_dEESB_NS0_8identityIvEEEESG_SJ_SK_mSL_SN_bEUlT_E_NS1_11comp_targetILNS1_3genE4ELNS1_11target_archE910ELNS1_3gpuE8ELNS1_3repE0EEENS1_30default_config_static_selectorELNS0_4arch9wavefront6targetE1EEEvT1_,comdat
.Lfunc_end426:
	.size	_ZN7rocprim17ROCPRIM_400000_NS6detail17trampoline_kernelINS0_14default_configENS1_25transform_config_selectorIdLb0EEEZNS1_14transform_implILb0ES3_S5_NS0_18transform_iteratorINS0_17counting_iteratorImlEEZNS1_24adjacent_difference_implIS3_Lb1ELb0EPdSB_N6thrust23THRUST_200600_302600_NS5minusIdEEEE10hipError_tPvRmT2_T3_mT4_P12ihipStream_tbEUlmE_dEESB_NS0_8identityIvEEEESG_SJ_SK_mSL_SN_bEUlT_E_NS1_11comp_targetILNS1_3genE4ELNS1_11target_archE910ELNS1_3gpuE8ELNS1_3repE0EEENS1_30default_config_static_selectorELNS0_4arch9wavefront6targetE1EEEvT1_, .Lfunc_end426-_ZN7rocprim17ROCPRIM_400000_NS6detail17trampoline_kernelINS0_14default_configENS1_25transform_config_selectorIdLb0EEEZNS1_14transform_implILb0ES3_S5_NS0_18transform_iteratorINS0_17counting_iteratorImlEEZNS1_24adjacent_difference_implIS3_Lb1ELb0EPdSB_N6thrust23THRUST_200600_302600_NS5minusIdEEEE10hipError_tPvRmT2_T3_mT4_P12ihipStream_tbEUlmE_dEESB_NS0_8identityIvEEEESG_SJ_SK_mSL_SN_bEUlT_E_NS1_11comp_targetILNS1_3genE4ELNS1_11target_archE910ELNS1_3gpuE8ELNS1_3repE0EEENS1_30default_config_static_selectorELNS0_4arch9wavefront6targetE1EEEvT1_
                                        ; -- End function
	.section	.AMDGPU.csdata,"",@progbits
; Kernel info:
; codeLenInByte = 556
; NumSgprs: 22
; NumVgprs: 10
; NumAgprs: 0
; TotalNumVgprs: 10
; ScratchSize: 0
; MemoryBound: 0
; FloatMode: 240
; IeeeMode: 1
; LDSByteSize: 0 bytes/workgroup (compile time only)
; SGPRBlocks: 2
; VGPRBlocks: 1
; NumSGPRsForWavesPerEU: 22
; NumVGPRsForWavesPerEU: 10
; AccumOffset: 12
; Occupancy: 8
; WaveLimiterHint : 0
; COMPUTE_PGM_RSRC2:SCRATCH_EN: 0
; COMPUTE_PGM_RSRC2:USER_SGPR: 6
; COMPUTE_PGM_RSRC2:TRAP_HANDLER: 0
; COMPUTE_PGM_RSRC2:TGID_X_EN: 1
; COMPUTE_PGM_RSRC2:TGID_Y_EN: 0
; COMPUTE_PGM_RSRC2:TGID_Z_EN: 0
; COMPUTE_PGM_RSRC2:TIDIG_COMP_CNT: 0
; COMPUTE_PGM_RSRC3_GFX90A:ACCUM_OFFSET: 2
; COMPUTE_PGM_RSRC3_GFX90A:TG_SPLIT: 0
	.section	.text._ZN7rocprim17ROCPRIM_400000_NS6detail17trampoline_kernelINS0_14default_configENS1_25transform_config_selectorIdLb0EEEZNS1_14transform_implILb0ES3_S5_NS0_18transform_iteratorINS0_17counting_iteratorImlEEZNS1_24adjacent_difference_implIS3_Lb1ELb0EPdSB_N6thrust23THRUST_200600_302600_NS5minusIdEEEE10hipError_tPvRmT2_T3_mT4_P12ihipStream_tbEUlmE_dEESB_NS0_8identityIvEEEESG_SJ_SK_mSL_SN_bEUlT_E_NS1_11comp_targetILNS1_3genE3ELNS1_11target_archE908ELNS1_3gpuE7ELNS1_3repE0EEENS1_30default_config_static_selectorELNS0_4arch9wavefront6targetE1EEEvT1_,"axG",@progbits,_ZN7rocprim17ROCPRIM_400000_NS6detail17trampoline_kernelINS0_14default_configENS1_25transform_config_selectorIdLb0EEEZNS1_14transform_implILb0ES3_S5_NS0_18transform_iteratorINS0_17counting_iteratorImlEEZNS1_24adjacent_difference_implIS3_Lb1ELb0EPdSB_N6thrust23THRUST_200600_302600_NS5minusIdEEEE10hipError_tPvRmT2_T3_mT4_P12ihipStream_tbEUlmE_dEESB_NS0_8identityIvEEEESG_SJ_SK_mSL_SN_bEUlT_E_NS1_11comp_targetILNS1_3genE3ELNS1_11target_archE908ELNS1_3gpuE7ELNS1_3repE0EEENS1_30default_config_static_selectorELNS0_4arch9wavefront6targetE1EEEvT1_,comdat
	.protected	_ZN7rocprim17ROCPRIM_400000_NS6detail17trampoline_kernelINS0_14default_configENS1_25transform_config_selectorIdLb0EEEZNS1_14transform_implILb0ES3_S5_NS0_18transform_iteratorINS0_17counting_iteratorImlEEZNS1_24adjacent_difference_implIS3_Lb1ELb0EPdSB_N6thrust23THRUST_200600_302600_NS5minusIdEEEE10hipError_tPvRmT2_T3_mT4_P12ihipStream_tbEUlmE_dEESB_NS0_8identityIvEEEESG_SJ_SK_mSL_SN_bEUlT_E_NS1_11comp_targetILNS1_3genE3ELNS1_11target_archE908ELNS1_3gpuE7ELNS1_3repE0EEENS1_30default_config_static_selectorELNS0_4arch9wavefront6targetE1EEEvT1_ ; -- Begin function _ZN7rocprim17ROCPRIM_400000_NS6detail17trampoline_kernelINS0_14default_configENS1_25transform_config_selectorIdLb0EEEZNS1_14transform_implILb0ES3_S5_NS0_18transform_iteratorINS0_17counting_iteratorImlEEZNS1_24adjacent_difference_implIS3_Lb1ELb0EPdSB_N6thrust23THRUST_200600_302600_NS5minusIdEEEE10hipError_tPvRmT2_T3_mT4_P12ihipStream_tbEUlmE_dEESB_NS0_8identityIvEEEESG_SJ_SK_mSL_SN_bEUlT_E_NS1_11comp_targetILNS1_3genE3ELNS1_11target_archE908ELNS1_3gpuE7ELNS1_3repE0EEENS1_30default_config_static_selectorELNS0_4arch9wavefront6targetE1EEEvT1_
	.globl	_ZN7rocprim17ROCPRIM_400000_NS6detail17trampoline_kernelINS0_14default_configENS1_25transform_config_selectorIdLb0EEEZNS1_14transform_implILb0ES3_S5_NS0_18transform_iteratorINS0_17counting_iteratorImlEEZNS1_24adjacent_difference_implIS3_Lb1ELb0EPdSB_N6thrust23THRUST_200600_302600_NS5minusIdEEEE10hipError_tPvRmT2_T3_mT4_P12ihipStream_tbEUlmE_dEESB_NS0_8identityIvEEEESG_SJ_SK_mSL_SN_bEUlT_E_NS1_11comp_targetILNS1_3genE3ELNS1_11target_archE908ELNS1_3gpuE7ELNS1_3repE0EEENS1_30default_config_static_selectorELNS0_4arch9wavefront6targetE1EEEvT1_
	.p2align	8
	.type	_ZN7rocprim17ROCPRIM_400000_NS6detail17trampoline_kernelINS0_14default_configENS1_25transform_config_selectorIdLb0EEEZNS1_14transform_implILb0ES3_S5_NS0_18transform_iteratorINS0_17counting_iteratorImlEEZNS1_24adjacent_difference_implIS3_Lb1ELb0EPdSB_N6thrust23THRUST_200600_302600_NS5minusIdEEEE10hipError_tPvRmT2_T3_mT4_P12ihipStream_tbEUlmE_dEESB_NS0_8identityIvEEEESG_SJ_SK_mSL_SN_bEUlT_E_NS1_11comp_targetILNS1_3genE3ELNS1_11target_archE908ELNS1_3gpuE7ELNS1_3repE0EEENS1_30default_config_static_selectorELNS0_4arch9wavefront6targetE1EEEvT1_,@function
_ZN7rocprim17ROCPRIM_400000_NS6detail17trampoline_kernelINS0_14default_configENS1_25transform_config_selectorIdLb0EEEZNS1_14transform_implILb0ES3_S5_NS0_18transform_iteratorINS0_17counting_iteratorImlEEZNS1_24adjacent_difference_implIS3_Lb1ELb0EPdSB_N6thrust23THRUST_200600_302600_NS5minusIdEEEE10hipError_tPvRmT2_T3_mT4_P12ihipStream_tbEUlmE_dEESB_NS0_8identityIvEEEESG_SJ_SK_mSL_SN_bEUlT_E_NS1_11comp_targetILNS1_3genE3ELNS1_11target_archE908ELNS1_3gpuE7ELNS1_3repE0EEENS1_30default_config_static_selectorELNS0_4arch9wavefront6targetE1EEEvT1_: ; @_ZN7rocprim17ROCPRIM_400000_NS6detail17trampoline_kernelINS0_14default_configENS1_25transform_config_selectorIdLb0EEEZNS1_14transform_implILb0ES3_S5_NS0_18transform_iteratorINS0_17counting_iteratorImlEEZNS1_24adjacent_difference_implIS3_Lb1ELb0EPdSB_N6thrust23THRUST_200600_302600_NS5minusIdEEEE10hipError_tPvRmT2_T3_mT4_P12ihipStream_tbEUlmE_dEESB_NS0_8identityIvEEEESG_SJ_SK_mSL_SN_bEUlT_E_NS1_11comp_targetILNS1_3genE3ELNS1_11target_archE908ELNS1_3gpuE7ELNS1_3repE0EEENS1_30default_config_static_selectorELNS0_4arch9wavefront6targetE1EEEvT1_
; %bb.0:
	.section	.rodata,"a",@progbits
	.p2align	6, 0x0
	.amdhsa_kernel _ZN7rocprim17ROCPRIM_400000_NS6detail17trampoline_kernelINS0_14default_configENS1_25transform_config_selectorIdLb0EEEZNS1_14transform_implILb0ES3_S5_NS0_18transform_iteratorINS0_17counting_iteratorImlEEZNS1_24adjacent_difference_implIS3_Lb1ELb0EPdSB_N6thrust23THRUST_200600_302600_NS5minusIdEEEE10hipError_tPvRmT2_T3_mT4_P12ihipStream_tbEUlmE_dEESB_NS0_8identityIvEEEESG_SJ_SK_mSL_SN_bEUlT_E_NS1_11comp_targetILNS1_3genE3ELNS1_11target_archE908ELNS1_3gpuE7ELNS1_3repE0EEENS1_30default_config_static_selectorELNS0_4arch9wavefront6targetE1EEEvT1_
		.amdhsa_group_segment_fixed_size 0
		.amdhsa_private_segment_fixed_size 0
		.amdhsa_kernarg_size 56
		.amdhsa_user_sgpr_count 6
		.amdhsa_user_sgpr_private_segment_buffer 1
		.amdhsa_user_sgpr_dispatch_ptr 0
		.amdhsa_user_sgpr_queue_ptr 0
		.amdhsa_user_sgpr_kernarg_segment_ptr 1
		.amdhsa_user_sgpr_dispatch_id 0
		.amdhsa_user_sgpr_flat_scratch_init 0
		.amdhsa_user_sgpr_kernarg_preload_length 0
		.amdhsa_user_sgpr_kernarg_preload_offset 0
		.amdhsa_user_sgpr_private_segment_size 0
		.amdhsa_uses_dynamic_stack 0
		.amdhsa_system_sgpr_private_segment_wavefront_offset 0
		.amdhsa_system_sgpr_workgroup_id_x 1
		.amdhsa_system_sgpr_workgroup_id_y 0
		.amdhsa_system_sgpr_workgroup_id_z 0
		.amdhsa_system_sgpr_workgroup_info 0
		.amdhsa_system_vgpr_workitem_id 0
		.amdhsa_next_free_vgpr 1
		.amdhsa_next_free_sgpr 0
		.amdhsa_accum_offset 4
		.amdhsa_reserve_vcc 0
		.amdhsa_reserve_flat_scratch 0
		.amdhsa_float_round_mode_32 0
		.amdhsa_float_round_mode_16_64 0
		.amdhsa_float_denorm_mode_32 3
		.amdhsa_float_denorm_mode_16_64 3
		.amdhsa_dx10_clamp 1
		.amdhsa_ieee_mode 1
		.amdhsa_fp16_overflow 0
		.amdhsa_tg_split 0
		.amdhsa_exception_fp_ieee_invalid_op 0
		.amdhsa_exception_fp_denorm_src 0
		.amdhsa_exception_fp_ieee_div_zero 0
		.amdhsa_exception_fp_ieee_overflow 0
		.amdhsa_exception_fp_ieee_underflow 0
		.amdhsa_exception_fp_ieee_inexact 0
		.amdhsa_exception_int_div_zero 0
	.end_amdhsa_kernel
	.section	.text._ZN7rocprim17ROCPRIM_400000_NS6detail17trampoline_kernelINS0_14default_configENS1_25transform_config_selectorIdLb0EEEZNS1_14transform_implILb0ES3_S5_NS0_18transform_iteratorINS0_17counting_iteratorImlEEZNS1_24adjacent_difference_implIS3_Lb1ELb0EPdSB_N6thrust23THRUST_200600_302600_NS5minusIdEEEE10hipError_tPvRmT2_T3_mT4_P12ihipStream_tbEUlmE_dEESB_NS0_8identityIvEEEESG_SJ_SK_mSL_SN_bEUlT_E_NS1_11comp_targetILNS1_3genE3ELNS1_11target_archE908ELNS1_3gpuE7ELNS1_3repE0EEENS1_30default_config_static_selectorELNS0_4arch9wavefront6targetE1EEEvT1_,"axG",@progbits,_ZN7rocprim17ROCPRIM_400000_NS6detail17trampoline_kernelINS0_14default_configENS1_25transform_config_selectorIdLb0EEEZNS1_14transform_implILb0ES3_S5_NS0_18transform_iteratorINS0_17counting_iteratorImlEEZNS1_24adjacent_difference_implIS3_Lb1ELb0EPdSB_N6thrust23THRUST_200600_302600_NS5minusIdEEEE10hipError_tPvRmT2_T3_mT4_P12ihipStream_tbEUlmE_dEESB_NS0_8identityIvEEEESG_SJ_SK_mSL_SN_bEUlT_E_NS1_11comp_targetILNS1_3genE3ELNS1_11target_archE908ELNS1_3gpuE7ELNS1_3repE0EEENS1_30default_config_static_selectorELNS0_4arch9wavefront6targetE1EEEvT1_,comdat
.Lfunc_end427:
	.size	_ZN7rocprim17ROCPRIM_400000_NS6detail17trampoline_kernelINS0_14default_configENS1_25transform_config_selectorIdLb0EEEZNS1_14transform_implILb0ES3_S5_NS0_18transform_iteratorINS0_17counting_iteratorImlEEZNS1_24adjacent_difference_implIS3_Lb1ELb0EPdSB_N6thrust23THRUST_200600_302600_NS5minusIdEEEE10hipError_tPvRmT2_T3_mT4_P12ihipStream_tbEUlmE_dEESB_NS0_8identityIvEEEESG_SJ_SK_mSL_SN_bEUlT_E_NS1_11comp_targetILNS1_3genE3ELNS1_11target_archE908ELNS1_3gpuE7ELNS1_3repE0EEENS1_30default_config_static_selectorELNS0_4arch9wavefront6targetE1EEEvT1_, .Lfunc_end427-_ZN7rocprim17ROCPRIM_400000_NS6detail17trampoline_kernelINS0_14default_configENS1_25transform_config_selectorIdLb0EEEZNS1_14transform_implILb0ES3_S5_NS0_18transform_iteratorINS0_17counting_iteratorImlEEZNS1_24adjacent_difference_implIS3_Lb1ELb0EPdSB_N6thrust23THRUST_200600_302600_NS5minusIdEEEE10hipError_tPvRmT2_T3_mT4_P12ihipStream_tbEUlmE_dEESB_NS0_8identityIvEEEESG_SJ_SK_mSL_SN_bEUlT_E_NS1_11comp_targetILNS1_3genE3ELNS1_11target_archE908ELNS1_3gpuE7ELNS1_3repE0EEENS1_30default_config_static_selectorELNS0_4arch9wavefront6targetE1EEEvT1_
                                        ; -- End function
	.section	.AMDGPU.csdata,"",@progbits
; Kernel info:
; codeLenInByte = 0
; NumSgprs: 4
; NumVgprs: 0
; NumAgprs: 0
; TotalNumVgprs: 0
; ScratchSize: 0
; MemoryBound: 0
; FloatMode: 240
; IeeeMode: 1
; LDSByteSize: 0 bytes/workgroup (compile time only)
; SGPRBlocks: 0
; VGPRBlocks: 0
; NumSGPRsForWavesPerEU: 4
; NumVGPRsForWavesPerEU: 1
; AccumOffset: 4
; Occupancy: 8
; WaveLimiterHint : 0
; COMPUTE_PGM_RSRC2:SCRATCH_EN: 0
; COMPUTE_PGM_RSRC2:USER_SGPR: 6
; COMPUTE_PGM_RSRC2:TRAP_HANDLER: 0
; COMPUTE_PGM_RSRC2:TGID_X_EN: 1
; COMPUTE_PGM_RSRC2:TGID_Y_EN: 0
; COMPUTE_PGM_RSRC2:TGID_Z_EN: 0
; COMPUTE_PGM_RSRC2:TIDIG_COMP_CNT: 0
; COMPUTE_PGM_RSRC3_GFX90A:ACCUM_OFFSET: 0
; COMPUTE_PGM_RSRC3_GFX90A:TG_SPLIT: 0
	.section	.text._ZN7rocprim17ROCPRIM_400000_NS6detail17trampoline_kernelINS0_14default_configENS1_25transform_config_selectorIdLb0EEEZNS1_14transform_implILb0ES3_S5_NS0_18transform_iteratorINS0_17counting_iteratorImlEEZNS1_24adjacent_difference_implIS3_Lb1ELb0EPdSB_N6thrust23THRUST_200600_302600_NS5minusIdEEEE10hipError_tPvRmT2_T3_mT4_P12ihipStream_tbEUlmE_dEESB_NS0_8identityIvEEEESG_SJ_SK_mSL_SN_bEUlT_E_NS1_11comp_targetILNS1_3genE2ELNS1_11target_archE906ELNS1_3gpuE6ELNS1_3repE0EEENS1_30default_config_static_selectorELNS0_4arch9wavefront6targetE1EEEvT1_,"axG",@progbits,_ZN7rocprim17ROCPRIM_400000_NS6detail17trampoline_kernelINS0_14default_configENS1_25transform_config_selectorIdLb0EEEZNS1_14transform_implILb0ES3_S5_NS0_18transform_iteratorINS0_17counting_iteratorImlEEZNS1_24adjacent_difference_implIS3_Lb1ELb0EPdSB_N6thrust23THRUST_200600_302600_NS5minusIdEEEE10hipError_tPvRmT2_T3_mT4_P12ihipStream_tbEUlmE_dEESB_NS0_8identityIvEEEESG_SJ_SK_mSL_SN_bEUlT_E_NS1_11comp_targetILNS1_3genE2ELNS1_11target_archE906ELNS1_3gpuE6ELNS1_3repE0EEENS1_30default_config_static_selectorELNS0_4arch9wavefront6targetE1EEEvT1_,comdat
	.protected	_ZN7rocprim17ROCPRIM_400000_NS6detail17trampoline_kernelINS0_14default_configENS1_25transform_config_selectorIdLb0EEEZNS1_14transform_implILb0ES3_S5_NS0_18transform_iteratorINS0_17counting_iteratorImlEEZNS1_24adjacent_difference_implIS3_Lb1ELb0EPdSB_N6thrust23THRUST_200600_302600_NS5minusIdEEEE10hipError_tPvRmT2_T3_mT4_P12ihipStream_tbEUlmE_dEESB_NS0_8identityIvEEEESG_SJ_SK_mSL_SN_bEUlT_E_NS1_11comp_targetILNS1_3genE2ELNS1_11target_archE906ELNS1_3gpuE6ELNS1_3repE0EEENS1_30default_config_static_selectorELNS0_4arch9wavefront6targetE1EEEvT1_ ; -- Begin function _ZN7rocprim17ROCPRIM_400000_NS6detail17trampoline_kernelINS0_14default_configENS1_25transform_config_selectorIdLb0EEEZNS1_14transform_implILb0ES3_S5_NS0_18transform_iteratorINS0_17counting_iteratorImlEEZNS1_24adjacent_difference_implIS3_Lb1ELb0EPdSB_N6thrust23THRUST_200600_302600_NS5minusIdEEEE10hipError_tPvRmT2_T3_mT4_P12ihipStream_tbEUlmE_dEESB_NS0_8identityIvEEEESG_SJ_SK_mSL_SN_bEUlT_E_NS1_11comp_targetILNS1_3genE2ELNS1_11target_archE906ELNS1_3gpuE6ELNS1_3repE0EEENS1_30default_config_static_selectorELNS0_4arch9wavefront6targetE1EEEvT1_
	.globl	_ZN7rocprim17ROCPRIM_400000_NS6detail17trampoline_kernelINS0_14default_configENS1_25transform_config_selectorIdLb0EEEZNS1_14transform_implILb0ES3_S5_NS0_18transform_iteratorINS0_17counting_iteratorImlEEZNS1_24adjacent_difference_implIS3_Lb1ELb0EPdSB_N6thrust23THRUST_200600_302600_NS5minusIdEEEE10hipError_tPvRmT2_T3_mT4_P12ihipStream_tbEUlmE_dEESB_NS0_8identityIvEEEESG_SJ_SK_mSL_SN_bEUlT_E_NS1_11comp_targetILNS1_3genE2ELNS1_11target_archE906ELNS1_3gpuE6ELNS1_3repE0EEENS1_30default_config_static_selectorELNS0_4arch9wavefront6targetE1EEEvT1_
	.p2align	8
	.type	_ZN7rocprim17ROCPRIM_400000_NS6detail17trampoline_kernelINS0_14default_configENS1_25transform_config_selectorIdLb0EEEZNS1_14transform_implILb0ES3_S5_NS0_18transform_iteratorINS0_17counting_iteratorImlEEZNS1_24adjacent_difference_implIS3_Lb1ELb0EPdSB_N6thrust23THRUST_200600_302600_NS5minusIdEEEE10hipError_tPvRmT2_T3_mT4_P12ihipStream_tbEUlmE_dEESB_NS0_8identityIvEEEESG_SJ_SK_mSL_SN_bEUlT_E_NS1_11comp_targetILNS1_3genE2ELNS1_11target_archE906ELNS1_3gpuE6ELNS1_3repE0EEENS1_30default_config_static_selectorELNS0_4arch9wavefront6targetE1EEEvT1_,@function
_ZN7rocprim17ROCPRIM_400000_NS6detail17trampoline_kernelINS0_14default_configENS1_25transform_config_selectorIdLb0EEEZNS1_14transform_implILb0ES3_S5_NS0_18transform_iteratorINS0_17counting_iteratorImlEEZNS1_24adjacent_difference_implIS3_Lb1ELb0EPdSB_N6thrust23THRUST_200600_302600_NS5minusIdEEEE10hipError_tPvRmT2_T3_mT4_P12ihipStream_tbEUlmE_dEESB_NS0_8identityIvEEEESG_SJ_SK_mSL_SN_bEUlT_E_NS1_11comp_targetILNS1_3genE2ELNS1_11target_archE906ELNS1_3gpuE6ELNS1_3repE0EEENS1_30default_config_static_selectorELNS0_4arch9wavefront6targetE1EEEvT1_: ; @_ZN7rocprim17ROCPRIM_400000_NS6detail17trampoline_kernelINS0_14default_configENS1_25transform_config_selectorIdLb0EEEZNS1_14transform_implILb0ES3_S5_NS0_18transform_iteratorINS0_17counting_iteratorImlEEZNS1_24adjacent_difference_implIS3_Lb1ELb0EPdSB_N6thrust23THRUST_200600_302600_NS5minusIdEEEE10hipError_tPvRmT2_T3_mT4_P12ihipStream_tbEUlmE_dEESB_NS0_8identityIvEEEESG_SJ_SK_mSL_SN_bEUlT_E_NS1_11comp_targetILNS1_3genE2ELNS1_11target_archE906ELNS1_3gpuE6ELNS1_3repE0EEENS1_30default_config_static_selectorELNS0_4arch9wavefront6targetE1EEEvT1_
; %bb.0:
	.section	.rodata,"a",@progbits
	.p2align	6, 0x0
	.amdhsa_kernel _ZN7rocprim17ROCPRIM_400000_NS6detail17trampoline_kernelINS0_14default_configENS1_25transform_config_selectorIdLb0EEEZNS1_14transform_implILb0ES3_S5_NS0_18transform_iteratorINS0_17counting_iteratorImlEEZNS1_24adjacent_difference_implIS3_Lb1ELb0EPdSB_N6thrust23THRUST_200600_302600_NS5minusIdEEEE10hipError_tPvRmT2_T3_mT4_P12ihipStream_tbEUlmE_dEESB_NS0_8identityIvEEEESG_SJ_SK_mSL_SN_bEUlT_E_NS1_11comp_targetILNS1_3genE2ELNS1_11target_archE906ELNS1_3gpuE6ELNS1_3repE0EEENS1_30default_config_static_selectorELNS0_4arch9wavefront6targetE1EEEvT1_
		.amdhsa_group_segment_fixed_size 0
		.amdhsa_private_segment_fixed_size 0
		.amdhsa_kernarg_size 56
		.amdhsa_user_sgpr_count 6
		.amdhsa_user_sgpr_private_segment_buffer 1
		.amdhsa_user_sgpr_dispatch_ptr 0
		.amdhsa_user_sgpr_queue_ptr 0
		.amdhsa_user_sgpr_kernarg_segment_ptr 1
		.amdhsa_user_sgpr_dispatch_id 0
		.amdhsa_user_sgpr_flat_scratch_init 0
		.amdhsa_user_sgpr_kernarg_preload_length 0
		.amdhsa_user_sgpr_kernarg_preload_offset 0
		.amdhsa_user_sgpr_private_segment_size 0
		.amdhsa_uses_dynamic_stack 0
		.amdhsa_system_sgpr_private_segment_wavefront_offset 0
		.amdhsa_system_sgpr_workgroup_id_x 1
		.amdhsa_system_sgpr_workgroup_id_y 0
		.amdhsa_system_sgpr_workgroup_id_z 0
		.amdhsa_system_sgpr_workgroup_info 0
		.amdhsa_system_vgpr_workitem_id 0
		.amdhsa_next_free_vgpr 1
		.amdhsa_next_free_sgpr 0
		.amdhsa_accum_offset 4
		.amdhsa_reserve_vcc 0
		.amdhsa_reserve_flat_scratch 0
		.amdhsa_float_round_mode_32 0
		.amdhsa_float_round_mode_16_64 0
		.amdhsa_float_denorm_mode_32 3
		.amdhsa_float_denorm_mode_16_64 3
		.amdhsa_dx10_clamp 1
		.amdhsa_ieee_mode 1
		.amdhsa_fp16_overflow 0
		.amdhsa_tg_split 0
		.amdhsa_exception_fp_ieee_invalid_op 0
		.amdhsa_exception_fp_denorm_src 0
		.amdhsa_exception_fp_ieee_div_zero 0
		.amdhsa_exception_fp_ieee_overflow 0
		.amdhsa_exception_fp_ieee_underflow 0
		.amdhsa_exception_fp_ieee_inexact 0
		.amdhsa_exception_int_div_zero 0
	.end_amdhsa_kernel
	.section	.text._ZN7rocprim17ROCPRIM_400000_NS6detail17trampoline_kernelINS0_14default_configENS1_25transform_config_selectorIdLb0EEEZNS1_14transform_implILb0ES3_S5_NS0_18transform_iteratorINS0_17counting_iteratorImlEEZNS1_24adjacent_difference_implIS3_Lb1ELb0EPdSB_N6thrust23THRUST_200600_302600_NS5minusIdEEEE10hipError_tPvRmT2_T3_mT4_P12ihipStream_tbEUlmE_dEESB_NS0_8identityIvEEEESG_SJ_SK_mSL_SN_bEUlT_E_NS1_11comp_targetILNS1_3genE2ELNS1_11target_archE906ELNS1_3gpuE6ELNS1_3repE0EEENS1_30default_config_static_selectorELNS0_4arch9wavefront6targetE1EEEvT1_,"axG",@progbits,_ZN7rocprim17ROCPRIM_400000_NS6detail17trampoline_kernelINS0_14default_configENS1_25transform_config_selectorIdLb0EEEZNS1_14transform_implILb0ES3_S5_NS0_18transform_iteratorINS0_17counting_iteratorImlEEZNS1_24adjacent_difference_implIS3_Lb1ELb0EPdSB_N6thrust23THRUST_200600_302600_NS5minusIdEEEE10hipError_tPvRmT2_T3_mT4_P12ihipStream_tbEUlmE_dEESB_NS0_8identityIvEEEESG_SJ_SK_mSL_SN_bEUlT_E_NS1_11comp_targetILNS1_3genE2ELNS1_11target_archE906ELNS1_3gpuE6ELNS1_3repE0EEENS1_30default_config_static_selectorELNS0_4arch9wavefront6targetE1EEEvT1_,comdat
.Lfunc_end428:
	.size	_ZN7rocprim17ROCPRIM_400000_NS6detail17trampoline_kernelINS0_14default_configENS1_25transform_config_selectorIdLb0EEEZNS1_14transform_implILb0ES3_S5_NS0_18transform_iteratorINS0_17counting_iteratorImlEEZNS1_24adjacent_difference_implIS3_Lb1ELb0EPdSB_N6thrust23THRUST_200600_302600_NS5minusIdEEEE10hipError_tPvRmT2_T3_mT4_P12ihipStream_tbEUlmE_dEESB_NS0_8identityIvEEEESG_SJ_SK_mSL_SN_bEUlT_E_NS1_11comp_targetILNS1_3genE2ELNS1_11target_archE906ELNS1_3gpuE6ELNS1_3repE0EEENS1_30default_config_static_selectorELNS0_4arch9wavefront6targetE1EEEvT1_, .Lfunc_end428-_ZN7rocprim17ROCPRIM_400000_NS6detail17trampoline_kernelINS0_14default_configENS1_25transform_config_selectorIdLb0EEEZNS1_14transform_implILb0ES3_S5_NS0_18transform_iteratorINS0_17counting_iteratorImlEEZNS1_24adjacent_difference_implIS3_Lb1ELb0EPdSB_N6thrust23THRUST_200600_302600_NS5minusIdEEEE10hipError_tPvRmT2_T3_mT4_P12ihipStream_tbEUlmE_dEESB_NS0_8identityIvEEEESG_SJ_SK_mSL_SN_bEUlT_E_NS1_11comp_targetILNS1_3genE2ELNS1_11target_archE906ELNS1_3gpuE6ELNS1_3repE0EEENS1_30default_config_static_selectorELNS0_4arch9wavefront6targetE1EEEvT1_
                                        ; -- End function
	.section	.AMDGPU.csdata,"",@progbits
; Kernel info:
; codeLenInByte = 0
; NumSgprs: 4
; NumVgprs: 0
; NumAgprs: 0
; TotalNumVgprs: 0
; ScratchSize: 0
; MemoryBound: 0
; FloatMode: 240
; IeeeMode: 1
; LDSByteSize: 0 bytes/workgroup (compile time only)
; SGPRBlocks: 0
; VGPRBlocks: 0
; NumSGPRsForWavesPerEU: 4
; NumVGPRsForWavesPerEU: 1
; AccumOffset: 4
; Occupancy: 8
; WaveLimiterHint : 0
; COMPUTE_PGM_RSRC2:SCRATCH_EN: 0
; COMPUTE_PGM_RSRC2:USER_SGPR: 6
; COMPUTE_PGM_RSRC2:TRAP_HANDLER: 0
; COMPUTE_PGM_RSRC2:TGID_X_EN: 1
; COMPUTE_PGM_RSRC2:TGID_Y_EN: 0
; COMPUTE_PGM_RSRC2:TGID_Z_EN: 0
; COMPUTE_PGM_RSRC2:TIDIG_COMP_CNT: 0
; COMPUTE_PGM_RSRC3_GFX90A:ACCUM_OFFSET: 0
; COMPUTE_PGM_RSRC3_GFX90A:TG_SPLIT: 0
	.section	.text._ZN7rocprim17ROCPRIM_400000_NS6detail17trampoline_kernelINS0_14default_configENS1_25transform_config_selectorIdLb0EEEZNS1_14transform_implILb0ES3_S5_NS0_18transform_iteratorINS0_17counting_iteratorImlEEZNS1_24adjacent_difference_implIS3_Lb1ELb0EPdSB_N6thrust23THRUST_200600_302600_NS5minusIdEEEE10hipError_tPvRmT2_T3_mT4_P12ihipStream_tbEUlmE_dEESB_NS0_8identityIvEEEESG_SJ_SK_mSL_SN_bEUlT_E_NS1_11comp_targetILNS1_3genE10ELNS1_11target_archE1201ELNS1_3gpuE5ELNS1_3repE0EEENS1_30default_config_static_selectorELNS0_4arch9wavefront6targetE1EEEvT1_,"axG",@progbits,_ZN7rocprim17ROCPRIM_400000_NS6detail17trampoline_kernelINS0_14default_configENS1_25transform_config_selectorIdLb0EEEZNS1_14transform_implILb0ES3_S5_NS0_18transform_iteratorINS0_17counting_iteratorImlEEZNS1_24adjacent_difference_implIS3_Lb1ELb0EPdSB_N6thrust23THRUST_200600_302600_NS5minusIdEEEE10hipError_tPvRmT2_T3_mT4_P12ihipStream_tbEUlmE_dEESB_NS0_8identityIvEEEESG_SJ_SK_mSL_SN_bEUlT_E_NS1_11comp_targetILNS1_3genE10ELNS1_11target_archE1201ELNS1_3gpuE5ELNS1_3repE0EEENS1_30default_config_static_selectorELNS0_4arch9wavefront6targetE1EEEvT1_,comdat
	.protected	_ZN7rocprim17ROCPRIM_400000_NS6detail17trampoline_kernelINS0_14default_configENS1_25transform_config_selectorIdLb0EEEZNS1_14transform_implILb0ES3_S5_NS0_18transform_iteratorINS0_17counting_iteratorImlEEZNS1_24adjacent_difference_implIS3_Lb1ELb0EPdSB_N6thrust23THRUST_200600_302600_NS5minusIdEEEE10hipError_tPvRmT2_T3_mT4_P12ihipStream_tbEUlmE_dEESB_NS0_8identityIvEEEESG_SJ_SK_mSL_SN_bEUlT_E_NS1_11comp_targetILNS1_3genE10ELNS1_11target_archE1201ELNS1_3gpuE5ELNS1_3repE0EEENS1_30default_config_static_selectorELNS0_4arch9wavefront6targetE1EEEvT1_ ; -- Begin function _ZN7rocprim17ROCPRIM_400000_NS6detail17trampoline_kernelINS0_14default_configENS1_25transform_config_selectorIdLb0EEEZNS1_14transform_implILb0ES3_S5_NS0_18transform_iteratorINS0_17counting_iteratorImlEEZNS1_24adjacent_difference_implIS3_Lb1ELb0EPdSB_N6thrust23THRUST_200600_302600_NS5minusIdEEEE10hipError_tPvRmT2_T3_mT4_P12ihipStream_tbEUlmE_dEESB_NS0_8identityIvEEEESG_SJ_SK_mSL_SN_bEUlT_E_NS1_11comp_targetILNS1_3genE10ELNS1_11target_archE1201ELNS1_3gpuE5ELNS1_3repE0EEENS1_30default_config_static_selectorELNS0_4arch9wavefront6targetE1EEEvT1_
	.globl	_ZN7rocprim17ROCPRIM_400000_NS6detail17trampoline_kernelINS0_14default_configENS1_25transform_config_selectorIdLb0EEEZNS1_14transform_implILb0ES3_S5_NS0_18transform_iteratorINS0_17counting_iteratorImlEEZNS1_24adjacent_difference_implIS3_Lb1ELb0EPdSB_N6thrust23THRUST_200600_302600_NS5minusIdEEEE10hipError_tPvRmT2_T3_mT4_P12ihipStream_tbEUlmE_dEESB_NS0_8identityIvEEEESG_SJ_SK_mSL_SN_bEUlT_E_NS1_11comp_targetILNS1_3genE10ELNS1_11target_archE1201ELNS1_3gpuE5ELNS1_3repE0EEENS1_30default_config_static_selectorELNS0_4arch9wavefront6targetE1EEEvT1_
	.p2align	8
	.type	_ZN7rocprim17ROCPRIM_400000_NS6detail17trampoline_kernelINS0_14default_configENS1_25transform_config_selectorIdLb0EEEZNS1_14transform_implILb0ES3_S5_NS0_18transform_iteratorINS0_17counting_iteratorImlEEZNS1_24adjacent_difference_implIS3_Lb1ELb0EPdSB_N6thrust23THRUST_200600_302600_NS5minusIdEEEE10hipError_tPvRmT2_T3_mT4_P12ihipStream_tbEUlmE_dEESB_NS0_8identityIvEEEESG_SJ_SK_mSL_SN_bEUlT_E_NS1_11comp_targetILNS1_3genE10ELNS1_11target_archE1201ELNS1_3gpuE5ELNS1_3repE0EEENS1_30default_config_static_selectorELNS0_4arch9wavefront6targetE1EEEvT1_,@function
_ZN7rocprim17ROCPRIM_400000_NS6detail17trampoline_kernelINS0_14default_configENS1_25transform_config_selectorIdLb0EEEZNS1_14transform_implILb0ES3_S5_NS0_18transform_iteratorINS0_17counting_iteratorImlEEZNS1_24adjacent_difference_implIS3_Lb1ELb0EPdSB_N6thrust23THRUST_200600_302600_NS5minusIdEEEE10hipError_tPvRmT2_T3_mT4_P12ihipStream_tbEUlmE_dEESB_NS0_8identityIvEEEESG_SJ_SK_mSL_SN_bEUlT_E_NS1_11comp_targetILNS1_3genE10ELNS1_11target_archE1201ELNS1_3gpuE5ELNS1_3repE0EEENS1_30default_config_static_selectorELNS0_4arch9wavefront6targetE1EEEvT1_: ; @_ZN7rocprim17ROCPRIM_400000_NS6detail17trampoline_kernelINS0_14default_configENS1_25transform_config_selectorIdLb0EEEZNS1_14transform_implILb0ES3_S5_NS0_18transform_iteratorINS0_17counting_iteratorImlEEZNS1_24adjacent_difference_implIS3_Lb1ELb0EPdSB_N6thrust23THRUST_200600_302600_NS5minusIdEEEE10hipError_tPvRmT2_T3_mT4_P12ihipStream_tbEUlmE_dEESB_NS0_8identityIvEEEESG_SJ_SK_mSL_SN_bEUlT_E_NS1_11comp_targetILNS1_3genE10ELNS1_11target_archE1201ELNS1_3gpuE5ELNS1_3repE0EEENS1_30default_config_static_selectorELNS0_4arch9wavefront6targetE1EEEvT1_
; %bb.0:
	.section	.rodata,"a",@progbits
	.p2align	6, 0x0
	.amdhsa_kernel _ZN7rocprim17ROCPRIM_400000_NS6detail17trampoline_kernelINS0_14default_configENS1_25transform_config_selectorIdLb0EEEZNS1_14transform_implILb0ES3_S5_NS0_18transform_iteratorINS0_17counting_iteratorImlEEZNS1_24adjacent_difference_implIS3_Lb1ELb0EPdSB_N6thrust23THRUST_200600_302600_NS5minusIdEEEE10hipError_tPvRmT2_T3_mT4_P12ihipStream_tbEUlmE_dEESB_NS0_8identityIvEEEESG_SJ_SK_mSL_SN_bEUlT_E_NS1_11comp_targetILNS1_3genE10ELNS1_11target_archE1201ELNS1_3gpuE5ELNS1_3repE0EEENS1_30default_config_static_selectorELNS0_4arch9wavefront6targetE1EEEvT1_
		.amdhsa_group_segment_fixed_size 0
		.amdhsa_private_segment_fixed_size 0
		.amdhsa_kernarg_size 56
		.amdhsa_user_sgpr_count 6
		.amdhsa_user_sgpr_private_segment_buffer 1
		.amdhsa_user_sgpr_dispatch_ptr 0
		.amdhsa_user_sgpr_queue_ptr 0
		.amdhsa_user_sgpr_kernarg_segment_ptr 1
		.amdhsa_user_sgpr_dispatch_id 0
		.amdhsa_user_sgpr_flat_scratch_init 0
		.amdhsa_user_sgpr_kernarg_preload_length 0
		.amdhsa_user_sgpr_kernarg_preload_offset 0
		.amdhsa_user_sgpr_private_segment_size 0
		.amdhsa_uses_dynamic_stack 0
		.amdhsa_system_sgpr_private_segment_wavefront_offset 0
		.amdhsa_system_sgpr_workgroup_id_x 1
		.amdhsa_system_sgpr_workgroup_id_y 0
		.amdhsa_system_sgpr_workgroup_id_z 0
		.amdhsa_system_sgpr_workgroup_info 0
		.amdhsa_system_vgpr_workitem_id 0
		.amdhsa_next_free_vgpr 1
		.amdhsa_next_free_sgpr 0
		.amdhsa_accum_offset 4
		.amdhsa_reserve_vcc 0
		.amdhsa_reserve_flat_scratch 0
		.amdhsa_float_round_mode_32 0
		.amdhsa_float_round_mode_16_64 0
		.amdhsa_float_denorm_mode_32 3
		.amdhsa_float_denorm_mode_16_64 3
		.amdhsa_dx10_clamp 1
		.amdhsa_ieee_mode 1
		.amdhsa_fp16_overflow 0
		.amdhsa_tg_split 0
		.amdhsa_exception_fp_ieee_invalid_op 0
		.amdhsa_exception_fp_denorm_src 0
		.amdhsa_exception_fp_ieee_div_zero 0
		.amdhsa_exception_fp_ieee_overflow 0
		.amdhsa_exception_fp_ieee_underflow 0
		.amdhsa_exception_fp_ieee_inexact 0
		.amdhsa_exception_int_div_zero 0
	.end_amdhsa_kernel
	.section	.text._ZN7rocprim17ROCPRIM_400000_NS6detail17trampoline_kernelINS0_14default_configENS1_25transform_config_selectorIdLb0EEEZNS1_14transform_implILb0ES3_S5_NS0_18transform_iteratorINS0_17counting_iteratorImlEEZNS1_24adjacent_difference_implIS3_Lb1ELb0EPdSB_N6thrust23THRUST_200600_302600_NS5minusIdEEEE10hipError_tPvRmT2_T3_mT4_P12ihipStream_tbEUlmE_dEESB_NS0_8identityIvEEEESG_SJ_SK_mSL_SN_bEUlT_E_NS1_11comp_targetILNS1_3genE10ELNS1_11target_archE1201ELNS1_3gpuE5ELNS1_3repE0EEENS1_30default_config_static_selectorELNS0_4arch9wavefront6targetE1EEEvT1_,"axG",@progbits,_ZN7rocprim17ROCPRIM_400000_NS6detail17trampoline_kernelINS0_14default_configENS1_25transform_config_selectorIdLb0EEEZNS1_14transform_implILb0ES3_S5_NS0_18transform_iteratorINS0_17counting_iteratorImlEEZNS1_24adjacent_difference_implIS3_Lb1ELb0EPdSB_N6thrust23THRUST_200600_302600_NS5minusIdEEEE10hipError_tPvRmT2_T3_mT4_P12ihipStream_tbEUlmE_dEESB_NS0_8identityIvEEEESG_SJ_SK_mSL_SN_bEUlT_E_NS1_11comp_targetILNS1_3genE10ELNS1_11target_archE1201ELNS1_3gpuE5ELNS1_3repE0EEENS1_30default_config_static_selectorELNS0_4arch9wavefront6targetE1EEEvT1_,comdat
.Lfunc_end429:
	.size	_ZN7rocprim17ROCPRIM_400000_NS6detail17trampoline_kernelINS0_14default_configENS1_25transform_config_selectorIdLb0EEEZNS1_14transform_implILb0ES3_S5_NS0_18transform_iteratorINS0_17counting_iteratorImlEEZNS1_24adjacent_difference_implIS3_Lb1ELb0EPdSB_N6thrust23THRUST_200600_302600_NS5minusIdEEEE10hipError_tPvRmT2_T3_mT4_P12ihipStream_tbEUlmE_dEESB_NS0_8identityIvEEEESG_SJ_SK_mSL_SN_bEUlT_E_NS1_11comp_targetILNS1_3genE10ELNS1_11target_archE1201ELNS1_3gpuE5ELNS1_3repE0EEENS1_30default_config_static_selectorELNS0_4arch9wavefront6targetE1EEEvT1_, .Lfunc_end429-_ZN7rocprim17ROCPRIM_400000_NS6detail17trampoline_kernelINS0_14default_configENS1_25transform_config_selectorIdLb0EEEZNS1_14transform_implILb0ES3_S5_NS0_18transform_iteratorINS0_17counting_iteratorImlEEZNS1_24adjacent_difference_implIS3_Lb1ELb0EPdSB_N6thrust23THRUST_200600_302600_NS5minusIdEEEE10hipError_tPvRmT2_T3_mT4_P12ihipStream_tbEUlmE_dEESB_NS0_8identityIvEEEESG_SJ_SK_mSL_SN_bEUlT_E_NS1_11comp_targetILNS1_3genE10ELNS1_11target_archE1201ELNS1_3gpuE5ELNS1_3repE0EEENS1_30default_config_static_selectorELNS0_4arch9wavefront6targetE1EEEvT1_
                                        ; -- End function
	.section	.AMDGPU.csdata,"",@progbits
; Kernel info:
; codeLenInByte = 0
; NumSgprs: 4
; NumVgprs: 0
; NumAgprs: 0
; TotalNumVgprs: 0
; ScratchSize: 0
; MemoryBound: 0
; FloatMode: 240
; IeeeMode: 1
; LDSByteSize: 0 bytes/workgroup (compile time only)
; SGPRBlocks: 0
; VGPRBlocks: 0
; NumSGPRsForWavesPerEU: 4
; NumVGPRsForWavesPerEU: 1
; AccumOffset: 4
; Occupancy: 8
; WaveLimiterHint : 0
; COMPUTE_PGM_RSRC2:SCRATCH_EN: 0
; COMPUTE_PGM_RSRC2:USER_SGPR: 6
; COMPUTE_PGM_RSRC2:TRAP_HANDLER: 0
; COMPUTE_PGM_RSRC2:TGID_X_EN: 1
; COMPUTE_PGM_RSRC2:TGID_Y_EN: 0
; COMPUTE_PGM_RSRC2:TGID_Z_EN: 0
; COMPUTE_PGM_RSRC2:TIDIG_COMP_CNT: 0
; COMPUTE_PGM_RSRC3_GFX90A:ACCUM_OFFSET: 0
; COMPUTE_PGM_RSRC3_GFX90A:TG_SPLIT: 0
	.section	.text._ZN7rocprim17ROCPRIM_400000_NS6detail17trampoline_kernelINS0_14default_configENS1_25transform_config_selectorIdLb0EEEZNS1_14transform_implILb0ES3_S5_NS0_18transform_iteratorINS0_17counting_iteratorImlEEZNS1_24adjacent_difference_implIS3_Lb1ELb0EPdSB_N6thrust23THRUST_200600_302600_NS5minusIdEEEE10hipError_tPvRmT2_T3_mT4_P12ihipStream_tbEUlmE_dEESB_NS0_8identityIvEEEESG_SJ_SK_mSL_SN_bEUlT_E_NS1_11comp_targetILNS1_3genE10ELNS1_11target_archE1200ELNS1_3gpuE4ELNS1_3repE0EEENS1_30default_config_static_selectorELNS0_4arch9wavefront6targetE1EEEvT1_,"axG",@progbits,_ZN7rocprim17ROCPRIM_400000_NS6detail17trampoline_kernelINS0_14default_configENS1_25transform_config_selectorIdLb0EEEZNS1_14transform_implILb0ES3_S5_NS0_18transform_iteratorINS0_17counting_iteratorImlEEZNS1_24adjacent_difference_implIS3_Lb1ELb0EPdSB_N6thrust23THRUST_200600_302600_NS5minusIdEEEE10hipError_tPvRmT2_T3_mT4_P12ihipStream_tbEUlmE_dEESB_NS0_8identityIvEEEESG_SJ_SK_mSL_SN_bEUlT_E_NS1_11comp_targetILNS1_3genE10ELNS1_11target_archE1200ELNS1_3gpuE4ELNS1_3repE0EEENS1_30default_config_static_selectorELNS0_4arch9wavefront6targetE1EEEvT1_,comdat
	.protected	_ZN7rocprim17ROCPRIM_400000_NS6detail17trampoline_kernelINS0_14default_configENS1_25transform_config_selectorIdLb0EEEZNS1_14transform_implILb0ES3_S5_NS0_18transform_iteratorINS0_17counting_iteratorImlEEZNS1_24adjacent_difference_implIS3_Lb1ELb0EPdSB_N6thrust23THRUST_200600_302600_NS5minusIdEEEE10hipError_tPvRmT2_T3_mT4_P12ihipStream_tbEUlmE_dEESB_NS0_8identityIvEEEESG_SJ_SK_mSL_SN_bEUlT_E_NS1_11comp_targetILNS1_3genE10ELNS1_11target_archE1200ELNS1_3gpuE4ELNS1_3repE0EEENS1_30default_config_static_selectorELNS0_4arch9wavefront6targetE1EEEvT1_ ; -- Begin function _ZN7rocprim17ROCPRIM_400000_NS6detail17trampoline_kernelINS0_14default_configENS1_25transform_config_selectorIdLb0EEEZNS1_14transform_implILb0ES3_S5_NS0_18transform_iteratorINS0_17counting_iteratorImlEEZNS1_24adjacent_difference_implIS3_Lb1ELb0EPdSB_N6thrust23THRUST_200600_302600_NS5minusIdEEEE10hipError_tPvRmT2_T3_mT4_P12ihipStream_tbEUlmE_dEESB_NS0_8identityIvEEEESG_SJ_SK_mSL_SN_bEUlT_E_NS1_11comp_targetILNS1_3genE10ELNS1_11target_archE1200ELNS1_3gpuE4ELNS1_3repE0EEENS1_30default_config_static_selectorELNS0_4arch9wavefront6targetE1EEEvT1_
	.globl	_ZN7rocprim17ROCPRIM_400000_NS6detail17trampoline_kernelINS0_14default_configENS1_25transform_config_selectorIdLb0EEEZNS1_14transform_implILb0ES3_S5_NS0_18transform_iteratorINS0_17counting_iteratorImlEEZNS1_24adjacent_difference_implIS3_Lb1ELb0EPdSB_N6thrust23THRUST_200600_302600_NS5minusIdEEEE10hipError_tPvRmT2_T3_mT4_P12ihipStream_tbEUlmE_dEESB_NS0_8identityIvEEEESG_SJ_SK_mSL_SN_bEUlT_E_NS1_11comp_targetILNS1_3genE10ELNS1_11target_archE1200ELNS1_3gpuE4ELNS1_3repE0EEENS1_30default_config_static_selectorELNS0_4arch9wavefront6targetE1EEEvT1_
	.p2align	8
	.type	_ZN7rocprim17ROCPRIM_400000_NS6detail17trampoline_kernelINS0_14default_configENS1_25transform_config_selectorIdLb0EEEZNS1_14transform_implILb0ES3_S5_NS0_18transform_iteratorINS0_17counting_iteratorImlEEZNS1_24adjacent_difference_implIS3_Lb1ELb0EPdSB_N6thrust23THRUST_200600_302600_NS5minusIdEEEE10hipError_tPvRmT2_T3_mT4_P12ihipStream_tbEUlmE_dEESB_NS0_8identityIvEEEESG_SJ_SK_mSL_SN_bEUlT_E_NS1_11comp_targetILNS1_3genE10ELNS1_11target_archE1200ELNS1_3gpuE4ELNS1_3repE0EEENS1_30default_config_static_selectorELNS0_4arch9wavefront6targetE1EEEvT1_,@function
_ZN7rocprim17ROCPRIM_400000_NS6detail17trampoline_kernelINS0_14default_configENS1_25transform_config_selectorIdLb0EEEZNS1_14transform_implILb0ES3_S5_NS0_18transform_iteratorINS0_17counting_iteratorImlEEZNS1_24adjacent_difference_implIS3_Lb1ELb0EPdSB_N6thrust23THRUST_200600_302600_NS5minusIdEEEE10hipError_tPvRmT2_T3_mT4_P12ihipStream_tbEUlmE_dEESB_NS0_8identityIvEEEESG_SJ_SK_mSL_SN_bEUlT_E_NS1_11comp_targetILNS1_3genE10ELNS1_11target_archE1200ELNS1_3gpuE4ELNS1_3repE0EEENS1_30default_config_static_selectorELNS0_4arch9wavefront6targetE1EEEvT1_: ; @_ZN7rocprim17ROCPRIM_400000_NS6detail17trampoline_kernelINS0_14default_configENS1_25transform_config_selectorIdLb0EEEZNS1_14transform_implILb0ES3_S5_NS0_18transform_iteratorINS0_17counting_iteratorImlEEZNS1_24adjacent_difference_implIS3_Lb1ELb0EPdSB_N6thrust23THRUST_200600_302600_NS5minusIdEEEE10hipError_tPvRmT2_T3_mT4_P12ihipStream_tbEUlmE_dEESB_NS0_8identityIvEEEESG_SJ_SK_mSL_SN_bEUlT_E_NS1_11comp_targetILNS1_3genE10ELNS1_11target_archE1200ELNS1_3gpuE4ELNS1_3repE0EEENS1_30default_config_static_selectorELNS0_4arch9wavefront6targetE1EEEvT1_
; %bb.0:
	.section	.rodata,"a",@progbits
	.p2align	6, 0x0
	.amdhsa_kernel _ZN7rocprim17ROCPRIM_400000_NS6detail17trampoline_kernelINS0_14default_configENS1_25transform_config_selectorIdLb0EEEZNS1_14transform_implILb0ES3_S5_NS0_18transform_iteratorINS0_17counting_iteratorImlEEZNS1_24adjacent_difference_implIS3_Lb1ELb0EPdSB_N6thrust23THRUST_200600_302600_NS5minusIdEEEE10hipError_tPvRmT2_T3_mT4_P12ihipStream_tbEUlmE_dEESB_NS0_8identityIvEEEESG_SJ_SK_mSL_SN_bEUlT_E_NS1_11comp_targetILNS1_3genE10ELNS1_11target_archE1200ELNS1_3gpuE4ELNS1_3repE0EEENS1_30default_config_static_selectorELNS0_4arch9wavefront6targetE1EEEvT1_
		.amdhsa_group_segment_fixed_size 0
		.amdhsa_private_segment_fixed_size 0
		.amdhsa_kernarg_size 56
		.amdhsa_user_sgpr_count 6
		.amdhsa_user_sgpr_private_segment_buffer 1
		.amdhsa_user_sgpr_dispatch_ptr 0
		.amdhsa_user_sgpr_queue_ptr 0
		.amdhsa_user_sgpr_kernarg_segment_ptr 1
		.amdhsa_user_sgpr_dispatch_id 0
		.amdhsa_user_sgpr_flat_scratch_init 0
		.amdhsa_user_sgpr_kernarg_preload_length 0
		.amdhsa_user_sgpr_kernarg_preload_offset 0
		.amdhsa_user_sgpr_private_segment_size 0
		.amdhsa_uses_dynamic_stack 0
		.amdhsa_system_sgpr_private_segment_wavefront_offset 0
		.amdhsa_system_sgpr_workgroup_id_x 1
		.amdhsa_system_sgpr_workgroup_id_y 0
		.amdhsa_system_sgpr_workgroup_id_z 0
		.amdhsa_system_sgpr_workgroup_info 0
		.amdhsa_system_vgpr_workitem_id 0
		.amdhsa_next_free_vgpr 1
		.amdhsa_next_free_sgpr 0
		.amdhsa_accum_offset 4
		.amdhsa_reserve_vcc 0
		.amdhsa_reserve_flat_scratch 0
		.amdhsa_float_round_mode_32 0
		.amdhsa_float_round_mode_16_64 0
		.amdhsa_float_denorm_mode_32 3
		.amdhsa_float_denorm_mode_16_64 3
		.amdhsa_dx10_clamp 1
		.amdhsa_ieee_mode 1
		.amdhsa_fp16_overflow 0
		.amdhsa_tg_split 0
		.amdhsa_exception_fp_ieee_invalid_op 0
		.amdhsa_exception_fp_denorm_src 0
		.amdhsa_exception_fp_ieee_div_zero 0
		.amdhsa_exception_fp_ieee_overflow 0
		.amdhsa_exception_fp_ieee_underflow 0
		.amdhsa_exception_fp_ieee_inexact 0
		.amdhsa_exception_int_div_zero 0
	.end_amdhsa_kernel
	.section	.text._ZN7rocprim17ROCPRIM_400000_NS6detail17trampoline_kernelINS0_14default_configENS1_25transform_config_selectorIdLb0EEEZNS1_14transform_implILb0ES3_S5_NS0_18transform_iteratorINS0_17counting_iteratorImlEEZNS1_24adjacent_difference_implIS3_Lb1ELb0EPdSB_N6thrust23THRUST_200600_302600_NS5minusIdEEEE10hipError_tPvRmT2_T3_mT4_P12ihipStream_tbEUlmE_dEESB_NS0_8identityIvEEEESG_SJ_SK_mSL_SN_bEUlT_E_NS1_11comp_targetILNS1_3genE10ELNS1_11target_archE1200ELNS1_3gpuE4ELNS1_3repE0EEENS1_30default_config_static_selectorELNS0_4arch9wavefront6targetE1EEEvT1_,"axG",@progbits,_ZN7rocprim17ROCPRIM_400000_NS6detail17trampoline_kernelINS0_14default_configENS1_25transform_config_selectorIdLb0EEEZNS1_14transform_implILb0ES3_S5_NS0_18transform_iteratorINS0_17counting_iteratorImlEEZNS1_24adjacent_difference_implIS3_Lb1ELb0EPdSB_N6thrust23THRUST_200600_302600_NS5minusIdEEEE10hipError_tPvRmT2_T3_mT4_P12ihipStream_tbEUlmE_dEESB_NS0_8identityIvEEEESG_SJ_SK_mSL_SN_bEUlT_E_NS1_11comp_targetILNS1_3genE10ELNS1_11target_archE1200ELNS1_3gpuE4ELNS1_3repE0EEENS1_30default_config_static_selectorELNS0_4arch9wavefront6targetE1EEEvT1_,comdat
.Lfunc_end430:
	.size	_ZN7rocprim17ROCPRIM_400000_NS6detail17trampoline_kernelINS0_14default_configENS1_25transform_config_selectorIdLb0EEEZNS1_14transform_implILb0ES3_S5_NS0_18transform_iteratorINS0_17counting_iteratorImlEEZNS1_24adjacent_difference_implIS3_Lb1ELb0EPdSB_N6thrust23THRUST_200600_302600_NS5minusIdEEEE10hipError_tPvRmT2_T3_mT4_P12ihipStream_tbEUlmE_dEESB_NS0_8identityIvEEEESG_SJ_SK_mSL_SN_bEUlT_E_NS1_11comp_targetILNS1_3genE10ELNS1_11target_archE1200ELNS1_3gpuE4ELNS1_3repE0EEENS1_30default_config_static_selectorELNS0_4arch9wavefront6targetE1EEEvT1_, .Lfunc_end430-_ZN7rocprim17ROCPRIM_400000_NS6detail17trampoline_kernelINS0_14default_configENS1_25transform_config_selectorIdLb0EEEZNS1_14transform_implILb0ES3_S5_NS0_18transform_iteratorINS0_17counting_iteratorImlEEZNS1_24adjacent_difference_implIS3_Lb1ELb0EPdSB_N6thrust23THRUST_200600_302600_NS5minusIdEEEE10hipError_tPvRmT2_T3_mT4_P12ihipStream_tbEUlmE_dEESB_NS0_8identityIvEEEESG_SJ_SK_mSL_SN_bEUlT_E_NS1_11comp_targetILNS1_3genE10ELNS1_11target_archE1200ELNS1_3gpuE4ELNS1_3repE0EEENS1_30default_config_static_selectorELNS0_4arch9wavefront6targetE1EEEvT1_
                                        ; -- End function
	.section	.AMDGPU.csdata,"",@progbits
; Kernel info:
; codeLenInByte = 0
; NumSgprs: 4
; NumVgprs: 0
; NumAgprs: 0
; TotalNumVgprs: 0
; ScratchSize: 0
; MemoryBound: 0
; FloatMode: 240
; IeeeMode: 1
; LDSByteSize: 0 bytes/workgroup (compile time only)
; SGPRBlocks: 0
; VGPRBlocks: 0
; NumSGPRsForWavesPerEU: 4
; NumVGPRsForWavesPerEU: 1
; AccumOffset: 4
; Occupancy: 8
; WaveLimiterHint : 0
; COMPUTE_PGM_RSRC2:SCRATCH_EN: 0
; COMPUTE_PGM_RSRC2:USER_SGPR: 6
; COMPUTE_PGM_RSRC2:TRAP_HANDLER: 0
; COMPUTE_PGM_RSRC2:TGID_X_EN: 1
; COMPUTE_PGM_RSRC2:TGID_Y_EN: 0
; COMPUTE_PGM_RSRC2:TGID_Z_EN: 0
; COMPUTE_PGM_RSRC2:TIDIG_COMP_CNT: 0
; COMPUTE_PGM_RSRC3_GFX90A:ACCUM_OFFSET: 0
; COMPUTE_PGM_RSRC3_GFX90A:TG_SPLIT: 0
	.section	.text._ZN7rocprim17ROCPRIM_400000_NS6detail17trampoline_kernelINS0_14default_configENS1_25transform_config_selectorIdLb0EEEZNS1_14transform_implILb0ES3_S5_NS0_18transform_iteratorINS0_17counting_iteratorImlEEZNS1_24adjacent_difference_implIS3_Lb1ELb0EPdSB_N6thrust23THRUST_200600_302600_NS5minusIdEEEE10hipError_tPvRmT2_T3_mT4_P12ihipStream_tbEUlmE_dEESB_NS0_8identityIvEEEESG_SJ_SK_mSL_SN_bEUlT_E_NS1_11comp_targetILNS1_3genE9ELNS1_11target_archE1100ELNS1_3gpuE3ELNS1_3repE0EEENS1_30default_config_static_selectorELNS0_4arch9wavefront6targetE1EEEvT1_,"axG",@progbits,_ZN7rocprim17ROCPRIM_400000_NS6detail17trampoline_kernelINS0_14default_configENS1_25transform_config_selectorIdLb0EEEZNS1_14transform_implILb0ES3_S5_NS0_18transform_iteratorINS0_17counting_iteratorImlEEZNS1_24adjacent_difference_implIS3_Lb1ELb0EPdSB_N6thrust23THRUST_200600_302600_NS5minusIdEEEE10hipError_tPvRmT2_T3_mT4_P12ihipStream_tbEUlmE_dEESB_NS0_8identityIvEEEESG_SJ_SK_mSL_SN_bEUlT_E_NS1_11comp_targetILNS1_3genE9ELNS1_11target_archE1100ELNS1_3gpuE3ELNS1_3repE0EEENS1_30default_config_static_selectorELNS0_4arch9wavefront6targetE1EEEvT1_,comdat
	.protected	_ZN7rocprim17ROCPRIM_400000_NS6detail17trampoline_kernelINS0_14default_configENS1_25transform_config_selectorIdLb0EEEZNS1_14transform_implILb0ES3_S5_NS0_18transform_iteratorINS0_17counting_iteratorImlEEZNS1_24adjacent_difference_implIS3_Lb1ELb0EPdSB_N6thrust23THRUST_200600_302600_NS5minusIdEEEE10hipError_tPvRmT2_T3_mT4_P12ihipStream_tbEUlmE_dEESB_NS0_8identityIvEEEESG_SJ_SK_mSL_SN_bEUlT_E_NS1_11comp_targetILNS1_3genE9ELNS1_11target_archE1100ELNS1_3gpuE3ELNS1_3repE0EEENS1_30default_config_static_selectorELNS0_4arch9wavefront6targetE1EEEvT1_ ; -- Begin function _ZN7rocprim17ROCPRIM_400000_NS6detail17trampoline_kernelINS0_14default_configENS1_25transform_config_selectorIdLb0EEEZNS1_14transform_implILb0ES3_S5_NS0_18transform_iteratorINS0_17counting_iteratorImlEEZNS1_24adjacent_difference_implIS3_Lb1ELb0EPdSB_N6thrust23THRUST_200600_302600_NS5minusIdEEEE10hipError_tPvRmT2_T3_mT4_P12ihipStream_tbEUlmE_dEESB_NS0_8identityIvEEEESG_SJ_SK_mSL_SN_bEUlT_E_NS1_11comp_targetILNS1_3genE9ELNS1_11target_archE1100ELNS1_3gpuE3ELNS1_3repE0EEENS1_30default_config_static_selectorELNS0_4arch9wavefront6targetE1EEEvT1_
	.globl	_ZN7rocprim17ROCPRIM_400000_NS6detail17trampoline_kernelINS0_14default_configENS1_25transform_config_selectorIdLb0EEEZNS1_14transform_implILb0ES3_S5_NS0_18transform_iteratorINS0_17counting_iteratorImlEEZNS1_24adjacent_difference_implIS3_Lb1ELb0EPdSB_N6thrust23THRUST_200600_302600_NS5minusIdEEEE10hipError_tPvRmT2_T3_mT4_P12ihipStream_tbEUlmE_dEESB_NS0_8identityIvEEEESG_SJ_SK_mSL_SN_bEUlT_E_NS1_11comp_targetILNS1_3genE9ELNS1_11target_archE1100ELNS1_3gpuE3ELNS1_3repE0EEENS1_30default_config_static_selectorELNS0_4arch9wavefront6targetE1EEEvT1_
	.p2align	8
	.type	_ZN7rocprim17ROCPRIM_400000_NS6detail17trampoline_kernelINS0_14default_configENS1_25transform_config_selectorIdLb0EEEZNS1_14transform_implILb0ES3_S5_NS0_18transform_iteratorINS0_17counting_iteratorImlEEZNS1_24adjacent_difference_implIS3_Lb1ELb0EPdSB_N6thrust23THRUST_200600_302600_NS5minusIdEEEE10hipError_tPvRmT2_T3_mT4_P12ihipStream_tbEUlmE_dEESB_NS0_8identityIvEEEESG_SJ_SK_mSL_SN_bEUlT_E_NS1_11comp_targetILNS1_3genE9ELNS1_11target_archE1100ELNS1_3gpuE3ELNS1_3repE0EEENS1_30default_config_static_selectorELNS0_4arch9wavefront6targetE1EEEvT1_,@function
_ZN7rocprim17ROCPRIM_400000_NS6detail17trampoline_kernelINS0_14default_configENS1_25transform_config_selectorIdLb0EEEZNS1_14transform_implILb0ES3_S5_NS0_18transform_iteratorINS0_17counting_iteratorImlEEZNS1_24adjacent_difference_implIS3_Lb1ELb0EPdSB_N6thrust23THRUST_200600_302600_NS5minusIdEEEE10hipError_tPvRmT2_T3_mT4_P12ihipStream_tbEUlmE_dEESB_NS0_8identityIvEEEESG_SJ_SK_mSL_SN_bEUlT_E_NS1_11comp_targetILNS1_3genE9ELNS1_11target_archE1100ELNS1_3gpuE3ELNS1_3repE0EEENS1_30default_config_static_selectorELNS0_4arch9wavefront6targetE1EEEvT1_: ; @_ZN7rocprim17ROCPRIM_400000_NS6detail17trampoline_kernelINS0_14default_configENS1_25transform_config_selectorIdLb0EEEZNS1_14transform_implILb0ES3_S5_NS0_18transform_iteratorINS0_17counting_iteratorImlEEZNS1_24adjacent_difference_implIS3_Lb1ELb0EPdSB_N6thrust23THRUST_200600_302600_NS5minusIdEEEE10hipError_tPvRmT2_T3_mT4_P12ihipStream_tbEUlmE_dEESB_NS0_8identityIvEEEESG_SJ_SK_mSL_SN_bEUlT_E_NS1_11comp_targetILNS1_3genE9ELNS1_11target_archE1100ELNS1_3gpuE3ELNS1_3repE0EEENS1_30default_config_static_selectorELNS0_4arch9wavefront6targetE1EEEvT1_
; %bb.0:
	.section	.rodata,"a",@progbits
	.p2align	6, 0x0
	.amdhsa_kernel _ZN7rocprim17ROCPRIM_400000_NS6detail17trampoline_kernelINS0_14default_configENS1_25transform_config_selectorIdLb0EEEZNS1_14transform_implILb0ES3_S5_NS0_18transform_iteratorINS0_17counting_iteratorImlEEZNS1_24adjacent_difference_implIS3_Lb1ELb0EPdSB_N6thrust23THRUST_200600_302600_NS5minusIdEEEE10hipError_tPvRmT2_T3_mT4_P12ihipStream_tbEUlmE_dEESB_NS0_8identityIvEEEESG_SJ_SK_mSL_SN_bEUlT_E_NS1_11comp_targetILNS1_3genE9ELNS1_11target_archE1100ELNS1_3gpuE3ELNS1_3repE0EEENS1_30default_config_static_selectorELNS0_4arch9wavefront6targetE1EEEvT1_
		.amdhsa_group_segment_fixed_size 0
		.amdhsa_private_segment_fixed_size 0
		.amdhsa_kernarg_size 56
		.amdhsa_user_sgpr_count 6
		.amdhsa_user_sgpr_private_segment_buffer 1
		.amdhsa_user_sgpr_dispatch_ptr 0
		.amdhsa_user_sgpr_queue_ptr 0
		.amdhsa_user_sgpr_kernarg_segment_ptr 1
		.amdhsa_user_sgpr_dispatch_id 0
		.amdhsa_user_sgpr_flat_scratch_init 0
		.amdhsa_user_sgpr_kernarg_preload_length 0
		.amdhsa_user_sgpr_kernarg_preload_offset 0
		.amdhsa_user_sgpr_private_segment_size 0
		.amdhsa_uses_dynamic_stack 0
		.amdhsa_system_sgpr_private_segment_wavefront_offset 0
		.amdhsa_system_sgpr_workgroup_id_x 1
		.amdhsa_system_sgpr_workgroup_id_y 0
		.amdhsa_system_sgpr_workgroup_id_z 0
		.amdhsa_system_sgpr_workgroup_info 0
		.amdhsa_system_vgpr_workitem_id 0
		.amdhsa_next_free_vgpr 1
		.amdhsa_next_free_sgpr 0
		.amdhsa_accum_offset 4
		.amdhsa_reserve_vcc 0
		.amdhsa_reserve_flat_scratch 0
		.amdhsa_float_round_mode_32 0
		.amdhsa_float_round_mode_16_64 0
		.amdhsa_float_denorm_mode_32 3
		.amdhsa_float_denorm_mode_16_64 3
		.amdhsa_dx10_clamp 1
		.amdhsa_ieee_mode 1
		.amdhsa_fp16_overflow 0
		.amdhsa_tg_split 0
		.amdhsa_exception_fp_ieee_invalid_op 0
		.amdhsa_exception_fp_denorm_src 0
		.amdhsa_exception_fp_ieee_div_zero 0
		.amdhsa_exception_fp_ieee_overflow 0
		.amdhsa_exception_fp_ieee_underflow 0
		.amdhsa_exception_fp_ieee_inexact 0
		.amdhsa_exception_int_div_zero 0
	.end_amdhsa_kernel
	.section	.text._ZN7rocprim17ROCPRIM_400000_NS6detail17trampoline_kernelINS0_14default_configENS1_25transform_config_selectorIdLb0EEEZNS1_14transform_implILb0ES3_S5_NS0_18transform_iteratorINS0_17counting_iteratorImlEEZNS1_24adjacent_difference_implIS3_Lb1ELb0EPdSB_N6thrust23THRUST_200600_302600_NS5minusIdEEEE10hipError_tPvRmT2_T3_mT4_P12ihipStream_tbEUlmE_dEESB_NS0_8identityIvEEEESG_SJ_SK_mSL_SN_bEUlT_E_NS1_11comp_targetILNS1_3genE9ELNS1_11target_archE1100ELNS1_3gpuE3ELNS1_3repE0EEENS1_30default_config_static_selectorELNS0_4arch9wavefront6targetE1EEEvT1_,"axG",@progbits,_ZN7rocprim17ROCPRIM_400000_NS6detail17trampoline_kernelINS0_14default_configENS1_25transform_config_selectorIdLb0EEEZNS1_14transform_implILb0ES3_S5_NS0_18transform_iteratorINS0_17counting_iteratorImlEEZNS1_24adjacent_difference_implIS3_Lb1ELb0EPdSB_N6thrust23THRUST_200600_302600_NS5minusIdEEEE10hipError_tPvRmT2_T3_mT4_P12ihipStream_tbEUlmE_dEESB_NS0_8identityIvEEEESG_SJ_SK_mSL_SN_bEUlT_E_NS1_11comp_targetILNS1_3genE9ELNS1_11target_archE1100ELNS1_3gpuE3ELNS1_3repE0EEENS1_30default_config_static_selectorELNS0_4arch9wavefront6targetE1EEEvT1_,comdat
.Lfunc_end431:
	.size	_ZN7rocprim17ROCPRIM_400000_NS6detail17trampoline_kernelINS0_14default_configENS1_25transform_config_selectorIdLb0EEEZNS1_14transform_implILb0ES3_S5_NS0_18transform_iteratorINS0_17counting_iteratorImlEEZNS1_24adjacent_difference_implIS3_Lb1ELb0EPdSB_N6thrust23THRUST_200600_302600_NS5minusIdEEEE10hipError_tPvRmT2_T3_mT4_P12ihipStream_tbEUlmE_dEESB_NS0_8identityIvEEEESG_SJ_SK_mSL_SN_bEUlT_E_NS1_11comp_targetILNS1_3genE9ELNS1_11target_archE1100ELNS1_3gpuE3ELNS1_3repE0EEENS1_30default_config_static_selectorELNS0_4arch9wavefront6targetE1EEEvT1_, .Lfunc_end431-_ZN7rocprim17ROCPRIM_400000_NS6detail17trampoline_kernelINS0_14default_configENS1_25transform_config_selectorIdLb0EEEZNS1_14transform_implILb0ES3_S5_NS0_18transform_iteratorINS0_17counting_iteratorImlEEZNS1_24adjacent_difference_implIS3_Lb1ELb0EPdSB_N6thrust23THRUST_200600_302600_NS5minusIdEEEE10hipError_tPvRmT2_T3_mT4_P12ihipStream_tbEUlmE_dEESB_NS0_8identityIvEEEESG_SJ_SK_mSL_SN_bEUlT_E_NS1_11comp_targetILNS1_3genE9ELNS1_11target_archE1100ELNS1_3gpuE3ELNS1_3repE0EEENS1_30default_config_static_selectorELNS0_4arch9wavefront6targetE1EEEvT1_
                                        ; -- End function
	.section	.AMDGPU.csdata,"",@progbits
; Kernel info:
; codeLenInByte = 0
; NumSgprs: 4
; NumVgprs: 0
; NumAgprs: 0
; TotalNumVgprs: 0
; ScratchSize: 0
; MemoryBound: 0
; FloatMode: 240
; IeeeMode: 1
; LDSByteSize: 0 bytes/workgroup (compile time only)
; SGPRBlocks: 0
; VGPRBlocks: 0
; NumSGPRsForWavesPerEU: 4
; NumVGPRsForWavesPerEU: 1
; AccumOffset: 4
; Occupancy: 8
; WaveLimiterHint : 0
; COMPUTE_PGM_RSRC2:SCRATCH_EN: 0
; COMPUTE_PGM_RSRC2:USER_SGPR: 6
; COMPUTE_PGM_RSRC2:TRAP_HANDLER: 0
; COMPUTE_PGM_RSRC2:TGID_X_EN: 1
; COMPUTE_PGM_RSRC2:TGID_Y_EN: 0
; COMPUTE_PGM_RSRC2:TGID_Z_EN: 0
; COMPUTE_PGM_RSRC2:TIDIG_COMP_CNT: 0
; COMPUTE_PGM_RSRC3_GFX90A:ACCUM_OFFSET: 0
; COMPUTE_PGM_RSRC3_GFX90A:TG_SPLIT: 0
	.section	.text._ZN7rocprim17ROCPRIM_400000_NS6detail17trampoline_kernelINS0_14default_configENS1_25transform_config_selectorIdLb0EEEZNS1_14transform_implILb0ES3_S5_NS0_18transform_iteratorINS0_17counting_iteratorImlEEZNS1_24adjacent_difference_implIS3_Lb1ELb0EPdSB_N6thrust23THRUST_200600_302600_NS5minusIdEEEE10hipError_tPvRmT2_T3_mT4_P12ihipStream_tbEUlmE_dEESB_NS0_8identityIvEEEESG_SJ_SK_mSL_SN_bEUlT_E_NS1_11comp_targetILNS1_3genE8ELNS1_11target_archE1030ELNS1_3gpuE2ELNS1_3repE0EEENS1_30default_config_static_selectorELNS0_4arch9wavefront6targetE1EEEvT1_,"axG",@progbits,_ZN7rocprim17ROCPRIM_400000_NS6detail17trampoline_kernelINS0_14default_configENS1_25transform_config_selectorIdLb0EEEZNS1_14transform_implILb0ES3_S5_NS0_18transform_iteratorINS0_17counting_iteratorImlEEZNS1_24adjacent_difference_implIS3_Lb1ELb0EPdSB_N6thrust23THRUST_200600_302600_NS5minusIdEEEE10hipError_tPvRmT2_T3_mT4_P12ihipStream_tbEUlmE_dEESB_NS0_8identityIvEEEESG_SJ_SK_mSL_SN_bEUlT_E_NS1_11comp_targetILNS1_3genE8ELNS1_11target_archE1030ELNS1_3gpuE2ELNS1_3repE0EEENS1_30default_config_static_selectorELNS0_4arch9wavefront6targetE1EEEvT1_,comdat
	.protected	_ZN7rocprim17ROCPRIM_400000_NS6detail17trampoline_kernelINS0_14default_configENS1_25transform_config_selectorIdLb0EEEZNS1_14transform_implILb0ES3_S5_NS0_18transform_iteratorINS0_17counting_iteratorImlEEZNS1_24adjacent_difference_implIS3_Lb1ELb0EPdSB_N6thrust23THRUST_200600_302600_NS5minusIdEEEE10hipError_tPvRmT2_T3_mT4_P12ihipStream_tbEUlmE_dEESB_NS0_8identityIvEEEESG_SJ_SK_mSL_SN_bEUlT_E_NS1_11comp_targetILNS1_3genE8ELNS1_11target_archE1030ELNS1_3gpuE2ELNS1_3repE0EEENS1_30default_config_static_selectorELNS0_4arch9wavefront6targetE1EEEvT1_ ; -- Begin function _ZN7rocprim17ROCPRIM_400000_NS6detail17trampoline_kernelINS0_14default_configENS1_25transform_config_selectorIdLb0EEEZNS1_14transform_implILb0ES3_S5_NS0_18transform_iteratorINS0_17counting_iteratorImlEEZNS1_24adjacent_difference_implIS3_Lb1ELb0EPdSB_N6thrust23THRUST_200600_302600_NS5minusIdEEEE10hipError_tPvRmT2_T3_mT4_P12ihipStream_tbEUlmE_dEESB_NS0_8identityIvEEEESG_SJ_SK_mSL_SN_bEUlT_E_NS1_11comp_targetILNS1_3genE8ELNS1_11target_archE1030ELNS1_3gpuE2ELNS1_3repE0EEENS1_30default_config_static_selectorELNS0_4arch9wavefront6targetE1EEEvT1_
	.globl	_ZN7rocprim17ROCPRIM_400000_NS6detail17trampoline_kernelINS0_14default_configENS1_25transform_config_selectorIdLb0EEEZNS1_14transform_implILb0ES3_S5_NS0_18transform_iteratorINS0_17counting_iteratorImlEEZNS1_24adjacent_difference_implIS3_Lb1ELb0EPdSB_N6thrust23THRUST_200600_302600_NS5minusIdEEEE10hipError_tPvRmT2_T3_mT4_P12ihipStream_tbEUlmE_dEESB_NS0_8identityIvEEEESG_SJ_SK_mSL_SN_bEUlT_E_NS1_11comp_targetILNS1_3genE8ELNS1_11target_archE1030ELNS1_3gpuE2ELNS1_3repE0EEENS1_30default_config_static_selectorELNS0_4arch9wavefront6targetE1EEEvT1_
	.p2align	8
	.type	_ZN7rocprim17ROCPRIM_400000_NS6detail17trampoline_kernelINS0_14default_configENS1_25transform_config_selectorIdLb0EEEZNS1_14transform_implILb0ES3_S5_NS0_18transform_iteratorINS0_17counting_iteratorImlEEZNS1_24adjacent_difference_implIS3_Lb1ELb0EPdSB_N6thrust23THRUST_200600_302600_NS5minusIdEEEE10hipError_tPvRmT2_T3_mT4_P12ihipStream_tbEUlmE_dEESB_NS0_8identityIvEEEESG_SJ_SK_mSL_SN_bEUlT_E_NS1_11comp_targetILNS1_3genE8ELNS1_11target_archE1030ELNS1_3gpuE2ELNS1_3repE0EEENS1_30default_config_static_selectorELNS0_4arch9wavefront6targetE1EEEvT1_,@function
_ZN7rocprim17ROCPRIM_400000_NS6detail17trampoline_kernelINS0_14default_configENS1_25transform_config_selectorIdLb0EEEZNS1_14transform_implILb0ES3_S5_NS0_18transform_iteratorINS0_17counting_iteratorImlEEZNS1_24adjacent_difference_implIS3_Lb1ELb0EPdSB_N6thrust23THRUST_200600_302600_NS5minusIdEEEE10hipError_tPvRmT2_T3_mT4_P12ihipStream_tbEUlmE_dEESB_NS0_8identityIvEEEESG_SJ_SK_mSL_SN_bEUlT_E_NS1_11comp_targetILNS1_3genE8ELNS1_11target_archE1030ELNS1_3gpuE2ELNS1_3repE0EEENS1_30default_config_static_selectorELNS0_4arch9wavefront6targetE1EEEvT1_: ; @_ZN7rocprim17ROCPRIM_400000_NS6detail17trampoline_kernelINS0_14default_configENS1_25transform_config_selectorIdLb0EEEZNS1_14transform_implILb0ES3_S5_NS0_18transform_iteratorINS0_17counting_iteratorImlEEZNS1_24adjacent_difference_implIS3_Lb1ELb0EPdSB_N6thrust23THRUST_200600_302600_NS5minusIdEEEE10hipError_tPvRmT2_T3_mT4_P12ihipStream_tbEUlmE_dEESB_NS0_8identityIvEEEESG_SJ_SK_mSL_SN_bEUlT_E_NS1_11comp_targetILNS1_3genE8ELNS1_11target_archE1030ELNS1_3gpuE2ELNS1_3repE0EEENS1_30default_config_static_selectorELNS0_4arch9wavefront6targetE1EEEvT1_
; %bb.0:
	.section	.rodata,"a",@progbits
	.p2align	6, 0x0
	.amdhsa_kernel _ZN7rocprim17ROCPRIM_400000_NS6detail17trampoline_kernelINS0_14default_configENS1_25transform_config_selectorIdLb0EEEZNS1_14transform_implILb0ES3_S5_NS0_18transform_iteratorINS0_17counting_iteratorImlEEZNS1_24adjacent_difference_implIS3_Lb1ELb0EPdSB_N6thrust23THRUST_200600_302600_NS5minusIdEEEE10hipError_tPvRmT2_T3_mT4_P12ihipStream_tbEUlmE_dEESB_NS0_8identityIvEEEESG_SJ_SK_mSL_SN_bEUlT_E_NS1_11comp_targetILNS1_3genE8ELNS1_11target_archE1030ELNS1_3gpuE2ELNS1_3repE0EEENS1_30default_config_static_selectorELNS0_4arch9wavefront6targetE1EEEvT1_
		.amdhsa_group_segment_fixed_size 0
		.amdhsa_private_segment_fixed_size 0
		.amdhsa_kernarg_size 56
		.amdhsa_user_sgpr_count 6
		.amdhsa_user_sgpr_private_segment_buffer 1
		.amdhsa_user_sgpr_dispatch_ptr 0
		.amdhsa_user_sgpr_queue_ptr 0
		.amdhsa_user_sgpr_kernarg_segment_ptr 1
		.amdhsa_user_sgpr_dispatch_id 0
		.amdhsa_user_sgpr_flat_scratch_init 0
		.amdhsa_user_sgpr_kernarg_preload_length 0
		.amdhsa_user_sgpr_kernarg_preload_offset 0
		.amdhsa_user_sgpr_private_segment_size 0
		.amdhsa_uses_dynamic_stack 0
		.amdhsa_system_sgpr_private_segment_wavefront_offset 0
		.amdhsa_system_sgpr_workgroup_id_x 1
		.amdhsa_system_sgpr_workgroup_id_y 0
		.amdhsa_system_sgpr_workgroup_id_z 0
		.amdhsa_system_sgpr_workgroup_info 0
		.amdhsa_system_vgpr_workitem_id 0
		.amdhsa_next_free_vgpr 1
		.amdhsa_next_free_sgpr 0
		.amdhsa_accum_offset 4
		.amdhsa_reserve_vcc 0
		.amdhsa_reserve_flat_scratch 0
		.amdhsa_float_round_mode_32 0
		.amdhsa_float_round_mode_16_64 0
		.amdhsa_float_denorm_mode_32 3
		.amdhsa_float_denorm_mode_16_64 3
		.amdhsa_dx10_clamp 1
		.amdhsa_ieee_mode 1
		.amdhsa_fp16_overflow 0
		.amdhsa_tg_split 0
		.amdhsa_exception_fp_ieee_invalid_op 0
		.amdhsa_exception_fp_denorm_src 0
		.amdhsa_exception_fp_ieee_div_zero 0
		.amdhsa_exception_fp_ieee_overflow 0
		.amdhsa_exception_fp_ieee_underflow 0
		.amdhsa_exception_fp_ieee_inexact 0
		.amdhsa_exception_int_div_zero 0
	.end_amdhsa_kernel
	.section	.text._ZN7rocprim17ROCPRIM_400000_NS6detail17trampoline_kernelINS0_14default_configENS1_25transform_config_selectorIdLb0EEEZNS1_14transform_implILb0ES3_S5_NS0_18transform_iteratorINS0_17counting_iteratorImlEEZNS1_24adjacent_difference_implIS3_Lb1ELb0EPdSB_N6thrust23THRUST_200600_302600_NS5minusIdEEEE10hipError_tPvRmT2_T3_mT4_P12ihipStream_tbEUlmE_dEESB_NS0_8identityIvEEEESG_SJ_SK_mSL_SN_bEUlT_E_NS1_11comp_targetILNS1_3genE8ELNS1_11target_archE1030ELNS1_3gpuE2ELNS1_3repE0EEENS1_30default_config_static_selectorELNS0_4arch9wavefront6targetE1EEEvT1_,"axG",@progbits,_ZN7rocprim17ROCPRIM_400000_NS6detail17trampoline_kernelINS0_14default_configENS1_25transform_config_selectorIdLb0EEEZNS1_14transform_implILb0ES3_S5_NS0_18transform_iteratorINS0_17counting_iteratorImlEEZNS1_24adjacent_difference_implIS3_Lb1ELb0EPdSB_N6thrust23THRUST_200600_302600_NS5minusIdEEEE10hipError_tPvRmT2_T3_mT4_P12ihipStream_tbEUlmE_dEESB_NS0_8identityIvEEEESG_SJ_SK_mSL_SN_bEUlT_E_NS1_11comp_targetILNS1_3genE8ELNS1_11target_archE1030ELNS1_3gpuE2ELNS1_3repE0EEENS1_30default_config_static_selectorELNS0_4arch9wavefront6targetE1EEEvT1_,comdat
.Lfunc_end432:
	.size	_ZN7rocprim17ROCPRIM_400000_NS6detail17trampoline_kernelINS0_14default_configENS1_25transform_config_selectorIdLb0EEEZNS1_14transform_implILb0ES3_S5_NS0_18transform_iteratorINS0_17counting_iteratorImlEEZNS1_24adjacent_difference_implIS3_Lb1ELb0EPdSB_N6thrust23THRUST_200600_302600_NS5minusIdEEEE10hipError_tPvRmT2_T3_mT4_P12ihipStream_tbEUlmE_dEESB_NS0_8identityIvEEEESG_SJ_SK_mSL_SN_bEUlT_E_NS1_11comp_targetILNS1_3genE8ELNS1_11target_archE1030ELNS1_3gpuE2ELNS1_3repE0EEENS1_30default_config_static_selectorELNS0_4arch9wavefront6targetE1EEEvT1_, .Lfunc_end432-_ZN7rocprim17ROCPRIM_400000_NS6detail17trampoline_kernelINS0_14default_configENS1_25transform_config_selectorIdLb0EEEZNS1_14transform_implILb0ES3_S5_NS0_18transform_iteratorINS0_17counting_iteratorImlEEZNS1_24adjacent_difference_implIS3_Lb1ELb0EPdSB_N6thrust23THRUST_200600_302600_NS5minusIdEEEE10hipError_tPvRmT2_T3_mT4_P12ihipStream_tbEUlmE_dEESB_NS0_8identityIvEEEESG_SJ_SK_mSL_SN_bEUlT_E_NS1_11comp_targetILNS1_3genE8ELNS1_11target_archE1030ELNS1_3gpuE2ELNS1_3repE0EEENS1_30default_config_static_selectorELNS0_4arch9wavefront6targetE1EEEvT1_
                                        ; -- End function
	.section	.AMDGPU.csdata,"",@progbits
; Kernel info:
; codeLenInByte = 0
; NumSgprs: 4
; NumVgprs: 0
; NumAgprs: 0
; TotalNumVgprs: 0
; ScratchSize: 0
; MemoryBound: 0
; FloatMode: 240
; IeeeMode: 1
; LDSByteSize: 0 bytes/workgroup (compile time only)
; SGPRBlocks: 0
; VGPRBlocks: 0
; NumSGPRsForWavesPerEU: 4
; NumVGPRsForWavesPerEU: 1
; AccumOffset: 4
; Occupancy: 8
; WaveLimiterHint : 0
; COMPUTE_PGM_RSRC2:SCRATCH_EN: 0
; COMPUTE_PGM_RSRC2:USER_SGPR: 6
; COMPUTE_PGM_RSRC2:TRAP_HANDLER: 0
; COMPUTE_PGM_RSRC2:TGID_X_EN: 1
; COMPUTE_PGM_RSRC2:TGID_Y_EN: 0
; COMPUTE_PGM_RSRC2:TGID_Z_EN: 0
; COMPUTE_PGM_RSRC2:TIDIG_COMP_CNT: 0
; COMPUTE_PGM_RSRC3_GFX90A:ACCUM_OFFSET: 0
; COMPUTE_PGM_RSRC3_GFX90A:TG_SPLIT: 0
	.section	.text._ZN7rocprim17ROCPRIM_400000_NS6detail17trampoline_kernelINS0_14default_configENS1_35adjacent_difference_config_selectorILb1EdEEZNS1_24adjacent_difference_implIS3_Lb1ELb0EPdS7_N6thrust23THRUST_200600_302600_NS5minusIdEEEE10hipError_tPvRmT2_T3_mT4_P12ihipStream_tbEUlT_E_NS1_11comp_targetILNS1_3genE0ELNS1_11target_archE4294967295ELNS1_3gpuE0ELNS1_3repE0EEENS1_30default_config_static_selectorELNS0_4arch9wavefront6targetE1EEEvT1_,"axG",@progbits,_ZN7rocprim17ROCPRIM_400000_NS6detail17trampoline_kernelINS0_14default_configENS1_35adjacent_difference_config_selectorILb1EdEEZNS1_24adjacent_difference_implIS3_Lb1ELb0EPdS7_N6thrust23THRUST_200600_302600_NS5minusIdEEEE10hipError_tPvRmT2_T3_mT4_P12ihipStream_tbEUlT_E_NS1_11comp_targetILNS1_3genE0ELNS1_11target_archE4294967295ELNS1_3gpuE0ELNS1_3repE0EEENS1_30default_config_static_selectorELNS0_4arch9wavefront6targetE1EEEvT1_,comdat
	.protected	_ZN7rocprim17ROCPRIM_400000_NS6detail17trampoline_kernelINS0_14default_configENS1_35adjacent_difference_config_selectorILb1EdEEZNS1_24adjacent_difference_implIS3_Lb1ELb0EPdS7_N6thrust23THRUST_200600_302600_NS5minusIdEEEE10hipError_tPvRmT2_T3_mT4_P12ihipStream_tbEUlT_E_NS1_11comp_targetILNS1_3genE0ELNS1_11target_archE4294967295ELNS1_3gpuE0ELNS1_3repE0EEENS1_30default_config_static_selectorELNS0_4arch9wavefront6targetE1EEEvT1_ ; -- Begin function _ZN7rocprim17ROCPRIM_400000_NS6detail17trampoline_kernelINS0_14default_configENS1_35adjacent_difference_config_selectorILb1EdEEZNS1_24adjacent_difference_implIS3_Lb1ELb0EPdS7_N6thrust23THRUST_200600_302600_NS5minusIdEEEE10hipError_tPvRmT2_T3_mT4_P12ihipStream_tbEUlT_E_NS1_11comp_targetILNS1_3genE0ELNS1_11target_archE4294967295ELNS1_3gpuE0ELNS1_3repE0EEENS1_30default_config_static_selectorELNS0_4arch9wavefront6targetE1EEEvT1_
	.globl	_ZN7rocprim17ROCPRIM_400000_NS6detail17trampoline_kernelINS0_14default_configENS1_35adjacent_difference_config_selectorILb1EdEEZNS1_24adjacent_difference_implIS3_Lb1ELb0EPdS7_N6thrust23THRUST_200600_302600_NS5minusIdEEEE10hipError_tPvRmT2_T3_mT4_P12ihipStream_tbEUlT_E_NS1_11comp_targetILNS1_3genE0ELNS1_11target_archE4294967295ELNS1_3gpuE0ELNS1_3repE0EEENS1_30default_config_static_selectorELNS0_4arch9wavefront6targetE1EEEvT1_
	.p2align	8
	.type	_ZN7rocprim17ROCPRIM_400000_NS6detail17trampoline_kernelINS0_14default_configENS1_35adjacent_difference_config_selectorILb1EdEEZNS1_24adjacent_difference_implIS3_Lb1ELb0EPdS7_N6thrust23THRUST_200600_302600_NS5minusIdEEEE10hipError_tPvRmT2_T3_mT4_P12ihipStream_tbEUlT_E_NS1_11comp_targetILNS1_3genE0ELNS1_11target_archE4294967295ELNS1_3gpuE0ELNS1_3repE0EEENS1_30default_config_static_selectorELNS0_4arch9wavefront6targetE1EEEvT1_,@function
_ZN7rocprim17ROCPRIM_400000_NS6detail17trampoline_kernelINS0_14default_configENS1_35adjacent_difference_config_selectorILb1EdEEZNS1_24adjacent_difference_implIS3_Lb1ELb0EPdS7_N6thrust23THRUST_200600_302600_NS5minusIdEEEE10hipError_tPvRmT2_T3_mT4_P12ihipStream_tbEUlT_E_NS1_11comp_targetILNS1_3genE0ELNS1_11target_archE4294967295ELNS1_3gpuE0ELNS1_3repE0EEENS1_30default_config_static_selectorELNS0_4arch9wavefront6targetE1EEEvT1_: ; @_ZN7rocprim17ROCPRIM_400000_NS6detail17trampoline_kernelINS0_14default_configENS1_35adjacent_difference_config_selectorILb1EdEEZNS1_24adjacent_difference_implIS3_Lb1ELb0EPdS7_N6thrust23THRUST_200600_302600_NS5minusIdEEEE10hipError_tPvRmT2_T3_mT4_P12ihipStream_tbEUlT_E_NS1_11comp_targetILNS1_3genE0ELNS1_11target_archE4294967295ELNS1_3gpuE0ELNS1_3repE0EEENS1_30default_config_static_selectorELNS0_4arch9wavefront6targetE1EEEvT1_
; %bb.0:
	.section	.rodata,"a",@progbits
	.p2align	6, 0x0
	.amdhsa_kernel _ZN7rocprim17ROCPRIM_400000_NS6detail17trampoline_kernelINS0_14default_configENS1_35adjacent_difference_config_selectorILb1EdEEZNS1_24adjacent_difference_implIS3_Lb1ELb0EPdS7_N6thrust23THRUST_200600_302600_NS5minusIdEEEE10hipError_tPvRmT2_T3_mT4_P12ihipStream_tbEUlT_E_NS1_11comp_targetILNS1_3genE0ELNS1_11target_archE4294967295ELNS1_3gpuE0ELNS1_3repE0EEENS1_30default_config_static_selectorELNS0_4arch9wavefront6targetE1EEEvT1_
		.amdhsa_group_segment_fixed_size 0
		.amdhsa_private_segment_fixed_size 0
		.amdhsa_kernarg_size 56
		.amdhsa_user_sgpr_count 6
		.amdhsa_user_sgpr_private_segment_buffer 1
		.amdhsa_user_sgpr_dispatch_ptr 0
		.amdhsa_user_sgpr_queue_ptr 0
		.amdhsa_user_sgpr_kernarg_segment_ptr 1
		.amdhsa_user_sgpr_dispatch_id 0
		.amdhsa_user_sgpr_flat_scratch_init 0
		.amdhsa_user_sgpr_kernarg_preload_length 0
		.amdhsa_user_sgpr_kernarg_preload_offset 0
		.amdhsa_user_sgpr_private_segment_size 0
		.amdhsa_uses_dynamic_stack 0
		.amdhsa_system_sgpr_private_segment_wavefront_offset 0
		.amdhsa_system_sgpr_workgroup_id_x 1
		.amdhsa_system_sgpr_workgroup_id_y 0
		.amdhsa_system_sgpr_workgroup_id_z 0
		.amdhsa_system_sgpr_workgroup_info 0
		.amdhsa_system_vgpr_workitem_id 0
		.amdhsa_next_free_vgpr 1
		.amdhsa_next_free_sgpr 0
		.amdhsa_accum_offset 4
		.amdhsa_reserve_vcc 0
		.amdhsa_reserve_flat_scratch 0
		.amdhsa_float_round_mode_32 0
		.amdhsa_float_round_mode_16_64 0
		.amdhsa_float_denorm_mode_32 3
		.amdhsa_float_denorm_mode_16_64 3
		.amdhsa_dx10_clamp 1
		.amdhsa_ieee_mode 1
		.amdhsa_fp16_overflow 0
		.amdhsa_tg_split 0
		.amdhsa_exception_fp_ieee_invalid_op 0
		.amdhsa_exception_fp_denorm_src 0
		.amdhsa_exception_fp_ieee_div_zero 0
		.amdhsa_exception_fp_ieee_overflow 0
		.amdhsa_exception_fp_ieee_underflow 0
		.amdhsa_exception_fp_ieee_inexact 0
		.amdhsa_exception_int_div_zero 0
	.end_amdhsa_kernel
	.section	.text._ZN7rocprim17ROCPRIM_400000_NS6detail17trampoline_kernelINS0_14default_configENS1_35adjacent_difference_config_selectorILb1EdEEZNS1_24adjacent_difference_implIS3_Lb1ELb0EPdS7_N6thrust23THRUST_200600_302600_NS5minusIdEEEE10hipError_tPvRmT2_T3_mT4_P12ihipStream_tbEUlT_E_NS1_11comp_targetILNS1_3genE0ELNS1_11target_archE4294967295ELNS1_3gpuE0ELNS1_3repE0EEENS1_30default_config_static_selectorELNS0_4arch9wavefront6targetE1EEEvT1_,"axG",@progbits,_ZN7rocprim17ROCPRIM_400000_NS6detail17trampoline_kernelINS0_14default_configENS1_35adjacent_difference_config_selectorILb1EdEEZNS1_24adjacent_difference_implIS3_Lb1ELb0EPdS7_N6thrust23THRUST_200600_302600_NS5minusIdEEEE10hipError_tPvRmT2_T3_mT4_P12ihipStream_tbEUlT_E_NS1_11comp_targetILNS1_3genE0ELNS1_11target_archE4294967295ELNS1_3gpuE0ELNS1_3repE0EEENS1_30default_config_static_selectorELNS0_4arch9wavefront6targetE1EEEvT1_,comdat
.Lfunc_end433:
	.size	_ZN7rocprim17ROCPRIM_400000_NS6detail17trampoline_kernelINS0_14default_configENS1_35adjacent_difference_config_selectorILb1EdEEZNS1_24adjacent_difference_implIS3_Lb1ELb0EPdS7_N6thrust23THRUST_200600_302600_NS5minusIdEEEE10hipError_tPvRmT2_T3_mT4_P12ihipStream_tbEUlT_E_NS1_11comp_targetILNS1_3genE0ELNS1_11target_archE4294967295ELNS1_3gpuE0ELNS1_3repE0EEENS1_30default_config_static_selectorELNS0_4arch9wavefront6targetE1EEEvT1_, .Lfunc_end433-_ZN7rocprim17ROCPRIM_400000_NS6detail17trampoline_kernelINS0_14default_configENS1_35adjacent_difference_config_selectorILb1EdEEZNS1_24adjacent_difference_implIS3_Lb1ELb0EPdS7_N6thrust23THRUST_200600_302600_NS5minusIdEEEE10hipError_tPvRmT2_T3_mT4_P12ihipStream_tbEUlT_E_NS1_11comp_targetILNS1_3genE0ELNS1_11target_archE4294967295ELNS1_3gpuE0ELNS1_3repE0EEENS1_30default_config_static_selectorELNS0_4arch9wavefront6targetE1EEEvT1_
                                        ; -- End function
	.section	.AMDGPU.csdata,"",@progbits
; Kernel info:
; codeLenInByte = 0
; NumSgprs: 4
; NumVgprs: 0
; NumAgprs: 0
; TotalNumVgprs: 0
; ScratchSize: 0
; MemoryBound: 0
; FloatMode: 240
; IeeeMode: 1
; LDSByteSize: 0 bytes/workgroup (compile time only)
; SGPRBlocks: 0
; VGPRBlocks: 0
; NumSGPRsForWavesPerEU: 4
; NumVGPRsForWavesPerEU: 1
; AccumOffset: 4
; Occupancy: 8
; WaveLimiterHint : 0
; COMPUTE_PGM_RSRC2:SCRATCH_EN: 0
; COMPUTE_PGM_RSRC2:USER_SGPR: 6
; COMPUTE_PGM_RSRC2:TRAP_HANDLER: 0
; COMPUTE_PGM_RSRC2:TGID_X_EN: 1
; COMPUTE_PGM_RSRC2:TGID_Y_EN: 0
; COMPUTE_PGM_RSRC2:TGID_Z_EN: 0
; COMPUTE_PGM_RSRC2:TIDIG_COMP_CNT: 0
; COMPUTE_PGM_RSRC3_GFX90A:ACCUM_OFFSET: 0
; COMPUTE_PGM_RSRC3_GFX90A:TG_SPLIT: 0
	.section	.text._ZN7rocprim17ROCPRIM_400000_NS6detail17trampoline_kernelINS0_14default_configENS1_35adjacent_difference_config_selectorILb1EdEEZNS1_24adjacent_difference_implIS3_Lb1ELb0EPdS7_N6thrust23THRUST_200600_302600_NS5minusIdEEEE10hipError_tPvRmT2_T3_mT4_P12ihipStream_tbEUlT_E_NS1_11comp_targetILNS1_3genE10ELNS1_11target_archE1201ELNS1_3gpuE5ELNS1_3repE0EEENS1_30default_config_static_selectorELNS0_4arch9wavefront6targetE1EEEvT1_,"axG",@progbits,_ZN7rocprim17ROCPRIM_400000_NS6detail17trampoline_kernelINS0_14default_configENS1_35adjacent_difference_config_selectorILb1EdEEZNS1_24adjacent_difference_implIS3_Lb1ELb0EPdS7_N6thrust23THRUST_200600_302600_NS5minusIdEEEE10hipError_tPvRmT2_T3_mT4_P12ihipStream_tbEUlT_E_NS1_11comp_targetILNS1_3genE10ELNS1_11target_archE1201ELNS1_3gpuE5ELNS1_3repE0EEENS1_30default_config_static_selectorELNS0_4arch9wavefront6targetE1EEEvT1_,comdat
	.protected	_ZN7rocprim17ROCPRIM_400000_NS6detail17trampoline_kernelINS0_14default_configENS1_35adjacent_difference_config_selectorILb1EdEEZNS1_24adjacent_difference_implIS3_Lb1ELb0EPdS7_N6thrust23THRUST_200600_302600_NS5minusIdEEEE10hipError_tPvRmT2_T3_mT4_P12ihipStream_tbEUlT_E_NS1_11comp_targetILNS1_3genE10ELNS1_11target_archE1201ELNS1_3gpuE5ELNS1_3repE0EEENS1_30default_config_static_selectorELNS0_4arch9wavefront6targetE1EEEvT1_ ; -- Begin function _ZN7rocprim17ROCPRIM_400000_NS6detail17trampoline_kernelINS0_14default_configENS1_35adjacent_difference_config_selectorILb1EdEEZNS1_24adjacent_difference_implIS3_Lb1ELb0EPdS7_N6thrust23THRUST_200600_302600_NS5minusIdEEEE10hipError_tPvRmT2_T3_mT4_P12ihipStream_tbEUlT_E_NS1_11comp_targetILNS1_3genE10ELNS1_11target_archE1201ELNS1_3gpuE5ELNS1_3repE0EEENS1_30default_config_static_selectorELNS0_4arch9wavefront6targetE1EEEvT1_
	.globl	_ZN7rocprim17ROCPRIM_400000_NS6detail17trampoline_kernelINS0_14default_configENS1_35adjacent_difference_config_selectorILb1EdEEZNS1_24adjacent_difference_implIS3_Lb1ELb0EPdS7_N6thrust23THRUST_200600_302600_NS5minusIdEEEE10hipError_tPvRmT2_T3_mT4_P12ihipStream_tbEUlT_E_NS1_11comp_targetILNS1_3genE10ELNS1_11target_archE1201ELNS1_3gpuE5ELNS1_3repE0EEENS1_30default_config_static_selectorELNS0_4arch9wavefront6targetE1EEEvT1_
	.p2align	8
	.type	_ZN7rocprim17ROCPRIM_400000_NS6detail17trampoline_kernelINS0_14default_configENS1_35adjacent_difference_config_selectorILb1EdEEZNS1_24adjacent_difference_implIS3_Lb1ELb0EPdS7_N6thrust23THRUST_200600_302600_NS5minusIdEEEE10hipError_tPvRmT2_T3_mT4_P12ihipStream_tbEUlT_E_NS1_11comp_targetILNS1_3genE10ELNS1_11target_archE1201ELNS1_3gpuE5ELNS1_3repE0EEENS1_30default_config_static_selectorELNS0_4arch9wavefront6targetE1EEEvT1_,@function
_ZN7rocprim17ROCPRIM_400000_NS6detail17trampoline_kernelINS0_14default_configENS1_35adjacent_difference_config_selectorILb1EdEEZNS1_24adjacent_difference_implIS3_Lb1ELb0EPdS7_N6thrust23THRUST_200600_302600_NS5minusIdEEEE10hipError_tPvRmT2_T3_mT4_P12ihipStream_tbEUlT_E_NS1_11comp_targetILNS1_3genE10ELNS1_11target_archE1201ELNS1_3gpuE5ELNS1_3repE0EEENS1_30default_config_static_selectorELNS0_4arch9wavefront6targetE1EEEvT1_: ; @_ZN7rocprim17ROCPRIM_400000_NS6detail17trampoline_kernelINS0_14default_configENS1_35adjacent_difference_config_selectorILb1EdEEZNS1_24adjacent_difference_implIS3_Lb1ELb0EPdS7_N6thrust23THRUST_200600_302600_NS5minusIdEEEE10hipError_tPvRmT2_T3_mT4_P12ihipStream_tbEUlT_E_NS1_11comp_targetILNS1_3genE10ELNS1_11target_archE1201ELNS1_3gpuE5ELNS1_3repE0EEENS1_30default_config_static_selectorELNS0_4arch9wavefront6targetE1EEEvT1_
; %bb.0:
	.section	.rodata,"a",@progbits
	.p2align	6, 0x0
	.amdhsa_kernel _ZN7rocprim17ROCPRIM_400000_NS6detail17trampoline_kernelINS0_14default_configENS1_35adjacent_difference_config_selectorILb1EdEEZNS1_24adjacent_difference_implIS3_Lb1ELb0EPdS7_N6thrust23THRUST_200600_302600_NS5minusIdEEEE10hipError_tPvRmT2_T3_mT4_P12ihipStream_tbEUlT_E_NS1_11comp_targetILNS1_3genE10ELNS1_11target_archE1201ELNS1_3gpuE5ELNS1_3repE0EEENS1_30default_config_static_selectorELNS0_4arch9wavefront6targetE1EEEvT1_
		.amdhsa_group_segment_fixed_size 0
		.amdhsa_private_segment_fixed_size 0
		.amdhsa_kernarg_size 56
		.amdhsa_user_sgpr_count 6
		.amdhsa_user_sgpr_private_segment_buffer 1
		.amdhsa_user_sgpr_dispatch_ptr 0
		.amdhsa_user_sgpr_queue_ptr 0
		.amdhsa_user_sgpr_kernarg_segment_ptr 1
		.amdhsa_user_sgpr_dispatch_id 0
		.amdhsa_user_sgpr_flat_scratch_init 0
		.amdhsa_user_sgpr_kernarg_preload_length 0
		.amdhsa_user_sgpr_kernarg_preload_offset 0
		.amdhsa_user_sgpr_private_segment_size 0
		.amdhsa_uses_dynamic_stack 0
		.amdhsa_system_sgpr_private_segment_wavefront_offset 0
		.amdhsa_system_sgpr_workgroup_id_x 1
		.amdhsa_system_sgpr_workgroup_id_y 0
		.amdhsa_system_sgpr_workgroup_id_z 0
		.amdhsa_system_sgpr_workgroup_info 0
		.amdhsa_system_vgpr_workitem_id 0
		.amdhsa_next_free_vgpr 1
		.amdhsa_next_free_sgpr 0
		.amdhsa_accum_offset 4
		.amdhsa_reserve_vcc 0
		.amdhsa_reserve_flat_scratch 0
		.amdhsa_float_round_mode_32 0
		.amdhsa_float_round_mode_16_64 0
		.amdhsa_float_denorm_mode_32 3
		.amdhsa_float_denorm_mode_16_64 3
		.amdhsa_dx10_clamp 1
		.amdhsa_ieee_mode 1
		.amdhsa_fp16_overflow 0
		.amdhsa_tg_split 0
		.amdhsa_exception_fp_ieee_invalid_op 0
		.amdhsa_exception_fp_denorm_src 0
		.amdhsa_exception_fp_ieee_div_zero 0
		.amdhsa_exception_fp_ieee_overflow 0
		.amdhsa_exception_fp_ieee_underflow 0
		.amdhsa_exception_fp_ieee_inexact 0
		.amdhsa_exception_int_div_zero 0
	.end_amdhsa_kernel
	.section	.text._ZN7rocprim17ROCPRIM_400000_NS6detail17trampoline_kernelINS0_14default_configENS1_35adjacent_difference_config_selectorILb1EdEEZNS1_24adjacent_difference_implIS3_Lb1ELb0EPdS7_N6thrust23THRUST_200600_302600_NS5minusIdEEEE10hipError_tPvRmT2_T3_mT4_P12ihipStream_tbEUlT_E_NS1_11comp_targetILNS1_3genE10ELNS1_11target_archE1201ELNS1_3gpuE5ELNS1_3repE0EEENS1_30default_config_static_selectorELNS0_4arch9wavefront6targetE1EEEvT1_,"axG",@progbits,_ZN7rocprim17ROCPRIM_400000_NS6detail17trampoline_kernelINS0_14default_configENS1_35adjacent_difference_config_selectorILb1EdEEZNS1_24adjacent_difference_implIS3_Lb1ELb0EPdS7_N6thrust23THRUST_200600_302600_NS5minusIdEEEE10hipError_tPvRmT2_T3_mT4_P12ihipStream_tbEUlT_E_NS1_11comp_targetILNS1_3genE10ELNS1_11target_archE1201ELNS1_3gpuE5ELNS1_3repE0EEENS1_30default_config_static_selectorELNS0_4arch9wavefront6targetE1EEEvT1_,comdat
.Lfunc_end434:
	.size	_ZN7rocprim17ROCPRIM_400000_NS6detail17trampoline_kernelINS0_14default_configENS1_35adjacent_difference_config_selectorILb1EdEEZNS1_24adjacent_difference_implIS3_Lb1ELb0EPdS7_N6thrust23THRUST_200600_302600_NS5minusIdEEEE10hipError_tPvRmT2_T3_mT4_P12ihipStream_tbEUlT_E_NS1_11comp_targetILNS1_3genE10ELNS1_11target_archE1201ELNS1_3gpuE5ELNS1_3repE0EEENS1_30default_config_static_selectorELNS0_4arch9wavefront6targetE1EEEvT1_, .Lfunc_end434-_ZN7rocprim17ROCPRIM_400000_NS6detail17trampoline_kernelINS0_14default_configENS1_35adjacent_difference_config_selectorILb1EdEEZNS1_24adjacent_difference_implIS3_Lb1ELb0EPdS7_N6thrust23THRUST_200600_302600_NS5minusIdEEEE10hipError_tPvRmT2_T3_mT4_P12ihipStream_tbEUlT_E_NS1_11comp_targetILNS1_3genE10ELNS1_11target_archE1201ELNS1_3gpuE5ELNS1_3repE0EEENS1_30default_config_static_selectorELNS0_4arch9wavefront6targetE1EEEvT1_
                                        ; -- End function
	.section	.AMDGPU.csdata,"",@progbits
; Kernel info:
; codeLenInByte = 0
; NumSgprs: 4
; NumVgprs: 0
; NumAgprs: 0
; TotalNumVgprs: 0
; ScratchSize: 0
; MemoryBound: 0
; FloatMode: 240
; IeeeMode: 1
; LDSByteSize: 0 bytes/workgroup (compile time only)
; SGPRBlocks: 0
; VGPRBlocks: 0
; NumSGPRsForWavesPerEU: 4
; NumVGPRsForWavesPerEU: 1
; AccumOffset: 4
; Occupancy: 8
; WaveLimiterHint : 0
; COMPUTE_PGM_RSRC2:SCRATCH_EN: 0
; COMPUTE_PGM_RSRC2:USER_SGPR: 6
; COMPUTE_PGM_RSRC2:TRAP_HANDLER: 0
; COMPUTE_PGM_RSRC2:TGID_X_EN: 1
; COMPUTE_PGM_RSRC2:TGID_Y_EN: 0
; COMPUTE_PGM_RSRC2:TGID_Z_EN: 0
; COMPUTE_PGM_RSRC2:TIDIG_COMP_CNT: 0
; COMPUTE_PGM_RSRC3_GFX90A:ACCUM_OFFSET: 0
; COMPUTE_PGM_RSRC3_GFX90A:TG_SPLIT: 0
	.section	.text._ZN7rocprim17ROCPRIM_400000_NS6detail17trampoline_kernelINS0_14default_configENS1_35adjacent_difference_config_selectorILb1EdEEZNS1_24adjacent_difference_implIS3_Lb1ELb0EPdS7_N6thrust23THRUST_200600_302600_NS5minusIdEEEE10hipError_tPvRmT2_T3_mT4_P12ihipStream_tbEUlT_E_NS1_11comp_targetILNS1_3genE5ELNS1_11target_archE942ELNS1_3gpuE9ELNS1_3repE0EEENS1_30default_config_static_selectorELNS0_4arch9wavefront6targetE1EEEvT1_,"axG",@progbits,_ZN7rocprim17ROCPRIM_400000_NS6detail17trampoline_kernelINS0_14default_configENS1_35adjacent_difference_config_selectorILb1EdEEZNS1_24adjacent_difference_implIS3_Lb1ELb0EPdS7_N6thrust23THRUST_200600_302600_NS5minusIdEEEE10hipError_tPvRmT2_T3_mT4_P12ihipStream_tbEUlT_E_NS1_11comp_targetILNS1_3genE5ELNS1_11target_archE942ELNS1_3gpuE9ELNS1_3repE0EEENS1_30default_config_static_selectorELNS0_4arch9wavefront6targetE1EEEvT1_,comdat
	.protected	_ZN7rocprim17ROCPRIM_400000_NS6detail17trampoline_kernelINS0_14default_configENS1_35adjacent_difference_config_selectorILb1EdEEZNS1_24adjacent_difference_implIS3_Lb1ELb0EPdS7_N6thrust23THRUST_200600_302600_NS5minusIdEEEE10hipError_tPvRmT2_T3_mT4_P12ihipStream_tbEUlT_E_NS1_11comp_targetILNS1_3genE5ELNS1_11target_archE942ELNS1_3gpuE9ELNS1_3repE0EEENS1_30default_config_static_selectorELNS0_4arch9wavefront6targetE1EEEvT1_ ; -- Begin function _ZN7rocprim17ROCPRIM_400000_NS6detail17trampoline_kernelINS0_14default_configENS1_35adjacent_difference_config_selectorILb1EdEEZNS1_24adjacent_difference_implIS3_Lb1ELb0EPdS7_N6thrust23THRUST_200600_302600_NS5minusIdEEEE10hipError_tPvRmT2_T3_mT4_P12ihipStream_tbEUlT_E_NS1_11comp_targetILNS1_3genE5ELNS1_11target_archE942ELNS1_3gpuE9ELNS1_3repE0EEENS1_30default_config_static_selectorELNS0_4arch9wavefront6targetE1EEEvT1_
	.globl	_ZN7rocprim17ROCPRIM_400000_NS6detail17trampoline_kernelINS0_14default_configENS1_35adjacent_difference_config_selectorILb1EdEEZNS1_24adjacent_difference_implIS3_Lb1ELb0EPdS7_N6thrust23THRUST_200600_302600_NS5minusIdEEEE10hipError_tPvRmT2_T3_mT4_P12ihipStream_tbEUlT_E_NS1_11comp_targetILNS1_3genE5ELNS1_11target_archE942ELNS1_3gpuE9ELNS1_3repE0EEENS1_30default_config_static_selectorELNS0_4arch9wavefront6targetE1EEEvT1_
	.p2align	8
	.type	_ZN7rocprim17ROCPRIM_400000_NS6detail17trampoline_kernelINS0_14default_configENS1_35adjacent_difference_config_selectorILb1EdEEZNS1_24adjacent_difference_implIS3_Lb1ELb0EPdS7_N6thrust23THRUST_200600_302600_NS5minusIdEEEE10hipError_tPvRmT2_T3_mT4_P12ihipStream_tbEUlT_E_NS1_11comp_targetILNS1_3genE5ELNS1_11target_archE942ELNS1_3gpuE9ELNS1_3repE0EEENS1_30default_config_static_selectorELNS0_4arch9wavefront6targetE1EEEvT1_,@function
_ZN7rocprim17ROCPRIM_400000_NS6detail17trampoline_kernelINS0_14default_configENS1_35adjacent_difference_config_selectorILb1EdEEZNS1_24adjacent_difference_implIS3_Lb1ELb0EPdS7_N6thrust23THRUST_200600_302600_NS5minusIdEEEE10hipError_tPvRmT2_T3_mT4_P12ihipStream_tbEUlT_E_NS1_11comp_targetILNS1_3genE5ELNS1_11target_archE942ELNS1_3gpuE9ELNS1_3repE0EEENS1_30default_config_static_selectorELNS0_4arch9wavefront6targetE1EEEvT1_: ; @_ZN7rocprim17ROCPRIM_400000_NS6detail17trampoline_kernelINS0_14default_configENS1_35adjacent_difference_config_selectorILb1EdEEZNS1_24adjacent_difference_implIS3_Lb1ELb0EPdS7_N6thrust23THRUST_200600_302600_NS5minusIdEEEE10hipError_tPvRmT2_T3_mT4_P12ihipStream_tbEUlT_E_NS1_11comp_targetILNS1_3genE5ELNS1_11target_archE942ELNS1_3gpuE9ELNS1_3repE0EEENS1_30default_config_static_selectorELNS0_4arch9wavefront6targetE1EEEvT1_
; %bb.0:
	.section	.rodata,"a",@progbits
	.p2align	6, 0x0
	.amdhsa_kernel _ZN7rocprim17ROCPRIM_400000_NS6detail17trampoline_kernelINS0_14default_configENS1_35adjacent_difference_config_selectorILb1EdEEZNS1_24adjacent_difference_implIS3_Lb1ELb0EPdS7_N6thrust23THRUST_200600_302600_NS5minusIdEEEE10hipError_tPvRmT2_T3_mT4_P12ihipStream_tbEUlT_E_NS1_11comp_targetILNS1_3genE5ELNS1_11target_archE942ELNS1_3gpuE9ELNS1_3repE0EEENS1_30default_config_static_selectorELNS0_4arch9wavefront6targetE1EEEvT1_
		.amdhsa_group_segment_fixed_size 0
		.amdhsa_private_segment_fixed_size 0
		.amdhsa_kernarg_size 56
		.amdhsa_user_sgpr_count 6
		.amdhsa_user_sgpr_private_segment_buffer 1
		.amdhsa_user_sgpr_dispatch_ptr 0
		.amdhsa_user_sgpr_queue_ptr 0
		.amdhsa_user_sgpr_kernarg_segment_ptr 1
		.amdhsa_user_sgpr_dispatch_id 0
		.amdhsa_user_sgpr_flat_scratch_init 0
		.amdhsa_user_sgpr_kernarg_preload_length 0
		.amdhsa_user_sgpr_kernarg_preload_offset 0
		.amdhsa_user_sgpr_private_segment_size 0
		.amdhsa_uses_dynamic_stack 0
		.amdhsa_system_sgpr_private_segment_wavefront_offset 0
		.amdhsa_system_sgpr_workgroup_id_x 1
		.amdhsa_system_sgpr_workgroup_id_y 0
		.amdhsa_system_sgpr_workgroup_id_z 0
		.amdhsa_system_sgpr_workgroup_info 0
		.amdhsa_system_vgpr_workitem_id 0
		.amdhsa_next_free_vgpr 1
		.amdhsa_next_free_sgpr 0
		.amdhsa_accum_offset 4
		.amdhsa_reserve_vcc 0
		.amdhsa_reserve_flat_scratch 0
		.amdhsa_float_round_mode_32 0
		.amdhsa_float_round_mode_16_64 0
		.amdhsa_float_denorm_mode_32 3
		.amdhsa_float_denorm_mode_16_64 3
		.amdhsa_dx10_clamp 1
		.amdhsa_ieee_mode 1
		.amdhsa_fp16_overflow 0
		.amdhsa_tg_split 0
		.amdhsa_exception_fp_ieee_invalid_op 0
		.amdhsa_exception_fp_denorm_src 0
		.amdhsa_exception_fp_ieee_div_zero 0
		.amdhsa_exception_fp_ieee_overflow 0
		.amdhsa_exception_fp_ieee_underflow 0
		.amdhsa_exception_fp_ieee_inexact 0
		.amdhsa_exception_int_div_zero 0
	.end_amdhsa_kernel
	.section	.text._ZN7rocprim17ROCPRIM_400000_NS6detail17trampoline_kernelINS0_14default_configENS1_35adjacent_difference_config_selectorILb1EdEEZNS1_24adjacent_difference_implIS3_Lb1ELb0EPdS7_N6thrust23THRUST_200600_302600_NS5minusIdEEEE10hipError_tPvRmT2_T3_mT4_P12ihipStream_tbEUlT_E_NS1_11comp_targetILNS1_3genE5ELNS1_11target_archE942ELNS1_3gpuE9ELNS1_3repE0EEENS1_30default_config_static_selectorELNS0_4arch9wavefront6targetE1EEEvT1_,"axG",@progbits,_ZN7rocprim17ROCPRIM_400000_NS6detail17trampoline_kernelINS0_14default_configENS1_35adjacent_difference_config_selectorILb1EdEEZNS1_24adjacent_difference_implIS3_Lb1ELb0EPdS7_N6thrust23THRUST_200600_302600_NS5minusIdEEEE10hipError_tPvRmT2_T3_mT4_P12ihipStream_tbEUlT_E_NS1_11comp_targetILNS1_3genE5ELNS1_11target_archE942ELNS1_3gpuE9ELNS1_3repE0EEENS1_30default_config_static_selectorELNS0_4arch9wavefront6targetE1EEEvT1_,comdat
.Lfunc_end435:
	.size	_ZN7rocprim17ROCPRIM_400000_NS6detail17trampoline_kernelINS0_14default_configENS1_35adjacent_difference_config_selectorILb1EdEEZNS1_24adjacent_difference_implIS3_Lb1ELb0EPdS7_N6thrust23THRUST_200600_302600_NS5minusIdEEEE10hipError_tPvRmT2_T3_mT4_P12ihipStream_tbEUlT_E_NS1_11comp_targetILNS1_3genE5ELNS1_11target_archE942ELNS1_3gpuE9ELNS1_3repE0EEENS1_30default_config_static_selectorELNS0_4arch9wavefront6targetE1EEEvT1_, .Lfunc_end435-_ZN7rocprim17ROCPRIM_400000_NS6detail17trampoline_kernelINS0_14default_configENS1_35adjacent_difference_config_selectorILb1EdEEZNS1_24adjacent_difference_implIS3_Lb1ELb0EPdS7_N6thrust23THRUST_200600_302600_NS5minusIdEEEE10hipError_tPvRmT2_T3_mT4_P12ihipStream_tbEUlT_E_NS1_11comp_targetILNS1_3genE5ELNS1_11target_archE942ELNS1_3gpuE9ELNS1_3repE0EEENS1_30default_config_static_selectorELNS0_4arch9wavefront6targetE1EEEvT1_
                                        ; -- End function
	.section	.AMDGPU.csdata,"",@progbits
; Kernel info:
; codeLenInByte = 0
; NumSgprs: 4
; NumVgprs: 0
; NumAgprs: 0
; TotalNumVgprs: 0
; ScratchSize: 0
; MemoryBound: 0
; FloatMode: 240
; IeeeMode: 1
; LDSByteSize: 0 bytes/workgroup (compile time only)
; SGPRBlocks: 0
; VGPRBlocks: 0
; NumSGPRsForWavesPerEU: 4
; NumVGPRsForWavesPerEU: 1
; AccumOffset: 4
; Occupancy: 8
; WaveLimiterHint : 0
; COMPUTE_PGM_RSRC2:SCRATCH_EN: 0
; COMPUTE_PGM_RSRC2:USER_SGPR: 6
; COMPUTE_PGM_RSRC2:TRAP_HANDLER: 0
; COMPUTE_PGM_RSRC2:TGID_X_EN: 1
; COMPUTE_PGM_RSRC2:TGID_Y_EN: 0
; COMPUTE_PGM_RSRC2:TGID_Z_EN: 0
; COMPUTE_PGM_RSRC2:TIDIG_COMP_CNT: 0
; COMPUTE_PGM_RSRC3_GFX90A:ACCUM_OFFSET: 0
; COMPUTE_PGM_RSRC3_GFX90A:TG_SPLIT: 0
	.section	.text._ZN7rocprim17ROCPRIM_400000_NS6detail17trampoline_kernelINS0_14default_configENS1_35adjacent_difference_config_selectorILb1EdEEZNS1_24adjacent_difference_implIS3_Lb1ELb0EPdS7_N6thrust23THRUST_200600_302600_NS5minusIdEEEE10hipError_tPvRmT2_T3_mT4_P12ihipStream_tbEUlT_E_NS1_11comp_targetILNS1_3genE4ELNS1_11target_archE910ELNS1_3gpuE8ELNS1_3repE0EEENS1_30default_config_static_selectorELNS0_4arch9wavefront6targetE1EEEvT1_,"axG",@progbits,_ZN7rocprim17ROCPRIM_400000_NS6detail17trampoline_kernelINS0_14default_configENS1_35adjacent_difference_config_selectorILb1EdEEZNS1_24adjacent_difference_implIS3_Lb1ELb0EPdS7_N6thrust23THRUST_200600_302600_NS5minusIdEEEE10hipError_tPvRmT2_T3_mT4_P12ihipStream_tbEUlT_E_NS1_11comp_targetILNS1_3genE4ELNS1_11target_archE910ELNS1_3gpuE8ELNS1_3repE0EEENS1_30default_config_static_selectorELNS0_4arch9wavefront6targetE1EEEvT1_,comdat
	.protected	_ZN7rocprim17ROCPRIM_400000_NS6detail17trampoline_kernelINS0_14default_configENS1_35adjacent_difference_config_selectorILb1EdEEZNS1_24adjacent_difference_implIS3_Lb1ELb0EPdS7_N6thrust23THRUST_200600_302600_NS5minusIdEEEE10hipError_tPvRmT2_T3_mT4_P12ihipStream_tbEUlT_E_NS1_11comp_targetILNS1_3genE4ELNS1_11target_archE910ELNS1_3gpuE8ELNS1_3repE0EEENS1_30default_config_static_selectorELNS0_4arch9wavefront6targetE1EEEvT1_ ; -- Begin function _ZN7rocprim17ROCPRIM_400000_NS6detail17trampoline_kernelINS0_14default_configENS1_35adjacent_difference_config_selectorILb1EdEEZNS1_24adjacent_difference_implIS3_Lb1ELb0EPdS7_N6thrust23THRUST_200600_302600_NS5minusIdEEEE10hipError_tPvRmT2_T3_mT4_P12ihipStream_tbEUlT_E_NS1_11comp_targetILNS1_3genE4ELNS1_11target_archE910ELNS1_3gpuE8ELNS1_3repE0EEENS1_30default_config_static_selectorELNS0_4arch9wavefront6targetE1EEEvT1_
	.globl	_ZN7rocprim17ROCPRIM_400000_NS6detail17trampoline_kernelINS0_14default_configENS1_35adjacent_difference_config_selectorILb1EdEEZNS1_24adjacent_difference_implIS3_Lb1ELb0EPdS7_N6thrust23THRUST_200600_302600_NS5minusIdEEEE10hipError_tPvRmT2_T3_mT4_P12ihipStream_tbEUlT_E_NS1_11comp_targetILNS1_3genE4ELNS1_11target_archE910ELNS1_3gpuE8ELNS1_3repE0EEENS1_30default_config_static_selectorELNS0_4arch9wavefront6targetE1EEEvT1_
	.p2align	8
	.type	_ZN7rocprim17ROCPRIM_400000_NS6detail17trampoline_kernelINS0_14default_configENS1_35adjacent_difference_config_selectorILb1EdEEZNS1_24adjacent_difference_implIS3_Lb1ELb0EPdS7_N6thrust23THRUST_200600_302600_NS5minusIdEEEE10hipError_tPvRmT2_T3_mT4_P12ihipStream_tbEUlT_E_NS1_11comp_targetILNS1_3genE4ELNS1_11target_archE910ELNS1_3gpuE8ELNS1_3repE0EEENS1_30default_config_static_selectorELNS0_4arch9wavefront6targetE1EEEvT1_,@function
_ZN7rocprim17ROCPRIM_400000_NS6detail17trampoline_kernelINS0_14default_configENS1_35adjacent_difference_config_selectorILb1EdEEZNS1_24adjacent_difference_implIS3_Lb1ELb0EPdS7_N6thrust23THRUST_200600_302600_NS5minusIdEEEE10hipError_tPvRmT2_T3_mT4_P12ihipStream_tbEUlT_E_NS1_11comp_targetILNS1_3genE4ELNS1_11target_archE910ELNS1_3gpuE8ELNS1_3repE0EEENS1_30default_config_static_selectorELNS0_4arch9wavefront6targetE1EEEvT1_: ; @_ZN7rocprim17ROCPRIM_400000_NS6detail17trampoline_kernelINS0_14default_configENS1_35adjacent_difference_config_selectorILb1EdEEZNS1_24adjacent_difference_implIS3_Lb1ELb0EPdS7_N6thrust23THRUST_200600_302600_NS5minusIdEEEE10hipError_tPvRmT2_T3_mT4_P12ihipStream_tbEUlT_E_NS1_11comp_targetILNS1_3genE4ELNS1_11target_archE910ELNS1_3gpuE8ELNS1_3repE0EEENS1_30default_config_static_selectorELNS0_4arch9wavefront6targetE1EEEvT1_
; %bb.0:
	s_load_dwordx8 s[8:15], s[4:5], 0x0
	s_load_dwordx4 s[16:19], s[4:5], 0x28
	s_mov_b32 s21, 0
	s_mov_b64 s[22:23], -1
	s_waitcnt lgkmcnt(0)
	s_lshl_b64 s[10:11], s[10:11], 3
	s_add_u32 s26, s8, s10
	s_addc_u32 s27, s9, s11
	s_lshl_b32 s4, s6, 10
	s_lshr_b64 s[0:1], s[14:15], 10
	s_and_b32 s20, s14, 0x3ff
	s_cmp_lg_u64 s[20:21], 0
	s_cselect_b64 s[2:3], -1, 0
	v_cndmask_b32_e64 v1, 0, 1, s[2:3]
	v_readfirstlane_b32 s2, v1
	s_add_u32 s2, s0, s2
	s_addc_u32 s3, s1, 0
	s_add_u32 s8, s18, s6
	s_addc_u32 s9, s19, 0
	s_mov_b32 s20, s6
	s_add_u32 s6, s2, -1
	s_addc_u32 s7, s3, -1
	v_pk_mov_b32 v[2:3], s[6:7], s[6:7] op_sel:[0,1]
	v_cmp_ge_u64_e64 s[0:1], s[8:9], v[2:3]
	s_and_b64 vcc, exec, s[0:1]
	s_cbranch_vccz .LBB436_6
; %bb.1:
	s_lshl_b32 s5, s6, 10
	s_sub_i32 s15, s14, s5
	s_mov_b32 s5, s21
	s_lshl_b64 s[22:23], s[4:5], 3
	s_add_u32 s22, s26, s22
	s_addc_u32 s23, s27, s23
	v_cmp_gt_u32_e32 vcc, s15, v0
                                        ; implicit-def: $vgpr2_vgpr3_vgpr4_vgpr5
	s_and_saveexec_b64 s[24:25], vcc
	s_cbranch_execz .LBB436_3
; %bb.2:
	v_lshlrev_b32_e32 v1, 3, v0
	global_load_dwordx2 v[2:3], v1, s[22:23]
.LBB436_3:
	s_or_b64 exec, exec, s[24:25]
	v_or_b32_e32 v1, 0x200, v0
	v_cmp_gt_u32_e32 vcc, s15, v1
	s_and_saveexec_b64 s[24:25], vcc
	s_cbranch_execz .LBB436_5
; %bb.4:
	v_lshlrev_b32_e32 v4, 3, v1
	global_load_dwordx2 v[4:5], v4, s[22:23]
.LBB436_5:
	s_or_b64 exec, exec, s[24:25]
	v_lshrrev_b32_e32 v6, 2, v0
	v_lshrrev_b32_e32 v1, 2, v1
	v_and_b32_e32 v6, 0x78, v6
	v_lshlrev_b32_e32 v7, 3, v0
	v_and_b32_e32 v1, 0xf8, v1
	v_add_u32_e32 v6, v6, v7
	v_add_u32_e32 v1, v1, v7
	s_mov_b64 s[22:23], 0
	s_waitcnt vmcnt(0)
	ds_write_b64 v6, v[2:3]
	ds_write_b64 v1, v[4:5] offset:4096
	s_waitcnt lgkmcnt(0)
	s_barrier
.LBB436_6:
	s_and_b64 vcc, exec, s[22:23]
	v_lshlrev_b32_e32 v1, 3, v0
	s_cbranch_vccz .LBB436_8
; %bb.7:
	s_mov_b32 s5, 0
	s_lshl_b64 s[22:23], s[4:5], 3
	s_add_u32 s22, s26, s22
	s_addc_u32 s23, s27, s23
	v_mov_b32_e32 v2, s23
	v_add_co_u32_e32 v3, vcc, s22, v1
	v_addc_co_u32_e32 v4, vcc, 0, v2, vcc
	v_add_co_u32_e32 v2, vcc, 0x1000, v3
	v_addc_co_u32_e32 v3, vcc, 0, v4, vcc
	global_load_dwordx2 v[4:5], v1, s[22:23]
	global_load_dwordx2 v[6:7], v[2:3], off
	v_lshrrev_b32_e32 v2, 2, v0
	v_or_b32_e32 v3, 0x200, v0
	v_and_b32_e32 v2, 0x78, v2
	v_lshrrev_b32_e32 v3, 2, v3
	v_add_u32_e32 v2, v2, v1
	v_and_b32_e32 v3, 0xf8, v3
	v_add_u32_e32 v3, v3, v1
	s_waitcnt vmcnt(1)
	ds_write_b64 v2, v[4:5]
	s_waitcnt vmcnt(0)
	ds_write_b64 v3, v[6:7] offset:4096
	s_waitcnt lgkmcnt(0)
	s_barrier
.LBB436_8:
	v_lshlrev_b32_e32 v2, 1, v0
	v_lshrrev_b32_e32 v3, 4, v0
	v_add_lshl_u32 v2, v3, v2, 3
	ds_read2_b64 v[2:5], v2 offset1:1
	s_cmp_eq_u64 s[8:9], 0
	s_waitcnt lgkmcnt(0)
	s_barrier
	s_cbranch_scc1 .LBB436_13
; %bb.9:
	s_lshl_b64 s[18:19], s[18:19], 3
	s_add_u32 s5, s16, s18
	s_addc_u32 s15, s17, s19
	s_lshl_b64 s[16:17], s[20:21], 3
	s_add_u32 s5, s5, s16
	s_addc_u32 s15, s15, s17
	s_add_u32 s16, s5, -8
	s_addc_u32 s17, s15, -1
	s_load_dwordx2 s[16:17], s[16:17], 0x0
	s_cmp_eq_u64 s[8:9], s[6:7]
	s_cbranch_scc1 .LBB436_14
; %bb.10:
	v_cmp_ne_u32_e32 vcc, 0, v0
	s_waitcnt lgkmcnt(0)
	v_pk_mov_b32 v[6:7], s[16:17], s[16:17] op_sel:[0,1]
	ds_write_b64 v1, v[4:5]
	s_waitcnt lgkmcnt(0)
	s_barrier
	s_and_saveexec_b64 s[18:19], vcc
	s_cbranch_execz .LBB436_12
; %bb.11:
	v_add_u32_e32 v6, -8, v1
	ds_read_b64 v[6:7], v6
.LBB436_12:
	s_or_b64 exec, exec, s[18:19]
	v_add_f64 v[10:11], v[4:5], -v[2:3]
	s_waitcnt lgkmcnt(0)
	v_add_f64 v[6:7], v[2:3], -v[6:7]
	s_branch .LBB436_18
.LBB436_13:
                                        ; implicit-def: $vgpr10_vgpr11
                                        ; implicit-def: $vgpr6_vgpr7_vgpr8_vgpr9
	s_branch .LBB436_19
.LBB436_14:
                                        ; implicit-def: $vgpr10_vgpr11
                                        ; implicit-def: $vgpr6_vgpr7_vgpr8_vgpr9
	s_cbranch_execz .LBB436_18
; %bb.15:
	v_cmp_ne_u32_e32 vcc, 0, v0
	s_waitcnt lgkmcnt(0)
	v_pk_mov_b32 v[6:7], s[16:17], s[16:17] op_sel:[0,1]
	ds_write_b64 v1, v[4:5]
	s_waitcnt lgkmcnt(0)
	s_barrier
	s_and_saveexec_b64 s[16:17], vcc
	s_cbranch_execz .LBB436_17
; %bb.16:
	v_add_u32_e32 v6, -8, v1
	ds_read_b64 v[6:7], v6
.LBB436_17:
	s_or_b64 exec, exec, s[16:17]
	s_lshl_b32 s5, s8, 10
	v_lshlrev_b32_e32 v12, 1, v0
	s_sub_i32 s5, s14, s5
	v_or_b32_e32 v10, 1, v12
	v_add_f64 v[8:9], v[4:5], -v[2:3]
	v_cmp_gt_u32_e32 vcc, s5, v10
	v_cndmask_b32_e32 v11, v5, v9, vcc
	v_cndmask_b32_e32 v10, v4, v8, vcc
	s_waitcnt lgkmcnt(0)
	v_add_f64 v[6:7], v[2:3], -v[6:7]
	v_cmp_gt_u32_e32 vcc, s5, v12
	v_cndmask_b32_e32 v7, v3, v7, vcc
	v_cndmask_b32_e32 v6, v2, v6, vcc
.LBB436_18:
	s_cbranch_execnz .LBB436_27
.LBB436_19:
	s_cmp_eq_u64 s[2:3], 1
	v_add_f64 v[10:11], v[4:5], -v[2:3]
	v_cmp_ne_u32_e32 vcc, 0, v0
	s_cbranch_scc1 .LBB436_23
; %bb.20:
	v_pk_mov_b32 v[6:7], v[2:3], v[2:3] op_sel:[0,1]
	ds_write_b64 v1, v[4:5]
	s_waitcnt lgkmcnt(0)
	s_barrier
	s_and_saveexec_b64 s[2:3], vcc
	s_cbranch_execz .LBB436_22
; %bb.21:
	v_add_u32_e32 v6, -8, v1
	ds_read_b64 v[6:7], v6
	s_waitcnt lgkmcnt(0)
	v_add_f64 v[6:7], v[2:3], -v[6:7]
.LBB436_22:
	s_or_b64 exec, exec, s[2:3]
	s_cbranch_execz .LBB436_24
	s_branch .LBB436_27
.LBB436_23:
                                        ; implicit-def: $vgpr6_vgpr7_vgpr8_vgpr9
.LBB436_24:
	v_lshlrev_b32_e32 v6, 1, v0
	v_or_b32_e32 v7, 1, v6
	v_cmp_gt_u32_e32 vcc, s14, v7
	v_cndmask_b32_e32 v11, v5, v11, vcc
	v_cndmask_b32_e32 v10, v4, v10, vcc
	v_cmp_ne_u32_e32 vcc, 0, v0
	v_cmp_gt_u32_e64 s[2:3], s14, v6
	s_and_b64 s[8:9], vcc, s[2:3]
	ds_write_b64 v1, v[4:5]
	s_waitcnt lgkmcnt(0)
	s_barrier
	s_and_saveexec_b64 s[2:3], s[8:9]
	s_cbranch_execz .LBB436_26
; %bb.25:
	v_add_u32_e32 v4, -8, v1
	ds_read_b64 v[4:5], v4
	s_waitcnt lgkmcnt(0)
	v_add_f64 v[2:3], v[2:3], -v[4:5]
.LBB436_26:
	s_or_b64 exec, exec, s[2:3]
	v_pk_mov_b32 v[6:7], v[2:3], v[2:3] op_sel:[0,1]
.LBB436_27:
	s_add_u32 s7, s12, s10
	s_addc_u32 s8, s13, s11
	s_and_b64 vcc, exec, s[0:1]
	v_lshrrev_b32_e32 v8, 1, v0
	s_waitcnt lgkmcnt(0)
	s_barrier
	s_cbranch_vccz .LBB436_31
; %bb.28:
	v_and_b32_e32 v2, 0xf8, v8
	v_lshl_add_u32 v2, v0, 4, v2
	v_or_b32_e32 v9, 0x200, v0
	s_lshl_b32 s0, s6, 10
	s_mov_b32 s5, 0
	ds_write2_b64 v2, v[6:7], v[10:11] offset1:1
	v_lshrrev_b32_e32 v2, 5, v9
	s_sub_i32 s2, s14, s0
	s_lshl_b64 s[0:1], s[4:5], 3
	v_add_lshl_u32 v2, v2, v0, 3
	s_add_u32 s0, s7, s0
	s_waitcnt lgkmcnt(0)
	s_barrier
	ds_read_b64 v[2:3], v2 offset:4096
	s_addc_u32 s1, s8, s1
	v_mov_b32_e32 v5, s1
	v_add_co_u32_e32 v4, vcc, s0, v1
	v_addc_co_u32_e32 v5, vcc, 0, v5, vcc
	v_cmp_gt_u32_e32 vcc, s2, v0
	s_and_saveexec_b64 s[0:1], vcc
	s_cbranch_execz .LBB436_30
; %bb.29:
	v_lshrrev_b32_e32 v12, 5, v0
	v_add_lshl_u32 v12, v12, v0, 3
	ds_read_b64 v[12:13], v12
	s_waitcnt lgkmcnt(0)
	global_store_dwordx2 v[4:5], v[12:13], off
.LBB436_30:
	s_or_b64 exec, exec, s[0:1]
	v_cmp_gt_u32_e64 s[0:1], s2, v9
	s_branch .LBB436_33
.LBB436_31:
	s_mov_b64 s[0:1], 0
                                        ; implicit-def: $vgpr2_vgpr3
                                        ; implicit-def: $vgpr4_vgpr5
	s_cbranch_execz .LBB436_33
; %bb.32:
	s_waitcnt lgkmcnt(0)
	v_and_b32_e32 v2, 0xf8, v8
	v_lshl_add_u32 v2, v0, 4, v2
	s_mov_b32 s5, 0
	ds_write2_b64 v2, v[6:7], v[10:11] offset1:1
	v_lshrrev_b32_e32 v2, 5, v0
	v_or_b32_e32 v3, 0x200, v0
	s_lshl_b64 s[2:3], s[4:5], 3
	v_add_lshl_u32 v2, v2, v0, 3
	v_lshrrev_b32_e32 v3, 5, v3
	s_add_u32 s2, s7, s2
	s_waitcnt lgkmcnt(0)
	s_barrier
	v_add_lshl_u32 v0, v3, v0, 3
	ds_read_b64 v[6:7], v2
	ds_read_b64 v[2:3], v0 offset:4096
	s_addc_u32 s3, s8, s3
	v_mov_b32_e32 v0, s3
	v_add_co_u32_e32 v4, vcc, s2, v1
	v_addc_co_u32_e32 v5, vcc, 0, v0, vcc
	s_or_b64 s[0:1], s[0:1], exec
	s_waitcnt lgkmcnt(1)
	global_store_dwordx2 v1, v[6:7], s[2:3]
.LBB436_33:
	s_and_saveexec_b64 s[2:3], s[0:1]
	s_cbranch_execnz .LBB436_35
; %bb.34:
	s_endpgm
.LBB436_35:
	v_add_co_u32_e32 v0, vcc, 0x1000, v4
	v_addc_co_u32_e32 v1, vcc, 0, v5, vcc
	s_waitcnt lgkmcnt(0)
	global_store_dwordx2 v[0:1], v[2:3], off
	s_endpgm
	.section	.rodata,"a",@progbits
	.p2align	6, 0x0
	.amdhsa_kernel _ZN7rocprim17ROCPRIM_400000_NS6detail17trampoline_kernelINS0_14default_configENS1_35adjacent_difference_config_selectorILb1EdEEZNS1_24adjacent_difference_implIS3_Lb1ELb0EPdS7_N6thrust23THRUST_200600_302600_NS5minusIdEEEE10hipError_tPvRmT2_T3_mT4_P12ihipStream_tbEUlT_E_NS1_11comp_targetILNS1_3genE4ELNS1_11target_archE910ELNS1_3gpuE8ELNS1_3repE0EEENS1_30default_config_static_selectorELNS0_4arch9wavefront6targetE1EEEvT1_
		.amdhsa_group_segment_fixed_size 8448
		.amdhsa_private_segment_fixed_size 0
		.amdhsa_kernarg_size 56
		.amdhsa_user_sgpr_count 6
		.amdhsa_user_sgpr_private_segment_buffer 1
		.amdhsa_user_sgpr_dispatch_ptr 0
		.amdhsa_user_sgpr_queue_ptr 0
		.amdhsa_user_sgpr_kernarg_segment_ptr 1
		.amdhsa_user_sgpr_dispatch_id 0
		.amdhsa_user_sgpr_flat_scratch_init 0
		.amdhsa_user_sgpr_kernarg_preload_length 0
		.amdhsa_user_sgpr_kernarg_preload_offset 0
		.amdhsa_user_sgpr_private_segment_size 0
		.amdhsa_uses_dynamic_stack 0
		.amdhsa_system_sgpr_private_segment_wavefront_offset 0
		.amdhsa_system_sgpr_workgroup_id_x 1
		.amdhsa_system_sgpr_workgroup_id_y 0
		.amdhsa_system_sgpr_workgroup_id_z 0
		.amdhsa_system_sgpr_workgroup_info 0
		.amdhsa_system_vgpr_workitem_id 0
		.amdhsa_next_free_vgpr 14
		.amdhsa_next_free_sgpr 28
		.amdhsa_accum_offset 16
		.amdhsa_reserve_vcc 1
		.amdhsa_reserve_flat_scratch 0
		.amdhsa_float_round_mode_32 0
		.amdhsa_float_round_mode_16_64 0
		.amdhsa_float_denorm_mode_32 3
		.amdhsa_float_denorm_mode_16_64 3
		.amdhsa_dx10_clamp 1
		.amdhsa_ieee_mode 1
		.amdhsa_fp16_overflow 0
		.amdhsa_tg_split 0
		.amdhsa_exception_fp_ieee_invalid_op 0
		.amdhsa_exception_fp_denorm_src 0
		.amdhsa_exception_fp_ieee_div_zero 0
		.amdhsa_exception_fp_ieee_overflow 0
		.amdhsa_exception_fp_ieee_underflow 0
		.amdhsa_exception_fp_ieee_inexact 0
		.amdhsa_exception_int_div_zero 0
	.end_amdhsa_kernel
	.section	.text._ZN7rocprim17ROCPRIM_400000_NS6detail17trampoline_kernelINS0_14default_configENS1_35adjacent_difference_config_selectorILb1EdEEZNS1_24adjacent_difference_implIS3_Lb1ELb0EPdS7_N6thrust23THRUST_200600_302600_NS5minusIdEEEE10hipError_tPvRmT2_T3_mT4_P12ihipStream_tbEUlT_E_NS1_11comp_targetILNS1_3genE4ELNS1_11target_archE910ELNS1_3gpuE8ELNS1_3repE0EEENS1_30default_config_static_selectorELNS0_4arch9wavefront6targetE1EEEvT1_,"axG",@progbits,_ZN7rocprim17ROCPRIM_400000_NS6detail17trampoline_kernelINS0_14default_configENS1_35adjacent_difference_config_selectorILb1EdEEZNS1_24adjacent_difference_implIS3_Lb1ELb0EPdS7_N6thrust23THRUST_200600_302600_NS5minusIdEEEE10hipError_tPvRmT2_T3_mT4_P12ihipStream_tbEUlT_E_NS1_11comp_targetILNS1_3genE4ELNS1_11target_archE910ELNS1_3gpuE8ELNS1_3repE0EEENS1_30default_config_static_selectorELNS0_4arch9wavefront6targetE1EEEvT1_,comdat
.Lfunc_end436:
	.size	_ZN7rocprim17ROCPRIM_400000_NS6detail17trampoline_kernelINS0_14default_configENS1_35adjacent_difference_config_selectorILb1EdEEZNS1_24adjacent_difference_implIS3_Lb1ELb0EPdS7_N6thrust23THRUST_200600_302600_NS5minusIdEEEE10hipError_tPvRmT2_T3_mT4_P12ihipStream_tbEUlT_E_NS1_11comp_targetILNS1_3genE4ELNS1_11target_archE910ELNS1_3gpuE8ELNS1_3repE0EEENS1_30default_config_static_selectorELNS0_4arch9wavefront6targetE1EEEvT1_, .Lfunc_end436-_ZN7rocprim17ROCPRIM_400000_NS6detail17trampoline_kernelINS0_14default_configENS1_35adjacent_difference_config_selectorILb1EdEEZNS1_24adjacent_difference_implIS3_Lb1ELb0EPdS7_N6thrust23THRUST_200600_302600_NS5minusIdEEEE10hipError_tPvRmT2_T3_mT4_P12ihipStream_tbEUlT_E_NS1_11comp_targetILNS1_3genE4ELNS1_11target_archE910ELNS1_3gpuE8ELNS1_3repE0EEENS1_30default_config_static_selectorELNS0_4arch9wavefront6targetE1EEEvT1_
                                        ; -- End function
	.section	.AMDGPU.csdata,"",@progbits
; Kernel info:
; codeLenInByte = 1264
; NumSgprs: 32
; NumVgprs: 14
; NumAgprs: 0
; TotalNumVgprs: 14
; ScratchSize: 0
; MemoryBound: 0
; FloatMode: 240
; IeeeMode: 1
; LDSByteSize: 8448 bytes/workgroup (compile time only)
; SGPRBlocks: 3
; VGPRBlocks: 1
; NumSGPRsForWavesPerEU: 32
; NumVGPRsForWavesPerEU: 14
; AccumOffset: 16
; Occupancy: 8
; WaveLimiterHint : 1
; COMPUTE_PGM_RSRC2:SCRATCH_EN: 0
; COMPUTE_PGM_RSRC2:USER_SGPR: 6
; COMPUTE_PGM_RSRC2:TRAP_HANDLER: 0
; COMPUTE_PGM_RSRC2:TGID_X_EN: 1
; COMPUTE_PGM_RSRC2:TGID_Y_EN: 0
; COMPUTE_PGM_RSRC2:TGID_Z_EN: 0
; COMPUTE_PGM_RSRC2:TIDIG_COMP_CNT: 0
; COMPUTE_PGM_RSRC3_GFX90A:ACCUM_OFFSET: 3
; COMPUTE_PGM_RSRC3_GFX90A:TG_SPLIT: 0
	.section	.text._ZN7rocprim17ROCPRIM_400000_NS6detail17trampoline_kernelINS0_14default_configENS1_35adjacent_difference_config_selectorILb1EdEEZNS1_24adjacent_difference_implIS3_Lb1ELb0EPdS7_N6thrust23THRUST_200600_302600_NS5minusIdEEEE10hipError_tPvRmT2_T3_mT4_P12ihipStream_tbEUlT_E_NS1_11comp_targetILNS1_3genE3ELNS1_11target_archE908ELNS1_3gpuE7ELNS1_3repE0EEENS1_30default_config_static_selectorELNS0_4arch9wavefront6targetE1EEEvT1_,"axG",@progbits,_ZN7rocprim17ROCPRIM_400000_NS6detail17trampoline_kernelINS0_14default_configENS1_35adjacent_difference_config_selectorILb1EdEEZNS1_24adjacent_difference_implIS3_Lb1ELb0EPdS7_N6thrust23THRUST_200600_302600_NS5minusIdEEEE10hipError_tPvRmT2_T3_mT4_P12ihipStream_tbEUlT_E_NS1_11comp_targetILNS1_3genE3ELNS1_11target_archE908ELNS1_3gpuE7ELNS1_3repE0EEENS1_30default_config_static_selectorELNS0_4arch9wavefront6targetE1EEEvT1_,comdat
	.protected	_ZN7rocprim17ROCPRIM_400000_NS6detail17trampoline_kernelINS0_14default_configENS1_35adjacent_difference_config_selectorILb1EdEEZNS1_24adjacent_difference_implIS3_Lb1ELb0EPdS7_N6thrust23THRUST_200600_302600_NS5minusIdEEEE10hipError_tPvRmT2_T3_mT4_P12ihipStream_tbEUlT_E_NS1_11comp_targetILNS1_3genE3ELNS1_11target_archE908ELNS1_3gpuE7ELNS1_3repE0EEENS1_30default_config_static_selectorELNS0_4arch9wavefront6targetE1EEEvT1_ ; -- Begin function _ZN7rocprim17ROCPRIM_400000_NS6detail17trampoline_kernelINS0_14default_configENS1_35adjacent_difference_config_selectorILb1EdEEZNS1_24adjacent_difference_implIS3_Lb1ELb0EPdS7_N6thrust23THRUST_200600_302600_NS5minusIdEEEE10hipError_tPvRmT2_T3_mT4_P12ihipStream_tbEUlT_E_NS1_11comp_targetILNS1_3genE3ELNS1_11target_archE908ELNS1_3gpuE7ELNS1_3repE0EEENS1_30default_config_static_selectorELNS0_4arch9wavefront6targetE1EEEvT1_
	.globl	_ZN7rocprim17ROCPRIM_400000_NS6detail17trampoline_kernelINS0_14default_configENS1_35adjacent_difference_config_selectorILb1EdEEZNS1_24adjacent_difference_implIS3_Lb1ELb0EPdS7_N6thrust23THRUST_200600_302600_NS5minusIdEEEE10hipError_tPvRmT2_T3_mT4_P12ihipStream_tbEUlT_E_NS1_11comp_targetILNS1_3genE3ELNS1_11target_archE908ELNS1_3gpuE7ELNS1_3repE0EEENS1_30default_config_static_selectorELNS0_4arch9wavefront6targetE1EEEvT1_
	.p2align	8
	.type	_ZN7rocprim17ROCPRIM_400000_NS6detail17trampoline_kernelINS0_14default_configENS1_35adjacent_difference_config_selectorILb1EdEEZNS1_24adjacent_difference_implIS3_Lb1ELb0EPdS7_N6thrust23THRUST_200600_302600_NS5minusIdEEEE10hipError_tPvRmT2_T3_mT4_P12ihipStream_tbEUlT_E_NS1_11comp_targetILNS1_3genE3ELNS1_11target_archE908ELNS1_3gpuE7ELNS1_3repE0EEENS1_30default_config_static_selectorELNS0_4arch9wavefront6targetE1EEEvT1_,@function
_ZN7rocprim17ROCPRIM_400000_NS6detail17trampoline_kernelINS0_14default_configENS1_35adjacent_difference_config_selectorILb1EdEEZNS1_24adjacent_difference_implIS3_Lb1ELb0EPdS7_N6thrust23THRUST_200600_302600_NS5minusIdEEEE10hipError_tPvRmT2_T3_mT4_P12ihipStream_tbEUlT_E_NS1_11comp_targetILNS1_3genE3ELNS1_11target_archE908ELNS1_3gpuE7ELNS1_3repE0EEENS1_30default_config_static_selectorELNS0_4arch9wavefront6targetE1EEEvT1_: ; @_ZN7rocprim17ROCPRIM_400000_NS6detail17trampoline_kernelINS0_14default_configENS1_35adjacent_difference_config_selectorILb1EdEEZNS1_24adjacent_difference_implIS3_Lb1ELb0EPdS7_N6thrust23THRUST_200600_302600_NS5minusIdEEEE10hipError_tPvRmT2_T3_mT4_P12ihipStream_tbEUlT_E_NS1_11comp_targetILNS1_3genE3ELNS1_11target_archE908ELNS1_3gpuE7ELNS1_3repE0EEENS1_30default_config_static_selectorELNS0_4arch9wavefront6targetE1EEEvT1_
; %bb.0:
	.section	.rodata,"a",@progbits
	.p2align	6, 0x0
	.amdhsa_kernel _ZN7rocprim17ROCPRIM_400000_NS6detail17trampoline_kernelINS0_14default_configENS1_35adjacent_difference_config_selectorILb1EdEEZNS1_24adjacent_difference_implIS3_Lb1ELb0EPdS7_N6thrust23THRUST_200600_302600_NS5minusIdEEEE10hipError_tPvRmT2_T3_mT4_P12ihipStream_tbEUlT_E_NS1_11comp_targetILNS1_3genE3ELNS1_11target_archE908ELNS1_3gpuE7ELNS1_3repE0EEENS1_30default_config_static_selectorELNS0_4arch9wavefront6targetE1EEEvT1_
		.amdhsa_group_segment_fixed_size 0
		.amdhsa_private_segment_fixed_size 0
		.amdhsa_kernarg_size 56
		.amdhsa_user_sgpr_count 6
		.amdhsa_user_sgpr_private_segment_buffer 1
		.amdhsa_user_sgpr_dispatch_ptr 0
		.amdhsa_user_sgpr_queue_ptr 0
		.amdhsa_user_sgpr_kernarg_segment_ptr 1
		.amdhsa_user_sgpr_dispatch_id 0
		.amdhsa_user_sgpr_flat_scratch_init 0
		.amdhsa_user_sgpr_kernarg_preload_length 0
		.amdhsa_user_sgpr_kernarg_preload_offset 0
		.amdhsa_user_sgpr_private_segment_size 0
		.amdhsa_uses_dynamic_stack 0
		.amdhsa_system_sgpr_private_segment_wavefront_offset 0
		.amdhsa_system_sgpr_workgroup_id_x 1
		.amdhsa_system_sgpr_workgroup_id_y 0
		.amdhsa_system_sgpr_workgroup_id_z 0
		.amdhsa_system_sgpr_workgroup_info 0
		.amdhsa_system_vgpr_workitem_id 0
		.amdhsa_next_free_vgpr 1
		.amdhsa_next_free_sgpr 0
		.amdhsa_accum_offset 4
		.amdhsa_reserve_vcc 0
		.amdhsa_reserve_flat_scratch 0
		.amdhsa_float_round_mode_32 0
		.amdhsa_float_round_mode_16_64 0
		.amdhsa_float_denorm_mode_32 3
		.amdhsa_float_denorm_mode_16_64 3
		.amdhsa_dx10_clamp 1
		.amdhsa_ieee_mode 1
		.amdhsa_fp16_overflow 0
		.amdhsa_tg_split 0
		.amdhsa_exception_fp_ieee_invalid_op 0
		.amdhsa_exception_fp_denorm_src 0
		.amdhsa_exception_fp_ieee_div_zero 0
		.amdhsa_exception_fp_ieee_overflow 0
		.amdhsa_exception_fp_ieee_underflow 0
		.amdhsa_exception_fp_ieee_inexact 0
		.amdhsa_exception_int_div_zero 0
	.end_amdhsa_kernel
	.section	.text._ZN7rocprim17ROCPRIM_400000_NS6detail17trampoline_kernelINS0_14default_configENS1_35adjacent_difference_config_selectorILb1EdEEZNS1_24adjacent_difference_implIS3_Lb1ELb0EPdS7_N6thrust23THRUST_200600_302600_NS5minusIdEEEE10hipError_tPvRmT2_T3_mT4_P12ihipStream_tbEUlT_E_NS1_11comp_targetILNS1_3genE3ELNS1_11target_archE908ELNS1_3gpuE7ELNS1_3repE0EEENS1_30default_config_static_selectorELNS0_4arch9wavefront6targetE1EEEvT1_,"axG",@progbits,_ZN7rocprim17ROCPRIM_400000_NS6detail17trampoline_kernelINS0_14default_configENS1_35adjacent_difference_config_selectorILb1EdEEZNS1_24adjacent_difference_implIS3_Lb1ELb0EPdS7_N6thrust23THRUST_200600_302600_NS5minusIdEEEE10hipError_tPvRmT2_T3_mT4_P12ihipStream_tbEUlT_E_NS1_11comp_targetILNS1_3genE3ELNS1_11target_archE908ELNS1_3gpuE7ELNS1_3repE0EEENS1_30default_config_static_selectorELNS0_4arch9wavefront6targetE1EEEvT1_,comdat
.Lfunc_end437:
	.size	_ZN7rocprim17ROCPRIM_400000_NS6detail17trampoline_kernelINS0_14default_configENS1_35adjacent_difference_config_selectorILb1EdEEZNS1_24adjacent_difference_implIS3_Lb1ELb0EPdS7_N6thrust23THRUST_200600_302600_NS5minusIdEEEE10hipError_tPvRmT2_T3_mT4_P12ihipStream_tbEUlT_E_NS1_11comp_targetILNS1_3genE3ELNS1_11target_archE908ELNS1_3gpuE7ELNS1_3repE0EEENS1_30default_config_static_selectorELNS0_4arch9wavefront6targetE1EEEvT1_, .Lfunc_end437-_ZN7rocprim17ROCPRIM_400000_NS6detail17trampoline_kernelINS0_14default_configENS1_35adjacent_difference_config_selectorILb1EdEEZNS1_24adjacent_difference_implIS3_Lb1ELb0EPdS7_N6thrust23THRUST_200600_302600_NS5minusIdEEEE10hipError_tPvRmT2_T3_mT4_P12ihipStream_tbEUlT_E_NS1_11comp_targetILNS1_3genE3ELNS1_11target_archE908ELNS1_3gpuE7ELNS1_3repE0EEENS1_30default_config_static_selectorELNS0_4arch9wavefront6targetE1EEEvT1_
                                        ; -- End function
	.section	.AMDGPU.csdata,"",@progbits
; Kernel info:
; codeLenInByte = 0
; NumSgprs: 4
; NumVgprs: 0
; NumAgprs: 0
; TotalNumVgprs: 0
; ScratchSize: 0
; MemoryBound: 0
; FloatMode: 240
; IeeeMode: 1
; LDSByteSize: 0 bytes/workgroup (compile time only)
; SGPRBlocks: 0
; VGPRBlocks: 0
; NumSGPRsForWavesPerEU: 4
; NumVGPRsForWavesPerEU: 1
; AccumOffset: 4
; Occupancy: 8
; WaveLimiterHint : 0
; COMPUTE_PGM_RSRC2:SCRATCH_EN: 0
; COMPUTE_PGM_RSRC2:USER_SGPR: 6
; COMPUTE_PGM_RSRC2:TRAP_HANDLER: 0
; COMPUTE_PGM_RSRC2:TGID_X_EN: 1
; COMPUTE_PGM_RSRC2:TGID_Y_EN: 0
; COMPUTE_PGM_RSRC2:TGID_Z_EN: 0
; COMPUTE_PGM_RSRC2:TIDIG_COMP_CNT: 0
; COMPUTE_PGM_RSRC3_GFX90A:ACCUM_OFFSET: 0
; COMPUTE_PGM_RSRC3_GFX90A:TG_SPLIT: 0
	.section	.text._ZN7rocprim17ROCPRIM_400000_NS6detail17trampoline_kernelINS0_14default_configENS1_35adjacent_difference_config_selectorILb1EdEEZNS1_24adjacent_difference_implIS3_Lb1ELb0EPdS7_N6thrust23THRUST_200600_302600_NS5minusIdEEEE10hipError_tPvRmT2_T3_mT4_P12ihipStream_tbEUlT_E_NS1_11comp_targetILNS1_3genE2ELNS1_11target_archE906ELNS1_3gpuE6ELNS1_3repE0EEENS1_30default_config_static_selectorELNS0_4arch9wavefront6targetE1EEEvT1_,"axG",@progbits,_ZN7rocprim17ROCPRIM_400000_NS6detail17trampoline_kernelINS0_14default_configENS1_35adjacent_difference_config_selectorILb1EdEEZNS1_24adjacent_difference_implIS3_Lb1ELb0EPdS7_N6thrust23THRUST_200600_302600_NS5minusIdEEEE10hipError_tPvRmT2_T3_mT4_P12ihipStream_tbEUlT_E_NS1_11comp_targetILNS1_3genE2ELNS1_11target_archE906ELNS1_3gpuE6ELNS1_3repE0EEENS1_30default_config_static_selectorELNS0_4arch9wavefront6targetE1EEEvT1_,comdat
	.protected	_ZN7rocprim17ROCPRIM_400000_NS6detail17trampoline_kernelINS0_14default_configENS1_35adjacent_difference_config_selectorILb1EdEEZNS1_24adjacent_difference_implIS3_Lb1ELb0EPdS7_N6thrust23THRUST_200600_302600_NS5minusIdEEEE10hipError_tPvRmT2_T3_mT4_P12ihipStream_tbEUlT_E_NS1_11comp_targetILNS1_3genE2ELNS1_11target_archE906ELNS1_3gpuE6ELNS1_3repE0EEENS1_30default_config_static_selectorELNS0_4arch9wavefront6targetE1EEEvT1_ ; -- Begin function _ZN7rocprim17ROCPRIM_400000_NS6detail17trampoline_kernelINS0_14default_configENS1_35adjacent_difference_config_selectorILb1EdEEZNS1_24adjacent_difference_implIS3_Lb1ELb0EPdS7_N6thrust23THRUST_200600_302600_NS5minusIdEEEE10hipError_tPvRmT2_T3_mT4_P12ihipStream_tbEUlT_E_NS1_11comp_targetILNS1_3genE2ELNS1_11target_archE906ELNS1_3gpuE6ELNS1_3repE0EEENS1_30default_config_static_selectorELNS0_4arch9wavefront6targetE1EEEvT1_
	.globl	_ZN7rocprim17ROCPRIM_400000_NS6detail17trampoline_kernelINS0_14default_configENS1_35adjacent_difference_config_selectorILb1EdEEZNS1_24adjacent_difference_implIS3_Lb1ELb0EPdS7_N6thrust23THRUST_200600_302600_NS5minusIdEEEE10hipError_tPvRmT2_T3_mT4_P12ihipStream_tbEUlT_E_NS1_11comp_targetILNS1_3genE2ELNS1_11target_archE906ELNS1_3gpuE6ELNS1_3repE0EEENS1_30default_config_static_selectorELNS0_4arch9wavefront6targetE1EEEvT1_
	.p2align	8
	.type	_ZN7rocprim17ROCPRIM_400000_NS6detail17trampoline_kernelINS0_14default_configENS1_35adjacent_difference_config_selectorILb1EdEEZNS1_24adjacent_difference_implIS3_Lb1ELb0EPdS7_N6thrust23THRUST_200600_302600_NS5minusIdEEEE10hipError_tPvRmT2_T3_mT4_P12ihipStream_tbEUlT_E_NS1_11comp_targetILNS1_3genE2ELNS1_11target_archE906ELNS1_3gpuE6ELNS1_3repE0EEENS1_30default_config_static_selectorELNS0_4arch9wavefront6targetE1EEEvT1_,@function
_ZN7rocprim17ROCPRIM_400000_NS6detail17trampoline_kernelINS0_14default_configENS1_35adjacent_difference_config_selectorILb1EdEEZNS1_24adjacent_difference_implIS3_Lb1ELb0EPdS7_N6thrust23THRUST_200600_302600_NS5minusIdEEEE10hipError_tPvRmT2_T3_mT4_P12ihipStream_tbEUlT_E_NS1_11comp_targetILNS1_3genE2ELNS1_11target_archE906ELNS1_3gpuE6ELNS1_3repE0EEENS1_30default_config_static_selectorELNS0_4arch9wavefront6targetE1EEEvT1_: ; @_ZN7rocprim17ROCPRIM_400000_NS6detail17trampoline_kernelINS0_14default_configENS1_35adjacent_difference_config_selectorILb1EdEEZNS1_24adjacent_difference_implIS3_Lb1ELb0EPdS7_N6thrust23THRUST_200600_302600_NS5minusIdEEEE10hipError_tPvRmT2_T3_mT4_P12ihipStream_tbEUlT_E_NS1_11comp_targetILNS1_3genE2ELNS1_11target_archE906ELNS1_3gpuE6ELNS1_3repE0EEENS1_30default_config_static_selectorELNS0_4arch9wavefront6targetE1EEEvT1_
; %bb.0:
	.section	.rodata,"a",@progbits
	.p2align	6, 0x0
	.amdhsa_kernel _ZN7rocprim17ROCPRIM_400000_NS6detail17trampoline_kernelINS0_14default_configENS1_35adjacent_difference_config_selectorILb1EdEEZNS1_24adjacent_difference_implIS3_Lb1ELb0EPdS7_N6thrust23THRUST_200600_302600_NS5minusIdEEEE10hipError_tPvRmT2_T3_mT4_P12ihipStream_tbEUlT_E_NS1_11comp_targetILNS1_3genE2ELNS1_11target_archE906ELNS1_3gpuE6ELNS1_3repE0EEENS1_30default_config_static_selectorELNS0_4arch9wavefront6targetE1EEEvT1_
		.amdhsa_group_segment_fixed_size 0
		.amdhsa_private_segment_fixed_size 0
		.amdhsa_kernarg_size 56
		.amdhsa_user_sgpr_count 6
		.amdhsa_user_sgpr_private_segment_buffer 1
		.amdhsa_user_sgpr_dispatch_ptr 0
		.amdhsa_user_sgpr_queue_ptr 0
		.amdhsa_user_sgpr_kernarg_segment_ptr 1
		.amdhsa_user_sgpr_dispatch_id 0
		.amdhsa_user_sgpr_flat_scratch_init 0
		.amdhsa_user_sgpr_kernarg_preload_length 0
		.amdhsa_user_sgpr_kernarg_preload_offset 0
		.amdhsa_user_sgpr_private_segment_size 0
		.amdhsa_uses_dynamic_stack 0
		.amdhsa_system_sgpr_private_segment_wavefront_offset 0
		.amdhsa_system_sgpr_workgroup_id_x 1
		.amdhsa_system_sgpr_workgroup_id_y 0
		.amdhsa_system_sgpr_workgroup_id_z 0
		.amdhsa_system_sgpr_workgroup_info 0
		.amdhsa_system_vgpr_workitem_id 0
		.amdhsa_next_free_vgpr 1
		.amdhsa_next_free_sgpr 0
		.amdhsa_accum_offset 4
		.amdhsa_reserve_vcc 0
		.amdhsa_reserve_flat_scratch 0
		.amdhsa_float_round_mode_32 0
		.amdhsa_float_round_mode_16_64 0
		.amdhsa_float_denorm_mode_32 3
		.amdhsa_float_denorm_mode_16_64 3
		.amdhsa_dx10_clamp 1
		.amdhsa_ieee_mode 1
		.amdhsa_fp16_overflow 0
		.amdhsa_tg_split 0
		.amdhsa_exception_fp_ieee_invalid_op 0
		.amdhsa_exception_fp_denorm_src 0
		.amdhsa_exception_fp_ieee_div_zero 0
		.amdhsa_exception_fp_ieee_overflow 0
		.amdhsa_exception_fp_ieee_underflow 0
		.amdhsa_exception_fp_ieee_inexact 0
		.amdhsa_exception_int_div_zero 0
	.end_amdhsa_kernel
	.section	.text._ZN7rocprim17ROCPRIM_400000_NS6detail17trampoline_kernelINS0_14default_configENS1_35adjacent_difference_config_selectorILb1EdEEZNS1_24adjacent_difference_implIS3_Lb1ELb0EPdS7_N6thrust23THRUST_200600_302600_NS5minusIdEEEE10hipError_tPvRmT2_T3_mT4_P12ihipStream_tbEUlT_E_NS1_11comp_targetILNS1_3genE2ELNS1_11target_archE906ELNS1_3gpuE6ELNS1_3repE0EEENS1_30default_config_static_selectorELNS0_4arch9wavefront6targetE1EEEvT1_,"axG",@progbits,_ZN7rocprim17ROCPRIM_400000_NS6detail17trampoline_kernelINS0_14default_configENS1_35adjacent_difference_config_selectorILb1EdEEZNS1_24adjacent_difference_implIS3_Lb1ELb0EPdS7_N6thrust23THRUST_200600_302600_NS5minusIdEEEE10hipError_tPvRmT2_T3_mT4_P12ihipStream_tbEUlT_E_NS1_11comp_targetILNS1_3genE2ELNS1_11target_archE906ELNS1_3gpuE6ELNS1_3repE0EEENS1_30default_config_static_selectorELNS0_4arch9wavefront6targetE1EEEvT1_,comdat
.Lfunc_end438:
	.size	_ZN7rocprim17ROCPRIM_400000_NS6detail17trampoline_kernelINS0_14default_configENS1_35adjacent_difference_config_selectorILb1EdEEZNS1_24adjacent_difference_implIS3_Lb1ELb0EPdS7_N6thrust23THRUST_200600_302600_NS5minusIdEEEE10hipError_tPvRmT2_T3_mT4_P12ihipStream_tbEUlT_E_NS1_11comp_targetILNS1_3genE2ELNS1_11target_archE906ELNS1_3gpuE6ELNS1_3repE0EEENS1_30default_config_static_selectorELNS0_4arch9wavefront6targetE1EEEvT1_, .Lfunc_end438-_ZN7rocprim17ROCPRIM_400000_NS6detail17trampoline_kernelINS0_14default_configENS1_35adjacent_difference_config_selectorILb1EdEEZNS1_24adjacent_difference_implIS3_Lb1ELb0EPdS7_N6thrust23THRUST_200600_302600_NS5minusIdEEEE10hipError_tPvRmT2_T3_mT4_P12ihipStream_tbEUlT_E_NS1_11comp_targetILNS1_3genE2ELNS1_11target_archE906ELNS1_3gpuE6ELNS1_3repE0EEENS1_30default_config_static_selectorELNS0_4arch9wavefront6targetE1EEEvT1_
                                        ; -- End function
	.section	.AMDGPU.csdata,"",@progbits
; Kernel info:
; codeLenInByte = 0
; NumSgprs: 4
; NumVgprs: 0
; NumAgprs: 0
; TotalNumVgprs: 0
; ScratchSize: 0
; MemoryBound: 0
; FloatMode: 240
; IeeeMode: 1
; LDSByteSize: 0 bytes/workgroup (compile time only)
; SGPRBlocks: 0
; VGPRBlocks: 0
; NumSGPRsForWavesPerEU: 4
; NumVGPRsForWavesPerEU: 1
; AccumOffset: 4
; Occupancy: 8
; WaveLimiterHint : 0
; COMPUTE_PGM_RSRC2:SCRATCH_EN: 0
; COMPUTE_PGM_RSRC2:USER_SGPR: 6
; COMPUTE_PGM_RSRC2:TRAP_HANDLER: 0
; COMPUTE_PGM_RSRC2:TGID_X_EN: 1
; COMPUTE_PGM_RSRC2:TGID_Y_EN: 0
; COMPUTE_PGM_RSRC2:TGID_Z_EN: 0
; COMPUTE_PGM_RSRC2:TIDIG_COMP_CNT: 0
; COMPUTE_PGM_RSRC3_GFX90A:ACCUM_OFFSET: 0
; COMPUTE_PGM_RSRC3_GFX90A:TG_SPLIT: 0
	.section	.text._ZN7rocprim17ROCPRIM_400000_NS6detail17trampoline_kernelINS0_14default_configENS1_35adjacent_difference_config_selectorILb1EdEEZNS1_24adjacent_difference_implIS3_Lb1ELb0EPdS7_N6thrust23THRUST_200600_302600_NS5minusIdEEEE10hipError_tPvRmT2_T3_mT4_P12ihipStream_tbEUlT_E_NS1_11comp_targetILNS1_3genE9ELNS1_11target_archE1100ELNS1_3gpuE3ELNS1_3repE0EEENS1_30default_config_static_selectorELNS0_4arch9wavefront6targetE1EEEvT1_,"axG",@progbits,_ZN7rocprim17ROCPRIM_400000_NS6detail17trampoline_kernelINS0_14default_configENS1_35adjacent_difference_config_selectorILb1EdEEZNS1_24adjacent_difference_implIS3_Lb1ELb0EPdS7_N6thrust23THRUST_200600_302600_NS5minusIdEEEE10hipError_tPvRmT2_T3_mT4_P12ihipStream_tbEUlT_E_NS1_11comp_targetILNS1_3genE9ELNS1_11target_archE1100ELNS1_3gpuE3ELNS1_3repE0EEENS1_30default_config_static_selectorELNS0_4arch9wavefront6targetE1EEEvT1_,comdat
	.protected	_ZN7rocprim17ROCPRIM_400000_NS6detail17trampoline_kernelINS0_14default_configENS1_35adjacent_difference_config_selectorILb1EdEEZNS1_24adjacent_difference_implIS3_Lb1ELb0EPdS7_N6thrust23THRUST_200600_302600_NS5minusIdEEEE10hipError_tPvRmT2_T3_mT4_P12ihipStream_tbEUlT_E_NS1_11comp_targetILNS1_3genE9ELNS1_11target_archE1100ELNS1_3gpuE3ELNS1_3repE0EEENS1_30default_config_static_selectorELNS0_4arch9wavefront6targetE1EEEvT1_ ; -- Begin function _ZN7rocprim17ROCPRIM_400000_NS6detail17trampoline_kernelINS0_14default_configENS1_35adjacent_difference_config_selectorILb1EdEEZNS1_24adjacent_difference_implIS3_Lb1ELb0EPdS7_N6thrust23THRUST_200600_302600_NS5minusIdEEEE10hipError_tPvRmT2_T3_mT4_P12ihipStream_tbEUlT_E_NS1_11comp_targetILNS1_3genE9ELNS1_11target_archE1100ELNS1_3gpuE3ELNS1_3repE0EEENS1_30default_config_static_selectorELNS0_4arch9wavefront6targetE1EEEvT1_
	.globl	_ZN7rocprim17ROCPRIM_400000_NS6detail17trampoline_kernelINS0_14default_configENS1_35adjacent_difference_config_selectorILb1EdEEZNS1_24adjacent_difference_implIS3_Lb1ELb0EPdS7_N6thrust23THRUST_200600_302600_NS5minusIdEEEE10hipError_tPvRmT2_T3_mT4_P12ihipStream_tbEUlT_E_NS1_11comp_targetILNS1_3genE9ELNS1_11target_archE1100ELNS1_3gpuE3ELNS1_3repE0EEENS1_30default_config_static_selectorELNS0_4arch9wavefront6targetE1EEEvT1_
	.p2align	8
	.type	_ZN7rocprim17ROCPRIM_400000_NS6detail17trampoline_kernelINS0_14default_configENS1_35adjacent_difference_config_selectorILb1EdEEZNS1_24adjacent_difference_implIS3_Lb1ELb0EPdS7_N6thrust23THRUST_200600_302600_NS5minusIdEEEE10hipError_tPvRmT2_T3_mT4_P12ihipStream_tbEUlT_E_NS1_11comp_targetILNS1_3genE9ELNS1_11target_archE1100ELNS1_3gpuE3ELNS1_3repE0EEENS1_30default_config_static_selectorELNS0_4arch9wavefront6targetE1EEEvT1_,@function
_ZN7rocprim17ROCPRIM_400000_NS6detail17trampoline_kernelINS0_14default_configENS1_35adjacent_difference_config_selectorILb1EdEEZNS1_24adjacent_difference_implIS3_Lb1ELb0EPdS7_N6thrust23THRUST_200600_302600_NS5minusIdEEEE10hipError_tPvRmT2_T3_mT4_P12ihipStream_tbEUlT_E_NS1_11comp_targetILNS1_3genE9ELNS1_11target_archE1100ELNS1_3gpuE3ELNS1_3repE0EEENS1_30default_config_static_selectorELNS0_4arch9wavefront6targetE1EEEvT1_: ; @_ZN7rocprim17ROCPRIM_400000_NS6detail17trampoline_kernelINS0_14default_configENS1_35adjacent_difference_config_selectorILb1EdEEZNS1_24adjacent_difference_implIS3_Lb1ELb0EPdS7_N6thrust23THRUST_200600_302600_NS5minusIdEEEE10hipError_tPvRmT2_T3_mT4_P12ihipStream_tbEUlT_E_NS1_11comp_targetILNS1_3genE9ELNS1_11target_archE1100ELNS1_3gpuE3ELNS1_3repE0EEENS1_30default_config_static_selectorELNS0_4arch9wavefront6targetE1EEEvT1_
; %bb.0:
	.section	.rodata,"a",@progbits
	.p2align	6, 0x0
	.amdhsa_kernel _ZN7rocprim17ROCPRIM_400000_NS6detail17trampoline_kernelINS0_14default_configENS1_35adjacent_difference_config_selectorILb1EdEEZNS1_24adjacent_difference_implIS3_Lb1ELb0EPdS7_N6thrust23THRUST_200600_302600_NS5minusIdEEEE10hipError_tPvRmT2_T3_mT4_P12ihipStream_tbEUlT_E_NS1_11comp_targetILNS1_3genE9ELNS1_11target_archE1100ELNS1_3gpuE3ELNS1_3repE0EEENS1_30default_config_static_selectorELNS0_4arch9wavefront6targetE1EEEvT1_
		.amdhsa_group_segment_fixed_size 0
		.amdhsa_private_segment_fixed_size 0
		.amdhsa_kernarg_size 56
		.amdhsa_user_sgpr_count 6
		.amdhsa_user_sgpr_private_segment_buffer 1
		.amdhsa_user_sgpr_dispatch_ptr 0
		.amdhsa_user_sgpr_queue_ptr 0
		.amdhsa_user_sgpr_kernarg_segment_ptr 1
		.amdhsa_user_sgpr_dispatch_id 0
		.amdhsa_user_sgpr_flat_scratch_init 0
		.amdhsa_user_sgpr_kernarg_preload_length 0
		.amdhsa_user_sgpr_kernarg_preload_offset 0
		.amdhsa_user_sgpr_private_segment_size 0
		.amdhsa_uses_dynamic_stack 0
		.amdhsa_system_sgpr_private_segment_wavefront_offset 0
		.amdhsa_system_sgpr_workgroup_id_x 1
		.amdhsa_system_sgpr_workgroup_id_y 0
		.amdhsa_system_sgpr_workgroup_id_z 0
		.amdhsa_system_sgpr_workgroup_info 0
		.amdhsa_system_vgpr_workitem_id 0
		.amdhsa_next_free_vgpr 1
		.amdhsa_next_free_sgpr 0
		.amdhsa_accum_offset 4
		.amdhsa_reserve_vcc 0
		.amdhsa_reserve_flat_scratch 0
		.amdhsa_float_round_mode_32 0
		.amdhsa_float_round_mode_16_64 0
		.amdhsa_float_denorm_mode_32 3
		.amdhsa_float_denorm_mode_16_64 3
		.amdhsa_dx10_clamp 1
		.amdhsa_ieee_mode 1
		.amdhsa_fp16_overflow 0
		.amdhsa_tg_split 0
		.amdhsa_exception_fp_ieee_invalid_op 0
		.amdhsa_exception_fp_denorm_src 0
		.amdhsa_exception_fp_ieee_div_zero 0
		.amdhsa_exception_fp_ieee_overflow 0
		.amdhsa_exception_fp_ieee_underflow 0
		.amdhsa_exception_fp_ieee_inexact 0
		.amdhsa_exception_int_div_zero 0
	.end_amdhsa_kernel
	.section	.text._ZN7rocprim17ROCPRIM_400000_NS6detail17trampoline_kernelINS0_14default_configENS1_35adjacent_difference_config_selectorILb1EdEEZNS1_24adjacent_difference_implIS3_Lb1ELb0EPdS7_N6thrust23THRUST_200600_302600_NS5minusIdEEEE10hipError_tPvRmT2_T3_mT4_P12ihipStream_tbEUlT_E_NS1_11comp_targetILNS1_3genE9ELNS1_11target_archE1100ELNS1_3gpuE3ELNS1_3repE0EEENS1_30default_config_static_selectorELNS0_4arch9wavefront6targetE1EEEvT1_,"axG",@progbits,_ZN7rocprim17ROCPRIM_400000_NS6detail17trampoline_kernelINS0_14default_configENS1_35adjacent_difference_config_selectorILb1EdEEZNS1_24adjacent_difference_implIS3_Lb1ELb0EPdS7_N6thrust23THRUST_200600_302600_NS5minusIdEEEE10hipError_tPvRmT2_T3_mT4_P12ihipStream_tbEUlT_E_NS1_11comp_targetILNS1_3genE9ELNS1_11target_archE1100ELNS1_3gpuE3ELNS1_3repE0EEENS1_30default_config_static_selectorELNS0_4arch9wavefront6targetE1EEEvT1_,comdat
.Lfunc_end439:
	.size	_ZN7rocprim17ROCPRIM_400000_NS6detail17trampoline_kernelINS0_14default_configENS1_35adjacent_difference_config_selectorILb1EdEEZNS1_24adjacent_difference_implIS3_Lb1ELb0EPdS7_N6thrust23THRUST_200600_302600_NS5minusIdEEEE10hipError_tPvRmT2_T3_mT4_P12ihipStream_tbEUlT_E_NS1_11comp_targetILNS1_3genE9ELNS1_11target_archE1100ELNS1_3gpuE3ELNS1_3repE0EEENS1_30default_config_static_selectorELNS0_4arch9wavefront6targetE1EEEvT1_, .Lfunc_end439-_ZN7rocprim17ROCPRIM_400000_NS6detail17trampoline_kernelINS0_14default_configENS1_35adjacent_difference_config_selectorILb1EdEEZNS1_24adjacent_difference_implIS3_Lb1ELb0EPdS7_N6thrust23THRUST_200600_302600_NS5minusIdEEEE10hipError_tPvRmT2_T3_mT4_P12ihipStream_tbEUlT_E_NS1_11comp_targetILNS1_3genE9ELNS1_11target_archE1100ELNS1_3gpuE3ELNS1_3repE0EEENS1_30default_config_static_selectorELNS0_4arch9wavefront6targetE1EEEvT1_
                                        ; -- End function
	.section	.AMDGPU.csdata,"",@progbits
; Kernel info:
; codeLenInByte = 0
; NumSgprs: 4
; NumVgprs: 0
; NumAgprs: 0
; TotalNumVgprs: 0
; ScratchSize: 0
; MemoryBound: 0
; FloatMode: 240
; IeeeMode: 1
; LDSByteSize: 0 bytes/workgroup (compile time only)
; SGPRBlocks: 0
; VGPRBlocks: 0
; NumSGPRsForWavesPerEU: 4
; NumVGPRsForWavesPerEU: 1
; AccumOffset: 4
; Occupancy: 8
; WaveLimiterHint : 0
; COMPUTE_PGM_RSRC2:SCRATCH_EN: 0
; COMPUTE_PGM_RSRC2:USER_SGPR: 6
; COMPUTE_PGM_RSRC2:TRAP_HANDLER: 0
; COMPUTE_PGM_RSRC2:TGID_X_EN: 1
; COMPUTE_PGM_RSRC2:TGID_Y_EN: 0
; COMPUTE_PGM_RSRC2:TGID_Z_EN: 0
; COMPUTE_PGM_RSRC2:TIDIG_COMP_CNT: 0
; COMPUTE_PGM_RSRC3_GFX90A:ACCUM_OFFSET: 0
; COMPUTE_PGM_RSRC3_GFX90A:TG_SPLIT: 0
	.section	.text._ZN7rocprim17ROCPRIM_400000_NS6detail17trampoline_kernelINS0_14default_configENS1_35adjacent_difference_config_selectorILb1EdEEZNS1_24adjacent_difference_implIS3_Lb1ELb0EPdS7_N6thrust23THRUST_200600_302600_NS5minusIdEEEE10hipError_tPvRmT2_T3_mT4_P12ihipStream_tbEUlT_E_NS1_11comp_targetILNS1_3genE8ELNS1_11target_archE1030ELNS1_3gpuE2ELNS1_3repE0EEENS1_30default_config_static_selectorELNS0_4arch9wavefront6targetE1EEEvT1_,"axG",@progbits,_ZN7rocprim17ROCPRIM_400000_NS6detail17trampoline_kernelINS0_14default_configENS1_35adjacent_difference_config_selectorILb1EdEEZNS1_24adjacent_difference_implIS3_Lb1ELb0EPdS7_N6thrust23THRUST_200600_302600_NS5minusIdEEEE10hipError_tPvRmT2_T3_mT4_P12ihipStream_tbEUlT_E_NS1_11comp_targetILNS1_3genE8ELNS1_11target_archE1030ELNS1_3gpuE2ELNS1_3repE0EEENS1_30default_config_static_selectorELNS0_4arch9wavefront6targetE1EEEvT1_,comdat
	.protected	_ZN7rocprim17ROCPRIM_400000_NS6detail17trampoline_kernelINS0_14default_configENS1_35adjacent_difference_config_selectorILb1EdEEZNS1_24adjacent_difference_implIS3_Lb1ELb0EPdS7_N6thrust23THRUST_200600_302600_NS5minusIdEEEE10hipError_tPvRmT2_T3_mT4_P12ihipStream_tbEUlT_E_NS1_11comp_targetILNS1_3genE8ELNS1_11target_archE1030ELNS1_3gpuE2ELNS1_3repE0EEENS1_30default_config_static_selectorELNS0_4arch9wavefront6targetE1EEEvT1_ ; -- Begin function _ZN7rocprim17ROCPRIM_400000_NS6detail17trampoline_kernelINS0_14default_configENS1_35adjacent_difference_config_selectorILb1EdEEZNS1_24adjacent_difference_implIS3_Lb1ELb0EPdS7_N6thrust23THRUST_200600_302600_NS5minusIdEEEE10hipError_tPvRmT2_T3_mT4_P12ihipStream_tbEUlT_E_NS1_11comp_targetILNS1_3genE8ELNS1_11target_archE1030ELNS1_3gpuE2ELNS1_3repE0EEENS1_30default_config_static_selectorELNS0_4arch9wavefront6targetE1EEEvT1_
	.globl	_ZN7rocprim17ROCPRIM_400000_NS6detail17trampoline_kernelINS0_14default_configENS1_35adjacent_difference_config_selectorILb1EdEEZNS1_24adjacent_difference_implIS3_Lb1ELb0EPdS7_N6thrust23THRUST_200600_302600_NS5minusIdEEEE10hipError_tPvRmT2_T3_mT4_P12ihipStream_tbEUlT_E_NS1_11comp_targetILNS1_3genE8ELNS1_11target_archE1030ELNS1_3gpuE2ELNS1_3repE0EEENS1_30default_config_static_selectorELNS0_4arch9wavefront6targetE1EEEvT1_
	.p2align	8
	.type	_ZN7rocprim17ROCPRIM_400000_NS6detail17trampoline_kernelINS0_14default_configENS1_35adjacent_difference_config_selectorILb1EdEEZNS1_24adjacent_difference_implIS3_Lb1ELb0EPdS7_N6thrust23THRUST_200600_302600_NS5minusIdEEEE10hipError_tPvRmT2_T3_mT4_P12ihipStream_tbEUlT_E_NS1_11comp_targetILNS1_3genE8ELNS1_11target_archE1030ELNS1_3gpuE2ELNS1_3repE0EEENS1_30default_config_static_selectorELNS0_4arch9wavefront6targetE1EEEvT1_,@function
_ZN7rocprim17ROCPRIM_400000_NS6detail17trampoline_kernelINS0_14default_configENS1_35adjacent_difference_config_selectorILb1EdEEZNS1_24adjacent_difference_implIS3_Lb1ELb0EPdS7_N6thrust23THRUST_200600_302600_NS5minusIdEEEE10hipError_tPvRmT2_T3_mT4_P12ihipStream_tbEUlT_E_NS1_11comp_targetILNS1_3genE8ELNS1_11target_archE1030ELNS1_3gpuE2ELNS1_3repE0EEENS1_30default_config_static_selectorELNS0_4arch9wavefront6targetE1EEEvT1_: ; @_ZN7rocprim17ROCPRIM_400000_NS6detail17trampoline_kernelINS0_14default_configENS1_35adjacent_difference_config_selectorILb1EdEEZNS1_24adjacent_difference_implIS3_Lb1ELb0EPdS7_N6thrust23THRUST_200600_302600_NS5minusIdEEEE10hipError_tPvRmT2_T3_mT4_P12ihipStream_tbEUlT_E_NS1_11comp_targetILNS1_3genE8ELNS1_11target_archE1030ELNS1_3gpuE2ELNS1_3repE0EEENS1_30default_config_static_selectorELNS0_4arch9wavefront6targetE1EEEvT1_
; %bb.0:
	.section	.rodata,"a",@progbits
	.p2align	6, 0x0
	.amdhsa_kernel _ZN7rocprim17ROCPRIM_400000_NS6detail17trampoline_kernelINS0_14default_configENS1_35adjacent_difference_config_selectorILb1EdEEZNS1_24adjacent_difference_implIS3_Lb1ELb0EPdS7_N6thrust23THRUST_200600_302600_NS5minusIdEEEE10hipError_tPvRmT2_T3_mT4_P12ihipStream_tbEUlT_E_NS1_11comp_targetILNS1_3genE8ELNS1_11target_archE1030ELNS1_3gpuE2ELNS1_3repE0EEENS1_30default_config_static_selectorELNS0_4arch9wavefront6targetE1EEEvT1_
		.amdhsa_group_segment_fixed_size 0
		.amdhsa_private_segment_fixed_size 0
		.amdhsa_kernarg_size 56
		.amdhsa_user_sgpr_count 6
		.amdhsa_user_sgpr_private_segment_buffer 1
		.amdhsa_user_sgpr_dispatch_ptr 0
		.amdhsa_user_sgpr_queue_ptr 0
		.amdhsa_user_sgpr_kernarg_segment_ptr 1
		.amdhsa_user_sgpr_dispatch_id 0
		.amdhsa_user_sgpr_flat_scratch_init 0
		.amdhsa_user_sgpr_kernarg_preload_length 0
		.amdhsa_user_sgpr_kernarg_preload_offset 0
		.amdhsa_user_sgpr_private_segment_size 0
		.amdhsa_uses_dynamic_stack 0
		.amdhsa_system_sgpr_private_segment_wavefront_offset 0
		.amdhsa_system_sgpr_workgroup_id_x 1
		.amdhsa_system_sgpr_workgroup_id_y 0
		.amdhsa_system_sgpr_workgroup_id_z 0
		.amdhsa_system_sgpr_workgroup_info 0
		.amdhsa_system_vgpr_workitem_id 0
		.amdhsa_next_free_vgpr 1
		.amdhsa_next_free_sgpr 0
		.amdhsa_accum_offset 4
		.amdhsa_reserve_vcc 0
		.amdhsa_reserve_flat_scratch 0
		.amdhsa_float_round_mode_32 0
		.amdhsa_float_round_mode_16_64 0
		.amdhsa_float_denorm_mode_32 3
		.amdhsa_float_denorm_mode_16_64 3
		.amdhsa_dx10_clamp 1
		.amdhsa_ieee_mode 1
		.amdhsa_fp16_overflow 0
		.amdhsa_tg_split 0
		.amdhsa_exception_fp_ieee_invalid_op 0
		.amdhsa_exception_fp_denorm_src 0
		.amdhsa_exception_fp_ieee_div_zero 0
		.amdhsa_exception_fp_ieee_overflow 0
		.amdhsa_exception_fp_ieee_underflow 0
		.amdhsa_exception_fp_ieee_inexact 0
		.amdhsa_exception_int_div_zero 0
	.end_amdhsa_kernel
	.section	.text._ZN7rocprim17ROCPRIM_400000_NS6detail17trampoline_kernelINS0_14default_configENS1_35adjacent_difference_config_selectorILb1EdEEZNS1_24adjacent_difference_implIS3_Lb1ELb0EPdS7_N6thrust23THRUST_200600_302600_NS5minusIdEEEE10hipError_tPvRmT2_T3_mT4_P12ihipStream_tbEUlT_E_NS1_11comp_targetILNS1_3genE8ELNS1_11target_archE1030ELNS1_3gpuE2ELNS1_3repE0EEENS1_30default_config_static_selectorELNS0_4arch9wavefront6targetE1EEEvT1_,"axG",@progbits,_ZN7rocprim17ROCPRIM_400000_NS6detail17trampoline_kernelINS0_14default_configENS1_35adjacent_difference_config_selectorILb1EdEEZNS1_24adjacent_difference_implIS3_Lb1ELb0EPdS7_N6thrust23THRUST_200600_302600_NS5minusIdEEEE10hipError_tPvRmT2_T3_mT4_P12ihipStream_tbEUlT_E_NS1_11comp_targetILNS1_3genE8ELNS1_11target_archE1030ELNS1_3gpuE2ELNS1_3repE0EEENS1_30default_config_static_selectorELNS0_4arch9wavefront6targetE1EEEvT1_,comdat
.Lfunc_end440:
	.size	_ZN7rocprim17ROCPRIM_400000_NS6detail17trampoline_kernelINS0_14default_configENS1_35adjacent_difference_config_selectorILb1EdEEZNS1_24adjacent_difference_implIS3_Lb1ELb0EPdS7_N6thrust23THRUST_200600_302600_NS5minusIdEEEE10hipError_tPvRmT2_T3_mT4_P12ihipStream_tbEUlT_E_NS1_11comp_targetILNS1_3genE8ELNS1_11target_archE1030ELNS1_3gpuE2ELNS1_3repE0EEENS1_30default_config_static_selectorELNS0_4arch9wavefront6targetE1EEEvT1_, .Lfunc_end440-_ZN7rocprim17ROCPRIM_400000_NS6detail17trampoline_kernelINS0_14default_configENS1_35adjacent_difference_config_selectorILb1EdEEZNS1_24adjacent_difference_implIS3_Lb1ELb0EPdS7_N6thrust23THRUST_200600_302600_NS5minusIdEEEE10hipError_tPvRmT2_T3_mT4_P12ihipStream_tbEUlT_E_NS1_11comp_targetILNS1_3genE8ELNS1_11target_archE1030ELNS1_3gpuE2ELNS1_3repE0EEENS1_30default_config_static_selectorELNS0_4arch9wavefront6targetE1EEEvT1_
                                        ; -- End function
	.section	.AMDGPU.csdata,"",@progbits
; Kernel info:
; codeLenInByte = 0
; NumSgprs: 4
; NumVgprs: 0
; NumAgprs: 0
; TotalNumVgprs: 0
; ScratchSize: 0
; MemoryBound: 0
; FloatMode: 240
; IeeeMode: 1
; LDSByteSize: 0 bytes/workgroup (compile time only)
; SGPRBlocks: 0
; VGPRBlocks: 0
; NumSGPRsForWavesPerEU: 4
; NumVGPRsForWavesPerEU: 1
; AccumOffset: 4
; Occupancy: 8
; WaveLimiterHint : 0
; COMPUTE_PGM_RSRC2:SCRATCH_EN: 0
; COMPUTE_PGM_RSRC2:USER_SGPR: 6
; COMPUTE_PGM_RSRC2:TRAP_HANDLER: 0
; COMPUTE_PGM_RSRC2:TGID_X_EN: 1
; COMPUTE_PGM_RSRC2:TGID_Y_EN: 0
; COMPUTE_PGM_RSRC2:TGID_Z_EN: 0
; COMPUTE_PGM_RSRC2:TIDIG_COMP_CNT: 0
; COMPUTE_PGM_RSRC3_GFX90A:ACCUM_OFFSET: 0
; COMPUTE_PGM_RSRC3_GFX90A:TG_SPLIT: 0
	.section	.text._ZN7rocprim17ROCPRIM_400000_NS6detail17trampoline_kernelINS0_14default_configENS1_35adjacent_difference_config_selectorILb0EdEEZNS1_24adjacent_difference_implIS3_Lb0ELb0EPdS7_N6thrust23THRUST_200600_302600_NS4plusIdEEEE10hipError_tPvRmT2_T3_mT4_P12ihipStream_tbEUlT_E_NS1_11comp_targetILNS1_3genE0ELNS1_11target_archE4294967295ELNS1_3gpuE0ELNS1_3repE0EEENS1_30default_config_static_selectorELNS0_4arch9wavefront6targetE1EEEvT1_,"axG",@progbits,_ZN7rocprim17ROCPRIM_400000_NS6detail17trampoline_kernelINS0_14default_configENS1_35adjacent_difference_config_selectorILb0EdEEZNS1_24adjacent_difference_implIS3_Lb0ELb0EPdS7_N6thrust23THRUST_200600_302600_NS4plusIdEEEE10hipError_tPvRmT2_T3_mT4_P12ihipStream_tbEUlT_E_NS1_11comp_targetILNS1_3genE0ELNS1_11target_archE4294967295ELNS1_3gpuE0ELNS1_3repE0EEENS1_30default_config_static_selectorELNS0_4arch9wavefront6targetE1EEEvT1_,comdat
	.protected	_ZN7rocprim17ROCPRIM_400000_NS6detail17trampoline_kernelINS0_14default_configENS1_35adjacent_difference_config_selectorILb0EdEEZNS1_24adjacent_difference_implIS3_Lb0ELb0EPdS7_N6thrust23THRUST_200600_302600_NS4plusIdEEEE10hipError_tPvRmT2_T3_mT4_P12ihipStream_tbEUlT_E_NS1_11comp_targetILNS1_3genE0ELNS1_11target_archE4294967295ELNS1_3gpuE0ELNS1_3repE0EEENS1_30default_config_static_selectorELNS0_4arch9wavefront6targetE1EEEvT1_ ; -- Begin function _ZN7rocprim17ROCPRIM_400000_NS6detail17trampoline_kernelINS0_14default_configENS1_35adjacent_difference_config_selectorILb0EdEEZNS1_24adjacent_difference_implIS3_Lb0ELb0EPdS7_N6thrust23THRUST_200600_302600_NS4plusIdEEEE10hipError_tPvRmT2_T3_mT4_P12ihipStream_tbEUlT_E_NS1_11comp_targetILNS1_3genE0ELNS1_11target_archE4294967295ELNS1_3gpuE0ELNS1_3repE0EEENS1_30default_config_static_selectorELNS0_4arch9wavefront6targetE1EEEvT1_
	.globl	_ZN7rocprim17ROCPRIM_400000_NS6detail17trampoline_kernelINS0_14default_configENS1_35adjacent_difference_config_selectorILb0EdEEZNS1_24adjacent_difference_implIS3_Lb0ELb0EPdS7_N6thrust23THRUST_200600_302600_NS4plusIdEEEE10hipError_tPvRmT2_T3_mT4_P12ihipStream_tbEUlT_E_NS1_11comp_targetILNS1_3genE0ELNS1_11target_archE4294967295ELNS1_3gpuE0ELNS1_3repE0EEENS1_30default_config_static_selectorELNS0_4arch9wavefront6targetE1EEEvT1_
	.p2align	8
	.type	_ZN7rocprim17ROCPRIM_400000_NS6detail17trampoline_kernelINS0_14default_configENS1_35adjacent_difference_config_selectorILb0EdEEZNS1_24adjacent_difference_implIS3_Lb0ELb0EPdS7_N6thrust23THRUST_200600_302600_NS4plusIdEEEE10hipError_tPvRmT2_T3_mT4_P12ihipStream_tbEUlT_E_NS1_11comp_targetILNS1_3genE0ELNS1_11target_archE4294967295ELNS1_3gpuE0ELNS1_3repE0EEENS1_30default_config_static_selectorELNS0_4arch9wavefront6targetE1EEEvT1_,@function
_ZN7rocprim17ROCPRIM_400000_NS6detail17trampoline_kernelINS0_14default_configENS1_35adjacent_difference_config_selectorILb0EdEEZNS1_24adjacent_difference_implIS3_Lb0ELb0EPdS7_N6thrust23THRUST_200600_302600_NS4plusIdEEEE10hipError_tPvRmT2_T3_mT4_P12ihipStream_tbEUlT_E_NS1_11comp_targetILNS1_3genE0ELNS1_11target_archE4294967295ELNS1_3gpuE0ELNS1_3repE0EEENS1_30default_config_static_selectorELNS0_4arch9wavefront6targetE1EEEvT1_: ; @_ZN7rocprim17ROCPRIM_400000_NS6detail17trampoline_kernelINS0_14default_configENS1_35adjacent_difference_config_selectorILb0EdEEZNS1_24adjacent_difference_implIS3_Lb0ELb0EPdS7_N6thrust23THRUST_200600_302600_NS4plusIdEEEE10hipError_tPvRmT2_T3_mT4_P12ihipStream_tbEUlT_E_NS1_11comp_targetILNS1_3genE0ELNS1_11target_archE4294967295ELNS1_3gpuE0ELNS1_3repE0EEENS1_30default_config_static_selectorELNS0_4arch9wavefront6targetE1EEEvT1_
; %bb.0:
	.section	.rodata,"a",@progbits
	.p2align	6, 0x0
	.amdhsa_kernel _ZN7rocprim17ROCPRIM_400000_NS6detail17trampoline_kernelINS0_14default_configENS1_35adjacent_difference_config_selectorILb0EdEEZNS1_24adjacent_difference_implIS3_Lb0ELb0EPdS7_N6thrust23THRUST_200600_302600_NS4plusIdEEEE10hipError_tPvRmT2_T3_mT4_P12ihipStream_tbEUlT_E_NS1_11comp_targetILNS1_3genE0ELNS1_11target_archE4294967295ELNS1_3gpuE0ELNS1_3repE0EEENS1_30default_config_static_selectorELNS0_4arch9wavefront6targetE1EEEvT1_
		.amdhsa_group_segment_fixed_size 0
		.amdhsa_private_segment_fixed_size 0
		.amdhsa_kernarg_size 56
		.amdhsa_user_sgpr_count 6
		.amdhsa_user_sgpr_private_segment_buffer 1
		.amdhsa_user_sgpr_dispatch_ptr 0
		.amdhsa_user_sgpr_queue_ptr 0
		.amdhsa_user_sgpr_kernarg_segment_ptr 1
		.amdhsa_user_sgpr_dispatch_id 0
		.amdhsa_user_sgpr_flat_scratch_init 0
		.amdhsa_user_sgpr_kernarg_preload_length 0
		.amdhsa_user_sgpr_kernarg_preload_offset 0
		.amdhsa_user_sgpr_private_segment_size 0
		.amdhsa_uses_dynamic_stack 0
		.amdhsa_system_sgpr_private_segment_wavefront_offset 0
		.amdhsa_system_sgpr_workgroup_id_x 1
		.amdhsa_system_sgpr_workgroup_id_y 0
		.amdhsa_system_sgpr_workgroup_id_z 0
		.amdhsa_system_sgpr_workgroup_info 0
		.amdhsa_system_vgpr_workitem_id 0
		.amdhsa_next_free_vgpr 1
		.amdhsa_next_free_sgpr 0
		.amdhsa_accum_offset 4
		.amdhsa_reserve_vcc 0
		.amdhsa_reserve_flat_scratch 0
		.amdhsa_float_round_mode_32 0
		.amdhsa_float_round_mode_16_64 0
		.amdhsa_float_denorm_mode_32 3
		.amdhsa_float_denorm_mode_16_64 3
		.amdhsa_dx10_clamp 1
		.amdhsa_ieee_mode 1
		.amdhsa_fp16_overflow 0
		.amdhsa_tg_split 0
		.amdhsa_exception_fp_ieee_invalid_op 0
		.amdhsa_exception_fp_denorm_src 0
		.amdhsa_exception_fp_ieee_div_zero 0
		.amdhsa_exception_fp_ieee_overflow 0
		.amdhsa_exception_fp_ieee_underflow 0
		.amdhsa_exception_fp_ieee_inexact 0
		.amdhsa_exception_int_div_zero 0
	.end_amdhsa_kernel
	.section	.text._ZN7rocprim17ROCPRIM_400000_NS6detail17trampoline_kernelINS0_14default_configENS1_35adjacent_difference_config_selectorILb0EdEEZNS1_24adjacent_difference_implIS3_Lb0ELb0EPdS7_N6thrust23THRUST_200600_302600_NS4plusIdEEEE10hipError_tPvRmT2_T3_mT4_P12ihipStream_tbEUlT_E_NS1_11comp_targetILNS1_3genE0ELNS1_11target_archE4294967295ELNS1_3gpuE0ELNS1_3repE0EEENS1_30default_config_static_selectorELNS0_4arch9wavefront6targetE1EEEvT1_,"axG",@progbits,_ZN7rocprim17ROCPRIM_400000_NS6detail17trampoline_kernelINS0_14default_configENS1_35adjacent_difference_config_selectorILb0EdEEZNS1_24adjacent_difference_implIS3_Lb0ELb0EPdS7_N6thrust23THRUST_200600_302600_NS4plusIdEEEE10hipError_tPvRmT2_T3_mT4_P12ihipStream_tbEUlT_E_NS1_11comp_targetILNS1_3genE0ELNS1_11target_archE4294967295ELNS1_3gpuE0ELNS1_3repE0EEENS1_30default_config_static_selectorELNS0_4arch9wavefront6targetE1EEEvT1_,comdat
.Lfunc_end441:
	.size	_ZN7rocprim17ROCPRIM_400000_NS6detail17trampoline_kernelINS0_14default_configENS1_35adjacent_difference_config_selectorILb0EdEEZNS1_24adjacent_difference_implIS3_Lb0ELb0EPdS7_N6thrust23THRUST_200600_302600_NS4plusIdEEEE10hipError_tPvRmT2_T3_mT4_P12ihipStream_tbEUlT_E_NS1_11comp_targetILNS1_3genE0ELNS1_11target_archE4294967295ELNS1_3gpuE0ELNS1_3repE0EEENS1_30default_config_static_selectorELNS0_4arch9wavefront6targetE1EEEvT1_, .Lfunc_end441-_ZN7rocprim17ROCPRIM_400000_NS6detail17trampoline_kernelINS0_14default_configENS1_35adjacent_difference_config_selectorILb0EdEEZNS1_24adjacent_difference_implIS3_Lb0ELb0EPdS7_N6thrust23THRUST_200600_302600_NS4plusIdEEEE10hipError_tPvRmT2_T3_mT4_P12ihipStream_tbEUlT_E_NS1_11comp_targetILNS1_3genE0ELNS1_11target_archE4294967295ELNS1_3gpuE0ELNS1_3repE0EEENS1_30default_config_static_selectorELNS0_4arch9wavefront6targetE1EEEvT1_
                                        ; -- End function
	.section	.AMDGPU.csdata,"",@progbits
; Kernel info:
; codeLenInByte = 0
; NumSgprs: 4
; NumVgprs: 0
; NumAgprs: 0
; TotalNumVgprs: 0
; ScratchSize: 0
; MemoryBound: 0
; FloatMode: 240
; IeeeMode: 1
; LDSByteSize: 0 bytes/workgroup (compile time only)
; SGPRBlocks: 0
; VGPRBlocks: 0
; NumSGPRsForWavesPerEU: 4
; NumVGPRsForWavesPerEU: 1
; AccumOffset: 4
; Occupancy: 8
; WaveLimiterHint : 0
; COMPUTE_PGM_RSRC2:SCRATCH_EN: 0
; COMPUTE_PGM_RSRC2:USER_SGPR: 6
; COMPUTE_PGM_RSRC2:TRAP_HANDLER: 0
; COMPUTE_PGM_RSRC2:TGID_X_EN: 1
; COMPUTE_PGM_RSRC2:TGID_Y_EN: 0
; COMPUTE_PGM_RSRC2:TGID_Z_EN: 0
; COMPUTE_PGM_RSRC2:TIDIG_COMP_CNT: 0
; COMPUTE_PGM_RSRC3_GFX90A:ACCUM_OFFSET: 0
; COMPUTE_PGM_RSRC3_GFX90A:TG_SPLIT: 0
	.section	.text._ZN7rocprim17ROCPRIM_400000_NS6detail17trampoline_kernelINS0_14default_configENS1_35adjacent_difference_config_selectorILb0EdEEZNS1_24adjacent_difference_implIS3_Lb0ELb0EPdS7_N6thrust23THRUST_200600_302600_NS4plusIdEEEE10hipError_tPvRmT2_T3_mT4_P12ihipStream_tbEUlT_E_NS1_11comp_targetILNS1_3genE10ELNS1_11target_archE1201ELNS1_3gpuE5ELNS1_3repE0EEENS1_30default_config_static_selectorELNS0_4arch9wavefront6targetE1EEEvT1_,"axG",@progbits,_ZN7rocprim17ROCPRIM_400000_NS6detail17trampoline_kernelINS0_14default_configENS1_35adjacent_difference_config_selectorILb0EdEEZNS1_24adjacent_difference_implIS3_Lb0ELb0EPdS7_N6thrust23THRUST_200600_302600_NS4plusIdEEEE10hipError_tPvRmT2_T3_mT4_P12ihipStream_tbEUlT_E_NS1_11comp_targetILNS1_3genE10ELNS1_11target_archE1201ELNS1_3gpuE5ELNS1_3repE0EEENS1_30default_config_static_selectorELNS0_4arch9wavefront6targetE1EEEvT1_,comdat
	.protected	_ZN7rocprim17ROCPRIM_400000_NS6detail17trampoline_kernelINS0_14default_configENS1_35adjacent_difference_config_selectorILb0EdEEZNS1_24adjacent_difference_implIS3_Lb0ELb0EPdS7_N6thrust23THRUST_200600_302600_NS4plusIdEEEE10hipError_tPvRmT2_T3_mT4_P12ihipStream_tbEUlT_E_NS1_11comp_targetILNS1_3genE10ELNS1_11target_archE1201ELNS1_3gpuE5ELNS1_3repE0EEENS1_30default_config_static_selectorELNS0_4arch9wavefront6targetE1EEEvT1_ ; -- Begin function _ZN7rocprim17ROCPRIM_400000_NS6detail17trampoline_kernelINS0_14default_configENS1_35adjacent_difference_config_selectorILb0EdEEZNS1_24adjacent_difference_implIS3_Lb0ELb0EPdS7_N6thrust23THRUST_200600_302600_NS4plusIdEEEE10hipError_tPvRmT2_T3_mT4_P12ihipStream_tbEUlT_E_NS1_11comp_targetILNS1_3genE10ELNS1_11target_archE1201ELNS1_3gpuE5ELNS1_3repE0EEENS1_30default_config_static_selectorELNS0_4arch9wavefront6targetE1EEEvT1_
	.globl	_ZN7rocprim17ROCPRIM_400000_NS6detail17trampoline_kernelINS0_14default_configENS1_35adjacent_difference_config_selectorILb0EdEEZNS1_24adjacent_difference_implIS3_Lb0ELb0EPdS7_N6thrust23THRUST_200600_302600_NS4plusIdEEEE10hipError_tPvRmT2_T3_mT4_P12ihipStream_tbEUlT_E_NS1_11comp_targetILNS1_3genE10ELNS1_11target_archE1201ELNS1_3gpuE5ELNS1_3repE0EEENS1_30default_config_static_selectorELNS0_4arch9wavefront6targetE1EEEvT1_
	.p2align	8
	.type	_ZN7rocprim17ROCPRIM_400000_NS6detail17trampoline_kernelINS0_14default_configENS1_35adjacent_difference_config_selectorILb0EdEEZNS1_24adjacent_difference_implIS3_Lb0ELb0EPdS7_N6thrust23THRUST_200600_302600_NS4plusIdEEEE10hipError_tPvRmT2_T3_mT4_P12ihipStream_tbEUlT_E_NS1_11comp_targetILNS1_3genE10ELNS1_11target_archE1201ELNS1_3gpuE5ELNS1_3repE0EEENS1_30default_config_static_selectorELNS0_4arch9wavefront6targetE1EEEvT1_,@function
_ZN7rocprim17ROCPRIM_400000_NS6detail17trampoline_kernelINS0_14default_configENS1_35adjacent_difference_config_selectorILb0EdEEZNS1_24adjacent_difference_implIS3_Lb0ELb0EPdS7_N6thrust23THRUST_200600_302600_NS4plusIdEEEE10hipError_tPvRmT2_T3_mT4_P12ihipStream_tbEUlT_E_NS1_11comp_targetILNS1_3genE10ELNS1_11target_archE1201ELNS1_3gpuE5ELNS1_3repE0EEENS1_30default_config_static_selectorELNS0_4arch9wavefront6targetE1EEEvT1_: ; @_ZN7rocprim17ROCPRIM_400000_NS6detail17trampoline_kernelINS0_14default_configENS1_35adjacent_difference_config_selectorILb0EdEEZNS1_24adjacent_difference_implIS3_Lb0ELb0EPdS7_N6thrust23THRUST_200600_302600_NS4plusIdEEEE10hipError_tPvRmT2_T3_mT4_P12ihipStream_tbEUlT_E_NS1_11comp_targetILNS1_3genE10ELNS1_11target_archE1201ELNS1_3gpuE5ELNS1_3repE0EEENS1_30default_config_static_selectorELNS0_4arch9wavefront6targetE1EEEvT1_
; %bb.0:
	.section	.rodata,"a",@progbits
	.p2align	6, 0x0
	.amdhsa_kernel _ZN7rocprim17ROCPRIM_400000_NS6detail17trampoline_kernelINS0_14default_configENS1_35adjacent_difference_config_selectorILb0EdEEZNS1_24adjacent_difference_implIS3_Lb0ELb0EPdS7_N6thrust23THRUST_200600_302600_NS4plusIdEEEE10hipError_tPvRmT2_T3_mT4_P12ihipStream_tbEUlT_E_NS1_11comp_targetILNS1_3genE10ELNS1_11target_archE1201ELNS1_3gpuE5ELNS1_3repE0EEENS1_30default_config_static_selectorELNS0_4arch9wavefront6targetE1EEEvT1_
		.amdhsa_group_segment_fixed_size 0
		.amdhsa_private_segment_fixed_size 0
		.amdhsa_kernarg_size 56
		.amdhsa_user_sgpr_count 6
		.amdhsa_user_sgpr_private_segment_buffer 1
		.amdhsa_user_sgpr_dispatch_ptr 0
		.amdhsa_user_sgpr_queue_ptr 0
		.amdhsa_user_sgpr_kernarg_segment_ptr 1
		.amdhsa_user_sgpr_dispatch_id 0
		.amdhsa_user_sgpr_flat_scratch_init 0
		.amdhsa_user_sgpr_kernarg_preload_length 0
		.amdhsa_user_sgpr_kernarg_preload_offset 0
		.amdhsa_user_sgpr_private_segment_size 0
		.amdhsa_uses_dynamic_stack 0
		.amdhsa_system_sgpr_private_segment_wavefront_offset 0
		.amdhsa_system_sgpr_workgroup_id_x 1
		.amdhsa_system_sgpr_workgroup_id_y 0
		.amdhsa_system_sgpr_workgroup_id_z 0
		.amdhsa_system_sgpr_workgroup_info 0
		.amdhsa_system_vgpr_workitem_id 0
		.amdhsa_next_free_vgpr 1
		.amdhsa_next_free_sgpr 0
		.amdhsa_accum_offset 4
		.amdhsa_reserve_vcc 0
		.amdhsa_reserve_flat_scratch 0
		.amdhsa_float_round_mode_32 0
		.amdhsa_float_round_mode_16_64 0
		.amdhsa_float_denorm_mode_32 3
		.amdhsa_float_denorm_mode_16_64 3
		.amdhsa_dx10_clamp 1
		.amdhsa_ieee_mode 1
		.amdhsa_fp16_overflow 0
		.amdhsa_tg_split 0
		.amdhsa_exception_fp_ieee_invalid_op 0
		.amdhsa_exception_fp_denorm_src 0
		.amdhsa_exception_fp_ieee_div_zero 0
		.amdhsa_exception_fp_ieee_overflow 0
		.amdhsa_exception_fp_ieee_underflow 0
		.amdhsa_exception_fp_ieee_inexact 0
		.amdhsa_exception_int_div_zero 0
	.end_amdhsa_kernel
	.section	.text._ZN7rocprim17ROCPRIM_400000_NS6detail17trampoline_kernelINS0_14default_configENS1_35adjacent_difference_config_selectorILb0EdEEZNS1_24adjacent_difference_implIS3_Lb0ELb0EPdS7_N6thrust23THRUST_200600_302600_NS4plusIdEEEE10hipError_tPvRmT2_T3_mT4_P12ihipStream_tbEUlT_E_NS1_11comp_targetILNS1_3genE10ELNS1_11target_archE1201ELNS1_3gpuE5ELNS1_3repE0EEENS1_30default_config_static_selectorELNS0_4arch9wavefront6targetE1EEEvT1_,"axG",@progbits,_ZN7rocprim17ROCPRIM_400000_NS6detail17trampoline_kernelINS0_14default_configENS1_35adjacent_difference_config_selectorILb0EdEEZNS1_24adjacent_difference_implIS3_Lb0ELb0EPdS7_N6thrust23THRUST_200600_302600_NS4plusIdEEEE10hipError_tPvRmT2_T3_mT4_P12ihipStream_tbEUlT_E_NS1_11comp_targetILNS1_3genE10ELNS1_11target_archE1201ELNS1_3gpuE5ELNS1_3repE0EEENS1_30default_config_static_selectorELNS0_4arch9wavefront6targetE1EEEvT1_,comdat
.Lfunc_end442:
	.size	_ZN7rocprim17ROCPRIM_400000_NS6detail17trampoline_kernelINS0_14default_configENS1_35adjacent_difference_config_selectorILb0EdEEZNS1_24adjacent_difference_implIS3_Lb0ELb0EPdS7_N6thrust23THRUST_200600_302600_NS4plusIdEEEE10hipError_tPvRmT2_T3_mT4_P12ihipStream_tbEUlT_E_NS1_11comp_targetILNS1_3genE10ELNS1_11target_archE1201ELNS1_3gpuE5ELNS1_3repE0EEENS1_30default_config_static_selectorELNS0_4arch9wavefront6targetE1EEEvT1_, .Lfunc_end442-_ZN7rocprim17ROCPRIM_400000_NS6detail17trampoline_kernelINS0_14default_configENS1_35adjacent_difference_config_selectorILb0EdEEZNS1_24adjacent_difference_implIS3_Lb0ELb0EPdS7_N6thrust23THRUST_200600_302600_NS4plusIdEEEE10hipError_tPvRmT2_T3_mT4_P12ihipStream_tbEUlT_E_NS1_11comp_targetILNS1_3genE10ELNS1_11target_archE1201ELNS1_3gpuE5ELNS1_3repE0EEENS1_30default_config_static_selectorELNS0_4arch9wavefront6targetE1EEEvT1_
                                        ; -- End function
	.section	.AMDGPU.csdata,"",@progbits
; Kernel info:
; codeLenInByte = 0
; NumSgprs: 4
; NumVgprs: 0
; NumAgprs: 0
; TotalNumVgprs: 0
; ScratchSize: 0
; MemoryBound: 0
; FloatMode: 240
; IeeeMode: 1
; LDSByteSize: 0 bytes/workgroup (compile time only)
; SGPRBlocks: 0
; VGPRBlocks: 0
; NumSGPRsForWavesPerEU: 4
; NumVGPRsForWavesPerEU: 1
; AccumOffset: 4
; Occupancy: 8
; WaveLimiterHint : 0
; COMPUTE_PGM_RSRC2:SCRATCH_EN: 0
; COMPUTE_PGM_RSRC2:USER_SGPR: 6
; COMPUTE_PGM_RSRC2:TRAP_HANDLER: 0
; COMPUTE_PGM_RSRC2:TGID_X_EN: 1
; COMPUTE_PGM_RSRC2:TGID_Y_EN: 0
; COMPUTE_PGM_RSRC2:TGID_Z_EN: 0
; COMPUTE_PGM_RSRC2:TIDIG_COMP_CNT: 0
; COMPUTE_PGM_RSRC3_GFX90A:ACCUM_OFFSET: 0
; COMPUTE_PGM_RSRC3_GFX90A:TG_SPLIT: 0
	.section	.text._ZN7rocprim17ROCPRIM_400000_NS6detail17trampoline_kernelINS0_14default_configENS1_35adjacent_difference_config_selectorILb0EdEEZNS1_24adjacent_difference_implIS3_Lb0ELb0EPdS7_N6thrust23THRUST_200600_302600_NS4plusIdEEEE10hipError_tPvRmT2_T3_mT4_P12ihipStream_tbEUlT_E_NS1_11comp_targetILNS1_3genE5ELNS1_11target_archE942ELNS1_3gpuE9ELNS1_3repE0EEENS1_30default_config_static_selectorELNS0_4arch9wavefront6targetE1EEEvT1_,"axG",@progbits,_ZN7rocprim17ROCPRIM_400000_NS6detail17trampoline_kernelINS0_14default_configENS1_35adjacent_difference_config_selectorILb0EdEEZNS1_24adjacent_difference_implIS3_Lb0ELb0EPdS7_N6thrust23THRUST_200600_302600_NS4plusIdEEEE10hipError_tPvRmT2_T3_mT4_P12ihipStream_tbEUlT_E_NS1_11comp_targetILNS1_3genE5ELNS1_11target_archE942ELNS1_3gpuE9ELNS1_3repE0EEENS1_30default_config_static_selectorELNS0_4arch9wavefront6targetE1EEEvT1_,comdat
	.protected	_ZN7rocprim17ROCPRIM_400000_NS6detail17trampoline_kernelINS0_14default_configENS1_35adjacent_difference_config_selectorILb0EdEEZNS1_24adjacent_difference_implIS3_Lb0ELb0EPdS7_N6thrust23THRUST_200600_302600_NS4plusIdEEEE10hipError_tPvRmT2_T3_mT4_P12ihipStream_tbEUlT_E_NS1_11comp_targetILNS1_3genE5ELNS1_11target_archE942ELNS1_3gpuE9ELNS1_3repE0EEENS1_30default_config_static_selectorELNS0_4arch9wavefront6targetE1EEEvT1_ ; -- Begin function _ZN7rocprim17ROCPRIM_400000_NS6detail17trampoline_kernelINS0_14default_configENS1_35adjacent_difference_config_selectorILb0EdEEZNS1_24adjacent_difference_implIS3_Lb0ELb0EPdS7_N6thrust23THRUST_200600_302600_NS4plusIdEEEE10hipError_tPvRmT2_T3_mT4_P12ihipStream_tbEUlT_E_NS1_11comp_targetILNS1_3genE5ELNS1_11target_archE942ELNS1_3gpuE9ELNS1_3repE0EEENS1_30default_config_static_selectorELNS0_4arch9wavefront6targetE1EEEvT1_
	.globl	_ZN7rocprim17ROCPRIM_400000_NS6detail17trampoline_kernelINS0_14default_configENS1_35adjacent_difference_config_selectorILb0EdEEZNS1_24adjacent_difference_implIS3_Lb0ELb0EPdS7_N6thrust23THRUST_200600_302600_NS4plusIdEEEE10hipError_tPvRmT2_T3_mT4_P12ihipStream_tbEUlT_E_NS1_11comp_targetILNS1_3genE5ELNS1_11target_archE942ELNS1_3gpuE9ELNS1_3repE0EEENS1_30default_config_static_selectorELNS0_4arch9wavefront6targetE1EEEvT1_
	.p2align	8
	.type	_ZN7rocprim17ROCPRIM_400000_NS6detail17trampoline_kernelINS0_14default_configENS1_35adjacent_difference_config_selectorILb0EdEEZNS1_24adjacent_difference_implIS3_Lb0ELb0EPdS7_N6thrust23THRUST_200600_302600_NS4plusIdEEEE10hipError_tPvRmT2_T3_mT4_P12ihipStream_tbEUlT_E_NS1_11comp_targetILNS1_3genE5ELNS1_11target_archE942ELNS1_3gpuE9ELNS1_3repE0EEENS1_30default_config_static_selectorELNS0_4arch9wavefront6targetE1EEEvT1_,@function
_ZN7rocprim17ROCPRIM_400000_NS6detail17trampoline_kernelINS0_14default_configENS1_35adjacent_difference_config_selectorILb0EdEEZNS1_24adjacent_difference_implIS3_Lb0ELb0EPdS7_N6thrust23THRUST_200600_302600_NS4plusIdEEEE10hipError_tPvRmT2_T3_mT4_P12ihipStream_tbEUlT_E_NS1_11comp_targetILNS1_3genE5ELNS1_11target_archE942ELNS1_3gpuE9ELNS1_3repE0EEENS1_30default_config_static_selectorELNS0_4arch9wavefront6targetE1EEEvT1_: ; @_ZN7rocprim17ROCPRIM_400000_NS6detail17trampoline_kernelINS0_14default_configENS1_35adjacent_difference_config_selectorILb0EdEEZNS1_24adjacent_difference_implIS3_Lb0ELb0EPdS7_N6thrust23THRUST_200600_302600_NS4plusIdEEEE10hipError_tPvRmT2_T3_mT4_P12ihipStream_tbEUlT_E_NS1_11comp_targetILNS1_3genE5ELNS1_11target_archE942ELNS1_3gpuE9ELNS1_3repE0EEENS1_30default_config_static_selectorELNS0_4arch9wavefront6targetE1EEEvT1_
; %bb.0:
	.section	.rodata,"a",@progbits
	.p2align	6, 0x0
	.amdhsa_kernel _ZN7rocprim17ROCPRIM_400000_NS6detail17trampoline_kernelINS0_14default_configENS1_35adjacent_difference_config_selectorILb0EdEEZNS1_24adjacent_difference_implIS3_Lb0ELb0EPdS7_N6thrust23THRUST_200600_302600_NS4plusIdEEEE10hipError_tPvRmT2_T3_mT4_P12ihipStream_tbEUlT_E_NS1_11comp_targetILNS1_3genE5ELNS1_11target_archE942ELNS1_3gpuE9ELNS1_3repE0EEENS1_30default_config_static_selectorELNS0_4arch9wavefront6targetE1EEEvT1_
		.amdhsa_group_segment_fixed_size 0
		.amdhsa_private_segment_fixed_size 0
		.amdhsa_kernarg_size 56
		.amdhsa_user_sgpr_count 6
		.amdhsa_user_sgpr_private_segment_buffer 1
		.amdhsa_user_sgpr_dispatch_ptr 0
		.amdhsa_user_sgpr_queue_ptr 0
		.amdhsa_user_sgpr_kernarg_segment_ptr 1
		.amdhsa_user_sgpr_dispatch_id 0
		.amdhsa_user_sgpr_flat_scratch_init 0
		.amdhsa_user_sgpr_kernarg_preload_length 0
		.amdhsa_user_sgpr_kernarg_preload_offset 0
		.amdhsa_user_sgpr_private_segment_size 0
		.amdhsa_uses_dynamic_stack 0
		.amdhsa_system_sgpr_private_segment_wavefront_offset 0
		.amdhsa_system_sgpr_workgroup_id_x 1
		.amdhsa_system_sgpr_workgroup_id_y 0
		.amdhsa_system_sgpr_workgroup_id_z 0
		.amdhsa_system_sgpr_workgroup_info 0
		.amdhsa_system_vgpr_workitem_id 0
		.amdhsa_next_free_vgpr 1
		.amdhsa_next_free_sgpr 0
		.amdhsa_accum_offset 4
		.amdhsa_reserve_vcc 0
		.amdhsa_reserve_flat_scratch 0
		.amdhsa_float_round_mode_32 0
		.amdhsa_float_round_mode_16_64 0
		.amdhsa_float_denorm_mode_32 3
		.amdhsa_float_denorm_mode_16_64 3
		.amdhsa_dx10_clamp 1
		.amdhsa_ieee_mode 1
		.amdhsa_fp16_overflow 0
		.amdhsa_tg_split 0
		.amdhsa_exception_fp_ieee_invalid_op 0
		.amdhsa_exception_fp_denorm_src 0
		.amdhsa_exception_fp_ieee_div_zero 0
		.amdhsa_exception_fp_ieee_overflow 0
		.amdhsa_exception_fp_ieee_underflow 0
		.amdhsa_exception_fp_ieee_inexact 0
		.amdhsa_exception_int_div_zero 0
	.end_amdhsa_kernel
	.section	.text._ZN7rocprim17ROCPRIM_400000_NS6detail17trampoline_kernelINS0_14default_configENS1_35adjacent_difference_config_selectorILb0EdEEZNS1_24adjacent_difference_implIS3_Lb0ELb0EPdS7_N6thrust23THRUST_200600_302600_NS4plusIdEEEE10hipError_tPvRmT2_T3_mT4_P12ihipStream_tbEUlT_E_NS1_11comp_targetILNS1_3genE5ELNS1_11target_archE942ELNS1_3gpuE9ELNS1_3repE0EEENS1_30default_config_static_selectorELNS0_4arch9wavefront6targetE1EEEvT1_,"axG",@progbits,_ZN7rocprim17ROCPRIM_400000_NS6detail17trampoline_kernelINS0_14default_configENS1_35adjacent_difference_config_selectorILb0EdEEZNS1_24adjacent_difference_implIS3_Lb0ELb0EPdS7_N6thrust23THRUST_200600_302600_NS4plusIdEEEE10hipError_tPvRmT2_T3_mT4_P12ihipStream_tbEUlT_E_NS1_11comp_targetILNS1_3genE5ELNS1_11target_archE942ELNS1_3gpuE9ELNS1_3repE0EEENS1_30default_config_static_selectorELNS0_4arch9wavefront6targetE1EEEvT1_,comdat
.Lfunc_end443:
	.size	_ZN7rocprim17ROCPRIM_400000_NS6detail17trampoline_kernelINS0_14default_configENS1_35adjacent_difference_config_selectorILb0EdEEZNS1_24adjacent_difference_implIS3_Lb0ELb0EPdS7_N6thrust23THRUST_200600_302600_NS4plusIdEEEE10hipError_tPvRmT2_T3_mT4_P12ihipStream_tbEUlT_E_NS1_11comp_targetILNS1_3genE5ELNS1_11target_archE942ELNS1_3gpuE9ELNS1_3repE0EEENS1_30default_config_static_selectorELNS0_4arch9wavefront6targetE1EEEvT1_, .Lfunc_end443-_ZN7rocprim17ROCPRIM_400000_NS6detail17trampoline_kernelINS0_14default_configENS1_35adjacent_difference_config_selectorILb0EdEEZNS1_24adjacent_difference_implIS3_Lb0ELb0EPdS7_N6thrust23THRUST_200600_302600_NS4plusIdEEEE10hipError_tPvRmT2_T3_mT4_P12ihipStream_tbEUlT_E_NS1_11comp_targetILNS1_3genE5ELNS1_11target_archE942ELNS1_3gpuE9ELNS1_3repE0EEENS1_30default_config_static_selectorELNS0_4arch9wavefront6targetE1EEEvT1_
                                        ; -- End function
	.section	.AMDGPU.csdata,"",@progbits
; Kernel info:
; codeLenInByte = 0
; NumSgprs: 4
; NumVgprs: 0
; NumAgprs: 0
; TotalNumVgprs: 0
; ScratchSize: 0
; MemoryBound: 0
; FloatMode: 240
; IeeeMode: 1
; LDSByteSize: 0 bytes/workgroup (compile time only)
; SGPRBlocks: 0
; VGPRBlocks: 0
; NumSGPRsForWavesPerEU: 4
; NumVGPRsForWavesPerEU: 1
; AccumOffset: 4
; Occupancy: 8
; WaveLimiterHint : 0
; COMPUTE_PGM_RSRC2:SCRATCH_EN: 0
; COMPUTE_PGM_RSRC2:USER_SGPR: 6
; COMPUTE_PGM_RSRC2:TRAP_HANDLER: 0
; COMPUTE_PGM_RSRC2:TGID_X_EN: 1
; COMPUTE_PGM_RSRC2:TGID_Y_EN: 0
; COMPUTE_PGM_RSRC2:TGID_Z_EN: 0
; COMPUTE_PGM_RSRC2:TIDIG_COMP_CNT: 0
; COMPUTE_PGM_RSRC3_GFX90A:ACCUM_OFFSET: 0
; COMPUTE_PGM_RSRC3_GFX90A:TG_SPLIT: 0
	.section	.text._ZN7rocprim17ROCPRIM_400000_NS6detail17trampoline_kernelINS0_14default_configENS1_35adjacent_difference_config_selectorILb0EdEEZNS1_24adjacent_difference_implIS3_Lb0ELb0EPdS7_N6thrust23THRUST_200600_302600_NS4plusIdEEEE10hipError_tPvRmT2_T3_mT4_P12ihipStream_tbEUlT_E_NS1_11comp_targetILNS1_3genE4ELNS1_11target_archE910ELNS1_3gpuE8ELNS1_3repE0EEENS1_30default_config_static_selectorELNS0_4arch9wavefront6targetE1EEEvT1_,"axG",@progbits,_ZN7rocprim17ROCPRIM_400000_NS6detail17trampoline_kernelINS0_14default_configENS1_35adjacent_difference_config_selectorILb0EdEEZNS1_24adjacent_difference_implIS3_Lb0ELb0EPdS7_N6thrust23THRUST_200600_302600_NS4plusIdEEEE10hipError_tPvRmT2_T3_mT4_P12ihipStream_tbEUlT_E_NS1_11comp_targetILNS1_3genE4ELNS1_11target_archE910ELNS1_3gpuE8ELNS1_3repE0EEENS1_30default_config_static_selectorELNS0_4arch9wavefront6targetE1EEEvT1_,comdat
	.protected	_ZN7rocprim17ROCPRIM_400000_NS6detail17trampoline_kernelINS0_14default_configENS1_35adjacent_difference_config_selectorILb0EdEEZNS1_24adjacent_difference_implIS3_Lb0ELb0EPdS7_N6thrust23THRUST_200600_302600_NS4plusIdEEEE10hipError_tPvRmT2_T3_mT4_P12ihipStream_tbEUlT_E_NS1_11comp_targetILNS1_3genE4ELNS1_11target_archE910ELNS1_3gpuE8ELNS1_3repE0EEENS1_30default_config_static_selectorELNS0_4arch9wavefront6targetE1EEEvT1_ ; -- Begin function _ZN7rocprim17ROCPRIM_400000_NS6detail17trampoline_kernelINS0_14default_configENS1_35adjacent_difference_config_selectorILb0EdEEZNS1_24adjacent_difference_implIS3_Lb0ELb0EPdS7_N6thrust23THRUST_200600_302600_NS4plusIdEEEE10hipError_tPvRmT2_T3_mT4_P12ihipStream_tbEUlT_E_NS1_11comp_targetILNS1_3genE4ELNS1_11target_archE910ELNS1_3gpuE8ELNS1_3repE0EEENS1_30default_config_static_selectorELNS0_4arch9wavefront6targetE1EEEvT1_
	.globl	_ZN7rocprim17ROCPRIM_400000_NS6detail17trampoline_kernelINS0_14default_configENS1_35adjacent_difference_config_selectorILb0EdEEZNS1_24adjacent_difference_implIS3_Lb0ELb0EPdS7_N6thrust23THRUST_200600_302600_NS4plusIdEEEE10hipError_tPvRmT2_T3_mT4_P12ihipStream_tbEUlT_E_NS1_11comp_targetILNS1_3genE4ELNS1_11target_archE910ELNS1_3gpuE8ELNS1_3repE0EEENS1_30default_config_static_selectorELNS0_4arch9wavefront6targetE1EEEvT1_
	.p2align	8
	.type	_ZN7rocprim17ROCPRIM_400000_NS6detail17trampoline_kernelINS0_14default_configENS1_35adjacent_difference_config_selectorILb0EdEEZNS1_24adjacent_difference_implIS3_Lb0ELb0EPdS7_N6thrust23THRUST_200600_302600_NS4plusIdEEEE10hipError_tPvRmT2_T3_mT4_P12ihipStream_tbEUlT_E_NS1_11comp_targetILNS1_3genE4ELNS1_11target_archE910ELNS1_3gpuE8ELNS1_3repE0EEENS1_30default_config_static_selectorELNS0_4arch9wavefront6targetE1EEEvT1_,@function
_ZN7rocprim17ROCPRIM_400000_NS6detail17trampoline_kernelINS0_14default_configENS1_35adjacent_difference_config_selectorILb0EdEEZNS1_24adjacent_difference_implIS3_Lb0ELb0EPdS7_N6thrust23THRUST_200600_302600_NS4plusIdEEEE10hipError_tPvRmT2_T3_mT4_P12ihipStream_tbEUlT_E_NS1_11comp_targetILNS1_3genE4ELNS1_11target_archE910ELNS1_3gpuE8ELNS1_3repE0EEENS1_30default_config_static_selectorELNS0_4arch9wavefront6targetE1EEEvT1_: ; @_ZN7rocprim17ROCPRIM_400000_NS6detail17trampoline_kernelINS0_14default_configENS1_35adjacent_difference_config_selectorILb0EdEEZNS1_24adjacent_difference_implIS3_Lb0ELb0EPdS7_N6thrust23THRUST_200600_302600_NS4plusIdEEEE10hipError_tPvRmT2_T3_mT4_P12ihipStream_tbEUlT_E_NS1_11comp_targetILNS1_3genE4ELNS1_11target_archE910ELNS1_3gpuE8ELNS1_3repE0EEENS1_30default_config_static_selectorELNS0_4arch9wavefront6targetE1EEEvT1_
; %bb.0:
	s_load_dwordx8 s[8:15], s[4:5], 0x0
	s_load_dwordx2 s[0:1], s[4:5], 0x30
	s_mov_b32 s5, 0
	s_mov_b64 s[16:17], -1
	s_waitcnt lgkmcnt(0)
	s_lshl_b64 s[10:11], s[10:11], 3
	s_add_u32 s20, s8, s10
	s_addc_u32 s21, s9, s11
	s_lshl_b32 s4, s6, 9
	s_lshr_b64 s[2:3], s[14:15], 9
	s_and_b32 s8, s14, 0x1ff
	s_mov_b32 s9, s5
	s_cmp_lg_u64 s[8:9], 0
	s_cselect_b64 s[8:9], -1, 0
	v_cndmask_b32_e64 v1, 0, 1, s[8:9]
	v_readfirstlane_b32 s7, v1
	s_add_u32 s2, s2, s7
	s_addc_u32 s3, s3, 0
	s_add_u32 s8, s0, s6
	s_addc_u32 s9, s1, 0
	s_add_u32 s6, s2, -1
	s_addc_u32 s7, s3, -1
	v_pk_mov_b32 v[2:3], s[6:7], s[6:7] op_sel:[0,1]
	v_cmp_ge_u64_e64 s[0:1], s[8:9], v[2:3]
	s_and_b64 vcc, exec, s[0:1]
	s_cbranch_vccz .LBB444_6
; %bb.1:
	s_lshl_b32 s15, s6, 9
	s_sub_i32 s15, s14, s15
	s_lshl_b64 s[16:17], s[4:5], 3
	s_add_u32 s16, s20, s16
	s_addc_u32 s17, s21, s17
	v_cmp_gt_u32_e32 vcc, s15, v0
                                        ; implicit-def: $vgpr2_vgpr3_vgpr4_vgpr5
	s_and_saveexec_b64 s[18:19], vcc
	s_cbranch_execz .LBB444_3
; %bb.2:
	v_lshlrev_b32_e32 v1, 3, v0
	global_load_dwordx2 v[2:3], v1, s[16:17]
.LBB444_3:
	s_or_b64 exec, exec, s[18:19]
	v_or_b32_e32 v1, 0x100, v0
	v_cmp_gt_u32_e32 vcc, s15, v1
	s_and_saveexec_b64 s[18:19], vcc
	s_cbranch_execz .LBB444_5
; %bb.4:
	v_lshlrev_b32_e32 v4, 3, v0
	global_load_dwordx2 v[4:5], v4, s[16:17] offset:2048
.LBB444_5:
	s_or_b64 exec, exec, s[18:19]
	v_lshrrev_b32_e32 v6, 2, v0
	v_lshrrev_b32_e32 v1, 2, v1
	v_and_b32_e32 v6, 56, v6
	v_lshlrev_b32_e32 v7, 3, v0
	v_and_b32_e32 v1, 0x78, v1
	v_add_u32_e32 v6, v6, v7
	v_add_u32_e32 v1, v1, v7
	s_mov_b64 s[16:17], 0
	s_waitcnt vmcnt(0)
	ds_write_b64 v6, v[2:3]
	ds_write_b64 v1, v[4:5] offset:2048
	s_waitcnt lgkmcnt(0)
	s_barrier
.LBB444_6:
	s_and_b64 vcc, exec, s[16:17]
	v_lshlrev_b32_e32 v1, 3, v0
	s_cbranch_vccz .LBB444_8
; %bb.7:
	s_lshl_b64 s[16:17], s[4:5], 3
	s_add_u32 s16, s20, s16
	s_addc_u32 s17, s21, s17
	global_load_dwordx2 v[2:3], v1, s[16:17]
	global_load_dwordx2 v[4:5], v1, s[16:17] offset:2048
	v_lshrrev_b32_e32 v6, 2, v0
	v_or_b32_e32 v7, 0x100, v0
	v_and_b32_e32 v6, 56, v6
	v_lshrrev_b32_e32 v7, 2, v7
	v_add_u32_e32 v6, v6, v1
	v_and_b32_e32 v7, 0x78, v7
	v_add_u32_e32 v7, v7, v1
	s_waitcnt vmcnt(1)
	ds_write_b64 v6, v[2:3]
	s_waitcnt vmcnt(0)
	ds_write_b64 v7, v[4:5] offset:2048
	s_waitcnt lgkmcnt(0)
	s_barrier
.LBB444_8:
	v_lshlrev_b32_e32 v2, 1, v0
	v_lshrrev_b32_e32 v3, 4, v0
	v_add_lshl_u32 v2, v3, v2, 3
	ds_read2_b64 v[2:5], v2 offset1:1
	s_cmp_eq_u64 s[8:9], 0
	s_waitcnt lgkmcnt(0)
	s_barrier
	s_cbranch_scc1 .LBB444_13
; %bb.9:
	s_lshl_b64 s[16:17], s[4:5], 3
	s_add_u32 s5, s20, s16
	s_addc_u32 s15, s21, s17
	s_add_u32 s16, s5, -8
	s_addc_u32 s17, s15, -1
	s_load_dwordx2 s[16:17], s[16:17], 0x0
	s_cmp_eq_u64 s[8:9], s[6:7]
	s_cbranch_scc1 .LBB444_14
; %bb.10:
	v_cmp_ne_u32_e32 vcc, 0, v0
	s_waitcnt lgkmcnt(0)
	v_pk_mov_b32 v[6:7], s[16:17], s[16:17] op_sel:[0,1]
	ds_write_b64 v1, v[4:5]
	s_waitcnt lgkmcnt(0)
	s_barrier
	s_and_saveexec_b64 s[18:19], vcc
	s_cbranch_execz .LBB444_12
; %bb.11:
	v_add_u32_e32 v6, -8, v1
	ds_read_b64 v[6:7], v6
.LBB444_12:
	s_or_b64 exec, exec, s[18:19]
	v_add_f64 v[10:11], v[2:3], v[4:5]
	s_waitcnt lgkmcnt(0)
	v_add_f64 v[6:7], v[2:3], v[6:7]
	s_branch .LBB444_18
.LBB444_13:
                                        ; implicit-def: $vgpr10_vgpr11
                                        ; implicit-def: $vgpr6_vgpr7_vgpr8_vgpr9
	s_branch .LBB444_19
.LBB444_14:
                                        ; implicit-def: $vgpr10_vgpr11
                                        ; implicit-def: $vgpr6_vgpr7_vgpr8_vgpr9
	s_cbranch_execz .LBB444_18
; %bb.15:
	v_cmp_ne_u32_e32 vcc, 0, v0
	s_waitcnt lgkmcnt(0)
	v_pk_mov_b32 v[6:7], s[16:17], s[16:17] op_sel:[0,1]
	ds_write_b64 v1, v[4:5]
	s_waitcnt lgkmcnt(0)
	s_barrier
	s_and_saveexec_b64 s[16:17], vcc
	s_cbranch_execz .LBB444_17
; %bb.16:
	v_add_u32_e32 v6, -8, v1
	ds_read_b64 v[6:7], v6
.LBB444_17:
	s_or_b64 exec, exec, s[16:17]
	s_lshl_b32 s5, s8, 9
	v_lshlrev_b32_e32 v12, 1, v0
	s_sub_i32 s5, s14, s5
	v_or_b32_e32 v10, 1, v12
	v_add_f64 v[8:9], v[2:3], v[4:5]
	v_cmp_gt_u32_e32 vcc, s5, v10
	v_cndmask_b32_e32 v11, v5, v9, vcc
	v_cndmask_b32_e32 v10, v4, v8, vcc
	s_waitcnt lgkmcnt(0)
	v_add_f64 v[6:7], v[2:3], v[6:7]
	v_cmp_gt_u32_e32 vcc, s5, v12
	v_cndmask_b32_e32 v7, v3, v7, vcc
	v_cndmask_b32_e32 v6, v2, v6, vcc
.LBB444_18:
	s_cbranch_execnz .LBB444_27
.LBB444_19:
	s_cmp_eq_u64 s[2:3], 1
	v_add_f64 v[10:11], v[2:3], v[4:5]
	v_cmp_ne_u32_e32 vcc, 0, v0
	s_cbranch_scc1 .LBB444_23
; %bb.20:
	v_pk_mov_b32 v[6:7], v[2:3], v[2:3] op_sel:[0,1]
	ds_write_b64 v1, v[4:5]
	s_waitcnt lgkmcnt(0)
	s_barrier
	s_and_saveexec_b64 s[2:3], vcc
	s_cbranch_execz .LBB444_22
; %bb.21:
	v_add_u32_e32 v6, -8, v1
	ds_read_b64 v[6:7], v6
	s_waitcnt lgkmcnt(0)
	v_add_f64 v[6:7], v[2:3], v[6:7]
.LBB444_22:
	s_or_b64 exec, exec, s[2:3]
	s_cbranch_execz .LBB444_24
	s_branch .LBB444_27
.LBB444_23:
                                        ; implicit-def: $vgpr6_vgpr7_vgpr8_vgpr9
.LBB444_24:
	v_lshlrev_b32_e32 v6, 1, v0
	v_or_b32_e32 v7, 1, v6
	v_cmp_gt_u32_e32 vcc, s14, v7
	v_cndmask_b32_e32 v11, v5, v11, vcc
	v_cndmask_b32_e32 v10, v4, v10, vcc
	v_cmp_ne_u32_e32 vcc, 0, v0
	v_cmp_gt_u32_e64 s[2:3], s14, v6
	s_and_b64 s[8:9], vcc, s[2:3]
	ds_write_b64 v1, v[4:5]
	s_waitcnt lgkmcnt(0)
	s_barrier
	s_and_saveexec_b64 s[2:3], s[8:9]
	s_cbranch_execz .LBB444_26
; %bb.25:
	v_add_u32_e32 v4, -8, v1
	ds_read_b64 v[4:5], v4
	s_waitcnt lgkmcnt(0)
	v_add_f64 v[2:3], v[2:3], v[4:5]
.LBB444_26:
	s_or_b64 exec, exec, s[2:3]
	v_pk_mov_b32 v[6:7], v[2:3], v[2:3] op_sel:[0,1]
.LBB444_27:
	s_add_u32 s7, s12, s10
	s_addc_u32 s8, s13, s11
	s_and_b64 vcc, exec, s[0:1]
	v_lshrrev_b32_e32 v8, 1, v0
	s_waitcnt lgkmcnt(0)
	s_barrier
	s_cbranch_vccz .LBB444_31
; %bb.28:
	v_and_b32_e32 v2, 0x78, v8
	v_lshl_add_u32 v2, v0, 4, v2
	v_or_b32_e32 v9, 0x100, v0
	s_lshl_b32 s0, s6, 9
	s_mov_b32 s5, 0
	ds_write2_b64 v2, v[6:7], v[10:11] offset1:1
	v_lshrrev_b32_e32 v2, 5, v9
	s_sub_i32 s2, s14, s0
	s_lshl_b64 s[0:1], s[4:5], 3
	v_add_lshl_u32 v2, v2, v0, 3
	s_add_u32 s0, s7, s0
	s_waitcnt lgkmcnt(0)
	s_barrier
	ds_read_b64 v[2:3], v2 offset:2048
	s_addc_u32 s1, s8, s1
	v_mov_b32_e32 v5, s1
	v_add_co_u32_e32 v4, vcc, s0, v1
	v_addc_co_u32_e32 v5, vcc, 0, v5, vcc
	v_cmp_gt_u32_e32 vcc, s2, v0
	s_and_saveexec_b64 s[0:1], vcc
	s_cbranch_execz .LBB444_30
; %bb.29:
	v_lshrrev_b32_e32 v12, 5, v0
	v_add_lshl_u32 v12, v12, v0, 3
	ds_read_b64 v[12:13], v12
	s_waitcnt lgkmcnt(0)
	global_store_dwordx2 v[4:5], v[12:13], off
.LBB444_30:
	s_or_b64 exec, exec, s[0:1]
	v_cmp_gt_u32_e64 s[0:1], s2, v9
	s_branch .LBB444_33
.LBB444_31:
	s_mov_b64 s[0:1], 0
                                        ; implicit-def: $vgpr2_vgpr3
                                        ; implicit-def: $vgpr4_vgpr5
	s_cbranch_execz .LBB444_33
; %bb.32:
	s_waitcnt lgkmcnt(0)
	v_and_b32_e32 v2, 0x78, v8
	v_lshl_add_u32 v2, v0, 4, v2
	s_mov_b32 s5, 0
	ds_write2_b64 v2, v[6:7], v[10:11] offset1:1
	v_lshrrev_b32_e32 v2, 5, v0
	v_or_b32_e32 v3, 0x100, v0
	s_lshl_b64 s[2:3], s[4:5], 3
	v_add_lshl_u32 v2, v2, v0, 3
	v_lshrrev_b32_e32 v3, 5, v3
	s_add_u32 s2, s7, s2
	s_waitcnt lgkmcnt(0)
	s_barrier
	v_add_lshl_u32 v0, v3, v0, 3
	ds_read_b64 v[6:7], v2
	ds_read_b64 v[2:3], v0 offset:2048
	s_addc_u32 s3, s8, s3
	v_mov_b32_e32 v0, s3
	v_add_co_u32_e32 v4, vcc, s2, v1
	v_addc_co_u32_e32 v5, vcc, 0, v0, vcc
	s_or_b64 s[0:1], s[0:1], exec
	s_waitcnt lgkmcnt(1)
	global_store_dwordx2 v1, v[6:7], s[2:3]
.LBB444_33:
	s_and_saveexec_b64 s[2:3], s[0:1]
	s_cbranch_execnz .LBB444_35
; %bb.34:
	s_endpgm
.LBB444_35:
	s_waitcnt lgkmcnt(0)
	global_store_dwordx2 v[4:5], v[2:3], off offset:2048
	s_endpgm
	.section	.rodata,"a",@progbits
	.p2align	6, 0x0
	.amdhsa_kernel _ZN7rocprim17ROCPRIM_400000_NS6detail17trampoline_kernelINS0_14default_configENS1_35adjacent_difference_config_selectorILb0EdEEZNS1_24adjacent_difference_implIS3_Lb0ELb0EPdS7_N6thrust23THRUST_200600_302600_NS4plusIdEEEE10hipError_tPvRmT2_T3_mT4_P12ihipStream_tbEUlT_E_NS1_11comp_targetILNS1_3genE4ELNS1_11target_archE910ELNS1_3gpuE8ELNS1_3repE0EEENS1_30default_config_static_selectorELNS0_4arch9wavefront6targetE1EEEvT1_
		.amdhsa_group_segment_fixed_size 4224
		.amdhsa_private_segment_fixed_size 0
		.amdhsa_kernarg_size 56
		.amdhsa_user_sgpr_count 6
		.amdhsa_user_sgpr_private_segment_buffer 1
		.amdhsa_user_sgpr_dispatch_ptr 0
		.amdhsa_user_sgpr_queue_ptr 0
		.amdhsa_user_sgpr_kernarg_segment_ptr 1
		.amdhsa_user_sgpr_dispatch_id 0
		.amdhsa_user_sgpr_flat_scratch_init 0
		.amdhsa_user_sgpr_kernarg_preload_length 0
		.amdhsa_user_sgpr_kernarg_preload_offset 0
		.amdhsa_user_sgpr_private_segment_size 0
		.amdhsa_uses_dynamic_stack 0
		.amdhsa_system_sgpr_private_segment_wavefront_offset 0
		.amdhsa_system_sgpr_workgroup_id_x 1
		.amdhsa_system_sgpr_workgroup_id_y 0
		.amdhsa_system_sgpr_workgroup_id_z 0
		.amdhsa_system_sgpr_workgroup_info 0
		.amdhsa_system_vgpr_workitem_id 0
		.amdhsa_next_free_vgpr 14
		.amdhsa_next_free_sgpr 22
		.amdhsa_accum_offset 16
		.amdhsa_reserve_vcc 1
		.amdhsa_reserve_flat_scratch 0
		.amdhsa_float_round_mode_32 0
		.amdhsa_float_round_mode_16_64 0
		.amdhsa_float_denorm_mode_32 3
		.amdhsa_float_denorm_mode_16_64 3
		.amdhsa_dx10_clamp 1
		.amdhsa_ieee_mode 1
		.amdhsa_fp16_overflow 0
		.amdhsa_tg_split 0
		.amdhsa_exception_fp_ieee_invalid_op 0
		.amdhsa_exception_fp_denorm_src 0
		.amdhsa_exception_fp_ieee_div_zero 0
		.amdhsa_exception_fp_ieee_overflow 0
		.amdhsa_exception_fp_ieee_underflow 0
		.amdhsa_exception_fp_ieee_inexact 0
		.amdhsa_exception_int_div_zero 0
	.end_amdhsa_kernel
	.section	.text._ZN7rocprim17ROCPRIM_400000_NS6detail17trampoline_kernelINS0_14default_configENS1_35adjacent_difference_config_selectorILb0EdEEZNS1_24adjacent_difference_implIS3_Lb0ELb0EPdS7_N6thrust23THRUST_200600_302600_NS4plusIdEEEE10hipError_tPvRmT2_T3_mT4_P12ihipStream_tbEUlT_E_NS1_11comp_targetILNS1_3genE4ELNS1_11target_archE910ELNS1_3gpuE8ELNS1_3repE0EEENS1_30default_config_static_selectorELNS0_4arch9wavefront6targetE1EEEvT1_,"axG",@progbits,_ZN7rocprim17ROCPRIM_400000_NS6detail17trampoline_kernelINS0_14default_configENS1_35adjacent_difference_config_selectorILb0EdEEZNS1_24adjacent_difference_implIS3_Lb0ELb0EPdS7_N6thrust23THRUST_200600_302600_NS4plusIdEEEE10hipError_tPvRmT2_T3_mT4_P12ihipStream_tbEUlT_E_NS1_11comp_targetILNS1_3genE4ELNS1_11target_archE910ELNS1_3gpuE8ELNS1_3repE0EEENS1_30default_config_static_selectorELNS0_4arch9wavefront6targetE1EEEvT1_,comdat
.Lfunc_end444:
	.size	_ZN7rocprim17ROCPRIM_400000_NS6detail17trampoline_kernelINS0_14default_configENS1_35adjacent_difference_config_selectorILb0EdEEZNS1_24adjacent_difference_implIS3_Lb0ELb0EPdS7_N6thrust23THRUST_200600_302600_NS4plusIdEEEE10hipError_tPvRmT2_T3_mT4_P12ihipStream_tbEUlT_E_NS1_11comp_targetILNS1_3genE4ELNS1_11target_archE910ELNS1_3gpuE8ELNS1_3repE0EEENS1_30default_config_static_selectorELNS0_4arch9wavefront6targetE1EEEvT1_, .Lfunc_end444-_ZN7rocprim17ROCPRIM_400000_NS6detail17trampoline_kernelINS0_14default_configENS1_35adjacent_difference_config_selectorILb0EdEEZNS1_24adjacent_difference_implIS3_Lb0ELb0EPdS7_N6thrust23THRUST_200600_302600_NS4plusIdEEEE10hipError_tPvRmT2_T3_mT4_P12ihipStream_tbEUlT_E_NS1_11comp_targetILNS1_3genE4ELNS1_11target_archE910ELNS1_3gpuE8ELNS1_3repE0EEENS1_30default_config_static_selectorELNS0_4arch9wavefront6targetE1EEEvT1_
                                        ; -- End function
	.section	.AMDGPU.csdata,"",@progbits
; Kernel info:
; codeLenInByte = 1200
; NumSgprs: 26
; NumVgprs: 14
; NumAgprs: 0
; TotalNumVgprs: 14
; ScratchSize: 0
; MemoryBound: 0
; FloatMode: 240
; IeeeMode: 1
; LDSByteSize: 4224 bytes/workgroup (compile time only)
; SGPRBlocks: 3
; VGPRBlocks: 1
; NumSGPRsForWavesPerEU: 26
; NumVGPRsForWavesPerEU: 14
; AccumOffset: 16
; Occupancy: 8
; WaveLimiterHint : 1
; COMPUTE_PGM_RSRC2:SCRATCH_EN: 0
; COMPUTE_PGM_RSRC2:USER_SGPR: 6
; COMPUTE_PGM_RSRC2:TRAP_HANDLER: 0
; COMPUTE_PGM_RSRC2:TGID_X_EN: 1
; COMPUTE_PGM_RSRC2:TGID_Y_EN: 0
; COMPUTE_PGM_RSRC2:TGID_Z_EN: 0
; COMPUTE_PGM_RSRC2:TIDIG_COMP_CNT: 0
; COMPUTE_PGM_RSRC3_GFX90A:ACCUM_OFFSET: 3
; COMPUTE_PGM_RSRC3_GFX90A:TG_SPLIT: 0
	.section	.text._ZN7rocprim17ROCPRIM_400000_NS6detail17trampoline_kernelINS0_14default_configENS1_35adjacent_difference_config_selectorILb0EdEEZNS1_24adjacent_difference_implIS3_Lb0ELb0EPdS7_N6thrust23THRUST_200600_302600_NS4plusIdEEEE10hipError_tPvRmT2_T3_mT4_P12ihipStream_tbEUlT_E_NS1_11comp_targetILNS1_3genE3ELNS1_11target_archE908ELNS1_3gpuE7ELNS1_3repE0EEENS1_30default_config_static_selectorELNS0_4arch9wavefront6targetE1EEEvT1_,"axG",@progbits,_ZN7rocprim17ROCPRIM_400000_NS6detail17trampoline_kernelINS0_14default_configENS1_35adjacent_difference_config_selectorILb0EdEEZNS1_24adjacent_difference_implIS3_Lb0ELb0EPdS7_N6thrust23THRUST_200600_302600_NS4plusIdEEEE10hipError_tPvRmT2_T3_mT4_P12ihipStream_tbEUlT_E_NS1_11comp_targetILNS1_3genE3ELNS1_11target_archE908ELNS1_3gpuE7ELNS1_3repE0EEENS1_30default_config_static_selectorELNS0_4arch9wavefront6targetE1EEEvT1_,comdat
	.protected	_ZN7rocprim17ROCPRIM_400000_NS6detail17trampoline_kernelINS0_14default_configENS1_35adjacent_difference_config_selectorILb0EdEEZNS1_24adjacent_difference_implIS3_Lb0ELb0EPdS7_N6thrust23THRUST_200600_302600_NS4plusIdEEEE10hipError_tPvRmT2_T3_mT4_P12ihipStream_tbEUlT_E_NS1_11comp_targetILNS1_3genE3ELNS1_11target_archE908ELNS1_3gpuE7ELNS1_3repE0EEENS1_30default_config_static_selectorELNS0_4arch9wavefront6targetE1EEEvT1_ ; -- Begin function _ZN7rocprim17ROCPRIM_400000_NS6detail17trampoline_kernelINS0_14default_configENS1_35adjacent_difference_config_selectorILb0EdEEZNS1_24adjacent_difference_implIS3_Lb0ELb0EPdS7_N6thrust23THRUST_200600_302600_NS4plusIdEEEE10hipError_tPvRmT2_T3_mT4_P12ihipStream_tbEUlT_E_NS1_11comp_targetILNS1_3genE3ELNS1_11target_archE908ELNS1_3gpuE7ELNS1_3repE0EEENS1_30default_config_static_selectorELNS0_4arch9wavefront6targetE1EEEvT1_
	.globl	_ZN7rocprim17ROCPRIM_400000_NS6detail17trampoline_kernelINS0_14default_configENS1_35adjacent_difference_config_selectorILb0EdEEZNS1_24adjacent_difference_implIS3_Lb0ELb0EPdS7_N6thrust23THRUST_200600_302600_NS4plusIdEEEE10hipError_tPvRmT2_T3_mT4_P12ihipStream_tbEUlT_E_NS1_11comp_targetILNS1_3genE3ELNS1_11target_archE908ELNS1_3gpuE7ELNS1_3repE0EEENS1_30default_config_static_selectorELNS0_4arch9wavefront6targetE1EEEvT1_
	.p2align	8
	.type	_ZN7rocprim17ROCPRIM_400000_NS6detail17trampoline_kernelINS0_14default_configENS1_35adjacent_difference_config_selectorILb0EdEEZNS1_24adjacent_difference_implIS3_Lb0ELb0EPdS7_N6thrust23THRUST_200600_302600_NS4plusIdEEEE10hipError_tPvRmT2_T3_mT4_P12ihipStream_tbEUlT_E_NS1_11comp_targetILNS1_3genE3ELNS1_11target_archE908ELNS1_3gpuE7ELNS1_3repE0EEENS1_30default_config_static_selectorELNS0_4arch9wavefront6targetE1EEEvT1_,@function
_ZN7rocprim17ROCPRIM_400000_NS6detail17trampoline_kernelINS0_14default_configENS1_35adjacent_difference_config_selectorILb0EdEEZNS1_24adjacent_difference_implIS3_Lb0ELb0EPdS7_N6thrust23THRUST_200600_302600_NS4plusIdEEEE10hipError_tPvRmT2_T3_mT4_P12ihipStream_tbEUlT_E_NS1_11comp_targetILNS1_3genE3ELNS1_11target_archE908ELNS1_3gpuE7ELNS1_3repE0EEENS1_30default_config_static_selectorELNS0_4arch9wavefront6targetE1EEEvT1_: ; @_ZN7rocprim17ROCPRIM_400000_NS6detail17trampoline_kernelINS0_14default_configENS1_35adjacent_difference_config_selectorILb0EdEEZNS1_24adjacent_difference_implIS3_Lb0ELb0EPdS7_N6thrust23THRUST_200600_302600_NS4plusIdEEEE10hipError_tPvRmT2_T3_mT4_P12ihipStream_tbEUlT_E_NS1_11comp_targetILNS1_3genE3ELNS1_11target_archE908ELNS1_3gpuE7ELNS1_3repE0EEENS1_30default_config_static_selectorELNS0_4arch9wavefront6targetE1EEEvT1_
; %bb.0:
	.section	.rodata,"a",@progbits
	.p2align	6, 0x0
	.amdhsa_kernel _ZN7rocprim17ROCPRIM_400000_NS6detail17trampoline_kernelINS0_14default_configENS1_35adjacent_difference_config_selectorILb0EdEEZNS1_24adjacent_difference_implIS3_Lb0ELb0EPdS7_N6thrust23THRUST_200600_302600_NS4plusIdEEEE10hipError_tPvRmT2_T3_mT4_P12ihipStream_tbEUlT_E_NS1_11comp_targetILNS1_3genE3ELNS1_11target_archE908ELNS1_3gpuE7ELNS1_3repE0EEENS1_30default_config_static_selectorELNS0_4arch9wavefront6targetE1EEEvT1_
		.amdhsa_group_segment_fixed_size 0
		.amdhsa_private_segment_fixed_size 0
		.amdhsa_kernarg_size 56
		.amdhsa_user_sgpr_count 6
		.amdhsa_user_sgpr_private_segment_buffer 1
		.amdhsa_user_sgpr_dispatch_ptr 0
		.amdhsa_user_sgpr_queue_ptr 0
		.amdhsa_user_sgpr_kernarg_segment_ptr 1
		.amdhsa_user_sgpr_dispatch_id 0
		.amdhsa_user_sgpr_flat_scratch_init 0
		.amdhsa_user_sgpr_kernarg_preload_length 0
		.amdhsa_user_sgpr_kernarg_preload_offset 0
		.amdhsa_user_sgpr_private_segment_size 0
		.amdhsa_uses_dynamic_stack 0
		.amdhsa_system_sgpr_private_segment_wavefront_offset 0
		.amdhsa_system_sgpr_workgroup_id_x 1
		.amdhsa_system_sgpr_workgroup_id_y 0
		.amdhsa_system_sgpr_workgroup_id_z 0
		.amdhsa_system_sgpr_workgroup_info 0
		.amdhsa_system_vgpr_workitem_id 0
		.amdhsa_next_free_vgpr 1
		.amdhsa_next_free_sgpr 0
		.amdhsa_accum_offset 4
		.amdhsa_reserve_vcc 0
		.amdhsa_reserve_flat_scratch 0
		.amdhsa_float_round_mode_32 0
		.amdhsa_float_round_mode_16_64 0
		.amdhsa_float_denorm_mode_32 3
		.amdhsa_float_denorm_mode_16_64 3
		.amdhsa_dx10_clamp 1
		.amdhsa_ieee_mode 1
		.amdhsa_fp16_overflow 0
		.amdhsa_tg_split 0
		.amdhsa_exception_fp_ieee_invalid_op 0
		.amdhsa_exception_fp_denorm_src 0
		.amdhsa_exception_fp_ieee_div_zero 0
		.amdhsa_exception_fp_ieee_overflow 0
		.amdhsa_exception_fp_ieee_underflow 0
		.amdhsa_exception_fp_ieee_inexact 0
		.amdhsa_exception_int_div_zero 0
	.end_amdhsa_kernel
	.section	.text._ZN7rocprim17ROCPRIM_400000_NS6detail17trampoline_kernelINS0_14default_configENS1_35adjacent_difference_config_selectorILb0EdEEZNS1_24adjacent_difference_implIS3_Lb0ELb0EPdS7_N6thrust23THRUST_200600_302600_NS4plusIdEEEE10hipError_tPvRmT2_T3_mT4_P12ihipStream_tbEUlT_E_NS1_11comp_targetILNS1_3genE3ELNS1_11target_archE908ELNS1_3gpuE7ELNS1_3repE0EEENS1_30default_config_static_selectorELNS0_4arch9wavefront6targetE1EEEvT1_,"axG",@progbits,_ZN7rocprim17ROCPRIM_400000_NS6detail17trampoline_kernelINS0_14default_configENS1_35adjacent_difference_config_selectorILb0EdEEZNS1_24adjacent_difference_implIS3_Lb0ELb0EPdS7_N6thrust23THRUST_200600_302600_NS4plusIdEEEE10hipError_tPvRmT2_T3_mT4_P12ihipStream_tbEUlT_E_NS1_11comp_targetILNS1_3genE3ELNS1_11target_archE908ELNS1_3gpuE7ELNS1_3repE0EEENS1_30default_config_static_selectorELNS0_4arch9wavefront6targetE1EEEvT1_,comdat
.Lfunc_end445:
	.size	_ZN7rocprim17ROCPRIM_400000_NS6detail17trampoline_kernelINS0_14default_configENS1_35adjacent_difference_config_selectorILb0EdEEZNS1_24adjacent_difference_implIS3_Lb0ELb0EPdS7_N6thrust23THRUST_200600_302600_NS4plusIdEEEE10hipError_tPvRmT2_T3_mT4_P12ihipStream_tbEUlT_E_NS1_11comp_targetILNS1_3genE3ELNS1_11target_archE908ELNS1_3gpuE7ELNS1_3repE0EEENS1_30default_config_static_selectorELNS0_4arch9wavefront6targetE1EEEvT1_, .Lfunc_end445-_ZN7rocprim17ROCPRIM_400000_NS6detail17trampoline_kernelINS0_14default_configENS1_35adjacent_difference_config_selectorILb0EdEEZNS1_24adjacent_difference_implIS3_Lb0ELb0EPdS7_N6thrust23THRUST_200600_302600_NS4plusIdEEEE10hipError_tPvRmT2_T3_mT4_P12ihipStream_tbEUlT_E_NS1_11comp_targetILNS1_3genE3ELNS1_11target_archE908ELNS1_3gpuE7ELNS1_3repE0EEENS1_30default_config_static_selectorELNS0_4arch9wavefront6targetE1EEEvT1_
                                        ; -- End function
	.section	.AMDGPU.csdata,"",@progbits
; Kernel info:
; codeLenInByte = 0
; NumSgprs: 4
; NumVgprs: 0
; NumAgprs: 0
; TotalNumVgprs: 0
; ScratchSize: 0
; MemoryBound: 0
; FloatMode: 240
; IeeeMode: 1
; LDSByteSize: 0 bytes/workgroup (compile time only)
; SGPRBlocks: 0
; VGPRBlocks: 0
; NumSGPRsForWavesPerEU: 4
; NumVGPRsForWavesPerEU: 1
; AccumOffset: 4
; Occupancy: 8
; WaveLimiterHint : 0
; COMPUTE_PGM_RSRC2:SCRATCH_EN: 0
; COMPUTE_PGM_RSRC2:USER_SGPR: 6
; COMPUTE_PGM_RSRC2:TRAP_HANDLER: 0
; COMPUTE_PGM_RSRC2:TGID_X_EN: 1
; COMPUTE_PGM_RSRC2:TGID_Y_EN: 0
; COMPUTE_PGM_RSRC2:TGID_Z_EN: 0
; COMPUTE_PGM_RSRC2:TIDIG_COMP_CNT: 0
; COMPUTE_PGM_RSRC3_GFX90A:ACCUM_OFFSET: 0
; COMPUTE_PGM_RSRC3_GFX90A:TG_SPLIT: 0
	.section	.text._ZN7rocprim17ROCPRIM_400000_NS6detail17trampoline_kernelINS0_14default_configENS1_35adjacent_difference_config_selectorILb0EdEEZNS1_24adjacent_difference_implIS3_Lb0ELb0EPdS7_N6thrust23THRUST_200600_302600_NS4plusIdEEEE10hipError_tPvRmT2_T3_mT4_P12ihipStream_tbEUlT_E_NS1_11comp_targetILNS1_3genE2ELNS1_11target_archE906ELNS1_3gpuE6ELNS1_3repE0EEENS1_30default_config_static_selectorELNS0_4arch9wavefront6targetE1EEEvT1_,"axG",@progbits,_ZN7rocprim17ROCPRIM_400000_NS6detail17trampoline_kernelINS0_14default_configENS1_35adjacent_difference_config_selectorILb0EdEEZNS1_24adjacent_difference_implIS3_Lb0ELb0EPdS7_N6thrust23THRUST_200600_302600_NS4plusIdEEEE10hipError_tPvRmT2_T3_mT4_P12ihipStream_tbEUlT_E_NS1_11comp_targetILNS1_3genE2ELNS1_11target_archE906ELNS1_3gpuE6ELNS1_3repE0EEENS1_30default_config_static_selectorELNS0_4arch9wavefront6targetE1EEEvT1_,comdat
	.protected	_ZN7rocprim17ROCPRIM_400000_NS6detail17trampoline_kernelINS0_14default_configENS1_35adjacent_difference_config_selectorILb0EdEEZNS1_24adjacent_difference_implIS3_Lb0ELb0EPdS7_N6thrust23THRUST_200600_302600_NS4plusIdEEEE10hipError_tPvRmT2_T3_mT4_P12ihipStream_tbEUlT_E_NS1_11comp_targetILNS1_3genE2ELNS1_11target_archE906ELNS1_3gpuE6ELNS1_3repE0EEENS1_30default_config_static_selectorELNS0_4arch9wavefront6targetE1EEEvT1_ ; -- Begin function _ZN7rocprim17ROCPRIM_400000_NS6detail17trampoline_kernelINS0_14default_configENS1_35adjacent_difference_config_selectorILb0EdEEZNS1_24adjacent_difference_implIS3_Lb0ELb0EPdS7_N6thrust23THRUST_200600_302600_NS4plusIdEEEE10hipError_tPvRmT2_T3_mT4_P12ihipStream_tbEUlT_E_NS1_11comp_targetILNS1_3genE2ELNS1_11target_archE906ELNS1_3gpuE6ELNS1_3repE0EEENS1_30default_config_static_selectorELNS0_4arch9wavefront6targetE1EEEvT1_
	.globl	_ZN7rocprim17ROCPRIM_400000_NS6detail17trampoline_kernelINS0_14default_configENS1_35adjacent_difference_config_selectorILb0EdEEZNS1_24adjacent_difference_implIS3_Lb0ELb0EPdS7_N6thrust23THRUST_200600_302600_NS4plusIdEEEE10hipError_tPvRmT2_T3_mT4_P12ihipStream_tbEUlT_E_NS1_11comp_targetILNS1_3genE2ELNS1_11target_archE906ELNS1_3gpuE6ELNS1_3repE0EEENS1_30default_config_static_selectorELNS0_4arch9wavefront6targetE1EEEvT1_
	.p2align	8
	.type	_ZN7rocprim17ROCPRIM_400000_NS6detail17trampoline_kernelINS0_14default_configENS1_35adjacent_difference_config_selectorILb0EdEEZNS1_24adjacent_difference_implIS3_Lb0ELb0EPdS7_N6thrust23THRUST_200600_302600_NS4plusIdEEEE10hipError_tPvRmT2_T3_mT4_P12ihipStream_tbEUlT_E_NS1_11comp_targetILNS1_3genE2ELNS1_11target_archE906ELNS1_3gpuE6ELNS1_3repE0EEENS1_30default_config_static_selectorELNS0_4arch9wavefront6targetE1EEEvT1_,@function
_ZN7rocprim17ROCPRIM_400000_NS6detail17trampoline_kernelINS0_14default_configENS1_35adjacent_difference_config_selectorILb0EdEEZNS1_24adjacent_difference_implIS3_Lb0ELb0EPdS7_N6thrust23THRUST_200600_302600_NS4plusIdEEEE10hipError_tPvRmT2_T3_mT4_P12ihipStream_tbEUlT_E_NS1_11comp_targetILNS1_3genE2ELNS1_11target_archE906ELNS1_3gpuE6ELNS1_3repE0EEENS1_30default_config_static_selectorELNS0_4arch9wavefront6targetE1EEEvT1_: ; @_ZN7rocprim17ROCPRIM_400000_NS6detail17trampoline_kernelINS0_14default_configENS1_35adjacent_difference_config_selectorILb0EdEEZNS1_24adjacent_difference_implIS3_Lb0ELb0EPdS7_N6thrust23THRUST_200600_302600_NS4plusIdEEEE10hipError_tPvRmT2_T3_mT4_P12ihipStream_tbEUlT_E_NS1_11comp_targetILNS1_3genE2ELNS1_11target_archE906ELNS1_3gpuE6ELNS1_3repE0EEENS1_30default_config_static_selectorELNS0_4arch9wavefront6targetE1EEEvT1_
; %bb.0:
	.section	.rodata,"a",@progbits
	.p2align	6, 0x0
	.amdhsa_kernel _ZN7rocprim17ROCPRIM_400000_NS6detail17trampoline_kernelINS0_14default_configENS1_35adjacent_difference_config_selectorILb0EdEEZNS1_24adjacent_difference_implIS3_Lb0ELb0EPdS7_N6thrust23THRUST_200600_302600_NS4plusIdEEEE10hipError_tPvRmT2_T3_mT4_P12ihipStream_tbEUlT_E_NS1_11comp_targetILNS1_3genE2ELNS1_11target_archE906ELNS1_3gpuE6ELNS1_3repE0EEENS1_30default_config_static_selectorELNS0_4arch9wavefront6targetE1EEEvT1_
		.amdhsa_group_segment_fixed_size 0
		.amdhsa_private_segment_fixed_size 0
		.amdhsa_kernarg_size 56
		.amdhsa_user_sgpr_count 6
		.amdhsa_user_sgpr_private_segment_buffer 1
		.amdhsa_user_sgpr_dispatch_ptr 0
		.amdhsa_user_sgpr_queue_ptr 0
		.amdhsa_user_sgpr_kernarg_segment_ptr 1
		.amdhsa_user_sgpr_dispatch_id 0
		.amdhsa_user_sgpr_flat_scratch_init 0
		.amdhsa_user_sgpr_kernarg_preload_length 0
		.amdhsa_user_sgpr_kernarg_preload_offset 0
		.amdhsa_user_sgpr_private_segment_size 0
		.amdhsa_uses_dynamic_stack 0
		.amdhsa_system_sgpr_private_segment_wavefront_offset 0
		.amdhsa_system_sgpr_workgroup_id_x 1
		.amdhsa_system_sgpr_workgroup_id_y 0
		.amdhsa_system_sgpr_workgroup_id_z 0
		.amdhsa_system_sgpr_workgroup_info 0
		.amdhsa_system_vgpr_workitem_id 0
		.amdhsa_next_free_vgpr 1
		.amdhsa_next_free_sgpr 0
		.amdhsa_accum_offset 4
		.amdhsa_reserve_vcc 0
		.amdhsa_reserve_flat_scratch 0
		.amdhsa_float_round_mode_32 0
		.amdhsa_float_round_mode_16_64 0
		.amdhsa_float_denorm_mode_32 3
		.amdhsa_float_denorm_mode_16_64 3
		.amdhsa_dx10_clamp 1
		.amdhsa_ieee_mode 1
		.amdhsa_fp16_overflow 0
		.amdhsa_tg_split 0
		.amdhsa_exception_fp_ieee_invalid_op 0
		.amdhsa_exception_fp_denorm_src 0
		.amdhsa_exception_fp_ieee_div_zero 0
		.amdhsa_exception_fp_ieee_overflow 0
		.amdhsa_exception_fp_ieee_underflow 0
		.amdhsa_exception_fp_ieee_inexact 0
		.amdhsa_exception_int_div_zero 0
	.end_amdhsa_kernel
	.section	.text._ZN7rocprim17ROCPRIM_400000_NS6detail17trampoline_kernelINS0_14default_configENS1_35adjacent_difference_config_selectorILb0EdEEZNS1_24adjacent_difference_implIS3_Lb0ELb0EPdS7_N6thrust23THRUST_200600_302600_NS4plusIdEEEE10hipError_tPvRmT2_T3_mT4_P12ihipStream_tbEUlT_E_NS1_11comp_targetILNS1_3genE2ELNS1_11target_archE906ELNS1_3gpuE6ELNS1_3repE0EEENS1_30default_config_static_selectorELNS0_4arch9wavefront6targetE1EEEvT1_,"axG",@progbits,_ZN7rocprim17ROCPRIM_400000_NS6detail17trampoline_kernelINS0_14default_configENS1_35adjacent_difference_config_selectorILb0EdEEZNS1_24adjacent_difference_implIS3_Lb0ELb0EPdS7_N6thrust23THRUST_200600_302600_NS4plusIdEEEE10hipError_tPvRmT2_T3_mT4_P12ihipStream_tbEUlT_E_NS1_11comp_targetILNS1_3genE2ELNS1_11target_archE906ELNS1_3gpuE6ELNS1_3repE0EEENS1_30default_config_static_selectorELNS0_4arch9wavefront6targetE1EEEvT1_,comdat
.Lfunc_end446:
	.size	_ZN7rocprim17ROCPRIM_400000_NS6detail17trampoline_kernelINS0_14default_configENS1_35adjacent_difference_config_selectorILb0EdEEZNS1_24adjacent_difference_implIS3_Lb0ELb0EPdS7_N6thrust23THRUST_200600_302600_NS4plusIdEEEE10hipError_tPvRmT2_T3_mT4_P12ihipStream_tbEUlT_E_NS1_11comp_targetILNS1_3genE2ELNS1_11target_archE906ELNS1_3gpuE6ELNS1_3repE0EEENS1_30default_config_static_selectorELNS0_4arch9wavefront6targetE1EEEvT1_, .Lfunc_end446-_ZN7rocprim17ROCPRIM_400000_NS6detail17trampoline_kernelINS0_14default_configENS1_35adjacent_difference_config_selectorILb0EdEEZNS1_24adjacent_difference_implIS3_Lb0ELb0EPdS7_N6thrust23THRUST_200600_302600_NS4plusIdEEEE10hipError_tPvRmT2_T3_mT4_P12ihipStream_tbEUlT_E_NS1_11comp_targetILNS1_3genE2ELNS1_11target_archE906ELNS1_3gpuE6ELNS1_3repE0EEENS1_30default_config_static_selectorELNS0_4arch9wavefront6targetE1EEEvT1_
                                        ; -- End function
	.section	.AMDGPU.csdata,"",@progbits
; Kernel info:
; codeLenInByte = 0
; NumSgprs: 4
; NumVgprs: 0
; NumAgprs: 0
; TotalNumVgprs: 0
; ScratchSize: 0
; MemoryBound: 0
; FloatMode: 240
; IeeeMode: 1
; LDSByteSize: 0 bytes/workgroup (compile time only)
; SGPRBlocks: 0
; VGPRBlocks: 0
; NumSGPRsForWavesPerEU: 4
; NumVGPRsForWavesPerEU: 1
; AccumOffset: 4
; Occupancy: 8
; WaveLimiterHint : 0
; COMPUTE_PGM_RSRC2:SCRATCH_EN: 0
; COMPUTE_PGM_RSRC2:USER_SGPR: 6
; COMPUTE_PGM_RSRC2:TRAP_HANDLER: 0
; COMPUTE_PGM_RSRC2:TGID_X_EN: 1
; COMPUTE_PGM_RSRC2:TGID_Y_EN: 0
; COMPUTE_PGM_RSRC2:TGID_Z_EN: 0
; COMPUTE_PGM_RSRC2:TIDIG_COMP_CNT: 0
; COMPUTE_PGM_RSRC3_GFX90A:ACCUM_OFFSET: 0
; COMPUTE_PGM_RSRC3_GFX90A:TG_SPLIT: 0
	.section	.text._ZN7rocprim17ROCPRIM_400000_NS6detail17trampoline_kernelINS0_14default_configENS1_35adjacent_difference_config_selectorILb0EdEEZNS1_24adjacent_difference_implIS3_Lb0ELb0EPdS7_N6thrust23THRUST_200600_302600_NS4plusIdEEEE10hipError_tPvRmT2_T3_mT4_P12ihipStream_tbEUlT_E_NS1_11comp_targetILNS1_3genE9ELNS1_11target_archE1100ELNS1_3gpuE3ELNS1_3repE0EEENS1_30default_config_static_selectorELNS0_4arch9wavefront6targetE1EEEvT1_,"axG",@progbits,_ZN7rocprim17ROCPRIM_400000_NS6detail17trampoline_kernelINS0_14default_configENS1_35adjacent_difference_config_selectorILb0EdEEZNS1_24adjacent_difference_implIS3_Lb0ELb0EPdS7_N6thrust23THRUST_200600_302600_NS4plusIdEEEE10hipError_tPvRmT2_T3_mT4_P12ihipStream_tbEUlT_E_NS1_11comp_targetILNS1_3genE9ELNS1_11target_archE1100ELNS1_3gpuE3ELNS1_3repE0EEENS1_30default_config_static_selectorELNS0_4arch9wavefront6targetE1EEEvT1_,comdat
	.protected	_ZN7rocprim17ROCPRIM_400000_NS6detail17trampoline_kernelINS0_14default_configENS1_35adjacent_difference_config_selectorILb0EdEEZNS1_24adjacent_difference_implIS3_Lb0ELb0EPdS7_N6thrust23THRUST_200600_302600_NS4plusIdEEEE10hipError_tPvRmT2_T3_mT4_P12ihipStream_tbEUlT_E_NS1_11comp_targetILNS1_3genE9ELNS1_11target_archE1100ELNS1_3gpuE3ELNS1_3repE0EEENS1_30default_config_static_selectorELNS0_4arch9wavefront6targetE1EEEvT1_ ; -- Begin function _ZN7rocprim17ROCPRIM_400000_NS6detail17trampoline_kernelINS0_14default_configENS1_35adjacent_difference_config_selectorILb0EdEEZNS1_24adjacent_difference_implIS3_Lb0ELb0EPdS7_N6thrust23THRUST_200600_302600_NS4plusIdEEEE10hipError_tPvRmT2_T3_mT4_P12ihipStream_tbEUlT_E_NS1_11comp_targetILNS1_3genE9ELNS1_11target_archE1100ELNS1_3gpuE3ELNS1_3repE0EEENS1_30default_config_static_selectorELNS0_4arch9wavefront6targetE1EEEvT1_
	.globl	_ZN7rocprim17ROCPRIM_400000_NS6detail17trampoline_kernelINS0_14default_configENS1_35adjacent_difference_config_selectorILb0EdEEZNS1_24adjacent_difference_implIS3_Lb0ELb0EPdS7_N6thrust23THRUST_200600_302600_NS4plusIdEEEE10hipError_tPvRmT2_T3_mT4_P12ihipStream_tbEUlT_E_NS1_11comp_targetILNS1_3genE9ELNS1_11target_archE1100ELNS1_3gpuE3ELNS1_3repE0EEENS1_30default_config_static_selectorELNS0_4arch9wavefront6targetE1EEEvT1_
	.p2align	8
	.type	_ZN7rocprim17ROCPRIM_400000_NS6detail17trampoline_kernelINS0_14default_configENS1_35adjacent_difference_config_selectorILb0EdEEZNS1_24adjacent_difference_implIS3_Lb0ELb0EPdS7_N6thrust23THRUST_200600_302600_NS4plusIdEEEE10hipError_tPvRmT2_T3_mT4_P12ihipStream_tbEUlT_E_NS1_11comp_targetILNS1_3genE9ELNS1_11target_archE1100ELNS1_3gpuE3ELNS1_3repE0EEENS1_30default_config_static_selectorELNS0_4arch9wavefront6targetE1EEEvT1_,@function
_ZN7rocprim17ROCPRIM_400000_NS6detail17trampoline_kernelINS0_14default_configENS1_35adjacent_difference_config_selectorILb0EdEEZNS1_24adjacent_difference_implIS3_Lb0ELb0EPdS7_N6thrust23THRUST_200600_302600_NS4plusIdEEEE10hipError_tPvRmT2_T3_mT4_P12ihipStream_tbEUlT_E_NS1_11comp_targetILNS1_3genE9ELNS1_11target_archE1100ELNS1_3gpuE3ELNS1_3repE0EEENS1_30default_config_static_selectorELNS0_4arch9wavefront6targetE1EEEvT1_: ; @_ZN7rocprim17ROCPRIM_400000_NS6detail17trampoline_kernelINS0_14default_configENS1_35adjacent_difference_config_selectorILb0EdEEZNS1_24adjacent_difference_implIS3_Lb0ELb0EPdS7_N6thrust23THRUST_200600_302600_NS4plusIdEEEE10hipError_tPvRmT2_T3_mT4_P12ihipStream_tbEUlT_E_NS1_11comp_targetILNS1_3genE9ELNS1_11target_archE1100ELNS1_3gpuE3ELNS1_3repE0EEENS1_30default_config_static_selectorELNS0_4arch9wavefront6targetE1EEEvT1_
; %bb.0:
	.section	.rodata,"a",@progbits
	.p2align	6, 0x0
	.amdhsa_kernel _ZN7rocprim17ROCPRIM_400000_NS6detail17trampoline_kernelINS0_14default_configENS1_35adjacent_difference_config_selectorILb0EdEEZNS1_24adjacent_difference_implIS3_Lb0ELb0EPdS7_N6thrust23THRUST_200600_302600_NS4plusIdEEEE10hipError_tPvRmT2_T3_mT4_P12ihipStream_tbEUlT_E_NS1_11comp_targetILNS1_3genE9ELNS1_11target_archE1100ELNS1_3gpuE3ELNS1_3repE0EEENS1_30default_config_static_selectorELNS0_4arch9wavefront6targetE1EEEvT1_
		.amdhsa_group_segment_fixed_size 0
		.amdhsa_private_segment_fixed_size 0
		.amdhsa_kernarg_size 56
		.amdhsa_user_sgpr_count 6
		.amdhsa_user_sgpr_private_segment_buffer 1
		.amdhsa_user_sgpr_dispatch_ptr 0
		.amdhsa_user_sgpr_queue_ptr 0
		.amdhsa_user_sgpr_kernarg_segment_ptr 1
		.amdhsa_user_sgpr_dispatch_id 0
		.amdhsa_user_sgpr_flat_scratch_init 0
		.amdhsa_user_sgpr_kernarg_preload_length 0
		.amdhsa_user_sgpr_kernarg_preload_offset 0
		.amdhsa_user_sgpr_private_segment_size 0
		.amdhsa_uses_dynamic_stack 0
		.amdhsa_system_sgpr_private_segment_wavefront_offset 0
		.amdhsa_system_sgpr_workgroup_id_x 1
		.amdhsa_system_sgpr_workgroup_id_y 0
		.amdhsa_system_sgpr_workgroup_id_z 0
		.amdhsa_system_sgpr_workgroup_info 0
		.amdhsa_system_vgpr_workitem_id 0
		.amdhsa_next_free_vgpr 1
		.amdhsa_next_free_sgpr 0
		.amdhsa_accum_offset 4
		.amdhsa_reserve_vcc 0
		.amdhsa_reserve_flat_scratch 0
		.amdhsa_float_round_mode_32 0
		.amdhsa_float_round_mode_16_64 0
		.amdhsa_float_denorm_mode_32 3
		.amdhsa_float_denorm_mode_16_64 3
		.amdhsa_dx10_clamp 1
		.amdhsa_ieee_mode 1
		.amdhsa_fp16_overflow 0
		.amdhsa_tg_split 0
		.amdhsa_exception_fp_ieee_invalid_op 0
		.amdhsa_exception_fp_denorm_src 0
		.amdhsa_exception_fp_ieee_div_zero 0
		.amdhsa_exception_fp_ieee_overflow 0
		.amdhsa_exception_fp_ieee_underflow 0
		.amdhsa_exception_fp_ieee_inexact 0
		.amdhsa_exception_int_div_zero 0
	.end_amdhsa_kernel
	.section	.text._ZN7rocprim17ROCPRIM_400000_NS6detail17trampoline_kernelINS0_14default_configENS1_35adjacent_difference_config_selectorILb0EdEEZNS1_24adjacent_difference_implIS3_Lb0ELb0EPdS7_N6thrust23THRUST_200600_302600_NS4plusIdEEEE10hipError_tPvRmT2_T3_mT4_P12ihipStream_tbEUlT_E_NS1_11comp_targetILNS1_3genE9ELNS1_11target_archE1100ELNS1_3gpuE3ELNS1_3repE0EEENS1_30default_config_static_selectorELNS0_4arch9wavefront6targetE1EEEvT1_,"axG",@progbits,_ZN7rocprim17ROCPRIM_400000_NS6detail17trampoline_kernelINS0_14default_configENS1_35adjacent_difference_config_selectorILb0EdEEZNS1_24adjacent_difference_implIS3_Lb0ELb0EPdS7_N6thrust23THRUST_200600_302600_NS4plusIdEEEE10hipError_tPvRmT2_T3_mT4_P12ihipStream_tbEUlT_E_NS1_11comp_targetILNS1_3genE9ELNS1_11target_archE1100ELNS1_3gpuE3ELNS1_3repE0EEENS1_30default_config_static_selectorELNS0_4arch9wavefront6targetE1EEEvT1_,comdat
.Lfunc_end447:
	.size	_ZN7rocprim17ROCPRIM_400000_NS6detail17trampoline_kernelINS0_14default_configENS1_35adjacent_difference_config_selectorILb0EdEEZNS1_24adjacent_difference_implIS3_Lb0ELb0EPdS7_N6thrust23THRUST_200600_302600_NS4plusIdEEEE10hipError_tPvRmT2_T3_mT4_P12ihipStream_tbEUlT_E_NS1_11comp_targetILNS1_3genE9ELNS1_11target_archE1100ELNS1_3gpuE3ELNS1_3repE0EEENS1_30default_config_static_selectorELNS0_4arch9wavefront6targetE1EEEvT1_, .Lfunc_end447-_ZN7rocprim17ROCPRIM_400000_NS6detail17trampoline_kernelINS0_14default_configENS1_35adjacent_difference_config_selectorILb0EdEEZNS1_24adjacent_difference_implIS3_Lb0ELb0EPdS7_N6thrust23THRUST_200600_302600_NS4plusIdEEEE10hipError_tPvRmT2_T3_mT4_P12ihipStream_tbEUlT_E_NS1_11comp_targetILNS1_3genE9ELNS1_11target_archE1100ELNS1_3gpuE3ELNS1_3repE0EEENS1_30default_config_static_selectorELNS0_4arch9wavefront6targetE1EEEvT1_
                                        ; -- End function
	.section	.AMDGPU.csdata,"",@progbits
; Kernel info:
; codeLenInByte = 0
; NumSgprs: 4
; NumVgprs: 0
; NumAgprs: 0
; TotalNumVgprs: 0
; ScratchSize: 0
; MemoryBound: 0
; FloatMode: 240
; IeeeMode: 1
; LDSByteSize: 0 bytes/workgroup (compile time only)
; SGPRBlocks: 0
; VGPRBlocks: 0
; NumSGPRsForWavesPerEU: 4
; NumVGPRsForWavesPerEU: 1
; AccumOffset: 4
; Occupancy: 8
; WaveLimiterHint : 0
; COMPUTE_PGM_RSRC2:SCRATCH_EN: 0
; COMPUTE_PGM_RSRC2:USER_SGPR: 6
; COMPUTE_PGM_RSRC2:TRAP_HANDLER: 0
; COMPUTE_PGM_RSRC2:TGID_X_EN: 1
; COMPUTE_PGM_RSRC2:TGID_Y_EN: 0
; COMPUTE_PGM_RSRC2:TGID_Z_EN: 0
; COMPUTE_PGM_RSRC2:TIDIG_COMP_CNT: 0
; COMPUTE_PGM_RSRC3_GFX90A:ACCUM_OFFSET: 0
; COMPUTE_PGM_RSRC3_GFX90A:TG_SPLIT: 0
	.section	.text._ZN7rocprim17ROCPRIM_400000_NS6detail17trampoline_kernelINS0_14default_configENS1_35adjacent_difference_config_selectorILb0EdEEZNS1_24adjacent_difference_implIS3_Lb0ELb0EPdS7_N6thrust23THRUST_200600_302600_NS4plusIdEEEE10hipError_tPvRmT2_T3_mT4_P12ihipStream_tbEUlT_E_NS1_11comp_targetILNS1_3genE8ELNS1_11target_archE1030ELNS1_3gpuE2ELNS1_3repE0EEENS1_30default_config_static_selectorELNS0_4arch9wavefront6targetE1EEEvT1_,"axG",@progbits,_ZN7rocprim17ROCPRIM_400000_NS6detail17trampoline_kernelINS0_14default_configENS1_35adjacent_difference_config_selectorILb0EdEEZNS1_24adjacent_difference_implIS3_Lb0ELb0EPdS7_N6thrust23THRUST_200600_302600_NS4plusIdEEEE10hipError_tPvRmT2_T3_mT4_P12ihipStream_tbEUlT_E_NS1_11comp_targetILNS1_3genE8ELNS1_11target_archE1030ELNS1_3gpuE2ELNS1_3repE0EEENS1_30default_config_static_selectorELNS0_4arch9wavefront6targetE1EEEvT1_,comdat
	.protected	_ZN7rocprim17ROCPRIM_400000_NS6detail17trampoline_kernelINS0_14default_configENS1_35adjacent_difference_config_selectorILb0EdEEZNS1_24adjacent_difference_implIS3_Lb0ELb0EPdS7_N6thrust23THRUST_200600_302600_NS4plusIdEEEE10hipError_tPvRmT2_T3_mT4_P12ihipStream_tbEUlT_E_NS1_11comp_targetILNS1_3genE8ELNS1_11target_archE1030ELNS1_3gpuE2ELNS1_3repE0EEENS1_30default_config_static_selectorELNS0_4arch9wavefront6targetE1EEEvT1_ ; -- Begin function _ZN7rocprim17ROCPRIM_400000_NS6detail17trampoline_kernelINS0_14default_configENS1_35adjacent_difference_config_selectorILb0EdEEZNS1_24adjacent_difference_implIS3_Lb0ELb0EPdS7_N6thrust23THRUST_200600_302600_NS4plusIdEEEE10hipError_tPvRmT2_T3_mT4_P12ihipStream_tbEUlT_E_NS1_11comp_targetILNS1_3genE8ELNS1_11target_archE1030ELNS1_3gpuE2ELNS1_3repE0EEENS1_30default_config_static_selectorELNS0_4arch9wavefront6targetE1EEEvT1_
	.globl	_ZN7rocprim17ROCPRIM_400000_NS6detail17trampoline_kernelINS0_14default_configENS1_35adjacent_difference_config_selectorILb0EdEEZNS1_24adjacent_difference_implIS3_Lb0ELb0EPdS7_N6thrust23THRUST_200600_302600_NS4plusIdEEEE10hipError_tPvRmT2_T3_mT4_P12ihipStream_tbEUlT_E_NS1_11comp_targetILNS1_3genE8ELNS1_11target_archE1030ELNS1_3gpuE2ELNS1_3repE0EEENS1_30default_config_static_selectorELNS0_4arch9wavefront6targetE1EEEvT1_
	.p2align	8
	.type	_ZN7rocprim17ROCPRIM_400000_NS6detail17trampoline_kernelINS0_14default_configENS1_35adjacent_difference_config_selectorILb0EdEEZNS1_24adjacent_difference_implIS3_Lb0ELb0EPdS7_N6thrust23THRUST_200600_302600_NS4plusIdEEEE10hipError_tPvRmT2_T3_mT4_P12ihipStream_tbEUlT_E_NS1_11comp_targetILNS1_3genE8ELNS1_11target_archE1030ELNS1_3gpuE2ELNS1_3repE0EEENS1_30default_config_static_selectorELNS0_4arch9wavefront6targetE1EEEvT1_,@function
_ZN7rocprim17ROCPRIM_400000_NS6detail17trampoline_kernelINS0_14default_configENS1_35adjacent_difference_config_selectorILb0EdEEZNS1_24adjacent_difference_implIS3_Lb0ELb0EPdS7_N6thrust23THRUST_200600_302600_NS4plusIdEEEE10hipError_tPvRmT2_T3_mT4_P12ihipStream_tbEUlT_E_NS1_11comp_targetILNS1_3genE8ELNS1_11target_archE1030ELNS1_3gpuE2ELNS1_3repE0EEENS1_30default_config_static_selectorELNS0_4arch9wavefront6targetE1EEEvT1_: ; @_ZN7rocprim17ROCPRIM_400000_NS6detail17trampoline_kernelINS0_14default_configENS1_35adjacent_difference_config_selectorILb0EdEEZNS1_24adjacent_difference_implIS3_Lb0ELb0EPdS7_N6thrust23THRUST_200600_302600_NS4plusIdEEEE10hipError_tPvRmT2_T3_mT4_P12ihipStream_tbEUlT_E_NS1_11comp_targetILNS1_3genE8ELNS1_11target_archE1030ELNS1_3gpuE2ELNS1_3repE0EEENS1_30default_config_static_selectorELNS0_4arch9wavefront6targetE1EEEvT1_
; %bb.0:
	.section	.rodata,"a",@progbits
	.p2align	6, 0x0
	.amdhsa_kernel _ZN7rocprim17ROCPRIM_400000_NS6detail17trampoline_kernelINS0_14default_configENS1_35adjacent_difference_config_selectorILb0EdEEZNS1_24adjacent_difference_implIS3_Lb0ELb0EPdS7_N6thrust23THRUST_200600_302600_NS4plusIdEEEE10hipError_tPvRmT2_T3_mT4_P12ihipStream_tbEUlT_E_NS1_11comp_targetILNS1_3genE8ELNS1_11target_archE1030ELNS1_3gpuE2ELNS1_3repE0EEENS1_30default_config_static_selectorELNS0_4arch9wavefront6targetE1EEEvT1_
		.amdhsa_group_segment_fixed_size 0
		.amdhsa_private_segment_fixed_size 0
		.amdhsa_kernarg_size 56
		.amdhsa_user_sgpr_count 6
		.amdhsa_user_sgpr_private_segment_buffer 1
		.amdhsa_user_sgpr_dispatch_ptr 0
		.amdhsa_user_sgpr_queue_ptr 0
		.amdhsa_user_sgpr_kernarg_segment_ptr 1
		.amdhsa_user_sgpr_dispatch_id 0
		.amdhsa_user_sgpr_flat_scratch_init 0
		.amdhsa_user_sgpr_kernarg_preload_length 0
		.amdhsa_user_sgpr_kernarg_preload_offset 0
		.amdhsa_user_sgpr_private_segment_size 0
		.amdhsa_uses_dynamic_stack 0
		.amdhsa_system_sgpr_private_segment_wavefront_offset 0
		.amdhsa_system_sgpr_workgroup_id_x 1
		.amdhsa_system_sgpr_workgroup_id_y 0
		.amdhsa_system_sgpr_workgroup_id_z 0
		.amdhsa_system_sgpr_workgroup_info 0
		.amdhsa_system_vgpr_workitem_id 0
		.amdhsa_next_free_vgpr 1
		.amdhsa_next_free_sgpr 0
		.amdhsa_accum_offset 4
		.amdhsa_reserve_vcc 0
		.amdhsa_reserve_flat_scratch 0
		.amdhsa_float_round_mode_32 0
		.amdhsa_float_round_mode_16_64 0
		.amdhsa_float_denorm_mode_32 3
		.amdhsa_float_denorm_mode_16_64 3
		.amdhsa_dx10_clamp 1
		.amdhsa_ieee_mode 1
		.amdhsa_fp16_overflow 0
		.amdhsa_tg_split 0
		.amdhsa_exception_fp_ieee_invalid_op 0
		.amdhsa_exception_fp_denorm_src 0
		.amdhsa_exception_fp_ieee_div_zero 0
		.amdhsa_exception_fp_ieee_overflow 0
		.amdhsa_exception_fp_ieee_underflow 0
		.amdhsa_exception_fp_ieee_inexact 0
		.amdhsa_exception_int_div_zero 0
	.end_amdhsa_kernel
	.section	.text._ZN7rocprim17ROCPRIM_400000_NS6detail17trampoline_kernelINS0_14default_configENS1_35adjacent_difference_config_selectorILb0EdEEZNS1_24adjacent_difference_implIS3_Lb0ELb0EPdS7_N6thrust23THRUST_200600_302600_NS4plusIdEEEE10hipError_tPvRmT2_T3_mT4_P12ihipStream_tbEUlT_E_NS1_11comp_targetILNS1_3genE8ELNS1_11target_archE1030ELNS1_3gpuE2ELNS1_3repE0EEENS1_30default_config_static_selectorELNS0_4arch9wavefront6targetE1EEEvT1_,"axG",@progbits,_ZN7rocprim17ROCPRIM_400000_NS6detail17trampoline_kernelINS0_14default_configENS1_35adjacent_difference_config_selectorILb0EdEEZNS1_24adjacent_difference_implIS3_Lb0ELb0EPdS7_N6thrust23THRUST_200600_302600_NS4plusIdEEEE10hipError_tPvRmT2_T3_mT4_P12ihipStream_tbEUlT_E_NS1_11comp_targetILNS1_3genE8ELNS1_11target_archE1030ELNS1_3gpuE2ELNS1_3repE0EEENS1_30default_config_static_selectorELNS0_4arch9wavefront6targetE1EEEvT1_,comdat
.Lfunc_end448:
	.size	_ZN7rocprim17ROCPRIM_400000_NS6detail17trampoline_kernelINS0_14default_configENS1_35adjacent_difference_config_selectorILb0EdEEZNS1_24adjacent_difference_implIS3_Lb0ELb0EPdS7_N6thrust23THRUST_200600_302600_NS4plusIdEEEE10hipError_tPvRmT2_T3_mT4_P12ihipStream_tbEUlT_E_NS1_11comp_targetILNS1_3genE8ELNS1_11target_archE1030ELNS1_3gpuE2ELNS1_3repE0EEENS1_30default_config_static_selectorELNS0_4arch9wavefront6targetE1EEEvT1_, .Lfunc_end448-_ZN7rocprim17ROCPRIM_400000_NS6detail17trampoline_kernelINS0_14default_configENS1_35adjacent_difference_config_selectorILb0EdEEZNS1_24adjacent_difference_implIS3_Lb0ELb0EPdS7_N6thrust23THRUST_200600_302600_NS4plusIdEEEE10hipError_tPvRmT2_T3_mT4_P12ihipStream_tbEUlT_E_NS1_11comp_targetILNS1_3genE8ELNS1_11target_archE1030ELNS1_3gpuE2ELNS1_3repE0EEENS1_30default_config_static_selectorELNS0_4arch9wavefront6targetE1EEEvT1_
                                        ; -- End function
	.section	.AMDGPU.csdata,"",@progbits
; Kernel info:
; codeLenInByte = 0
; NumSgprs: 4
; NumVgprs: 0
; NumAgprs: 0
; TotalNumVgprs: 0
; ScratchSize: 0
; MemoryBound: 0
; FloatMode: 240
; IeeeMode: 1
; LDSByteSize: 0 bytes/workgroup (compile time only)
; SGPRBlocks: 0
; VGPRBlocks: 0
; NumSGPRsForWavesPerEU: 4
; NumVGPRsForWavesPerEU: 1
; AccumOffset: 4
; Occupancy: 8
; WaveLimiterHint : 0
; COMPUTE_PGM_RSRC2:SCRATCH_EN: 0
; COMPUTE_PGM_RSRC2:USER_SGPR: 6
; COMPUTE_PGM_RSRC2:TRAP_HANDLER: 0
; COMPUTE_PGM_RSRC2:TGID_X_EN: 1
; COMPUTE_PGM_RSRC2:TGID_Y_EN: 0
; COMPUTE_PGM_RSRC2:TGID_Z_EN: 0
; COMPUTE_PGM_RSRC2:TIDIG_COMP_CNT: 0
; COMPUTE_PGM_RSRC3_GFX90A:ACCUM_OFFSET: 0
; COMPUTE_PGM_RSRC3_GFX90A:TG_SPLIT: 0
	.section	.text._ZN7rocprim17ROCPRIM_400000_NS6detail17trampoline_kernelINS0_14default_configENS1_25transform_config_selectorIdLb0EEEZNS1_14transform_implILb0ES3_S5_NS0_18transform_iteratorINS0_17counting_iteratorImlEEZNS1_24adjacent_difference_implIS3_Lb1ELb0EPdSB_N6thrust23THRUST_200600_302600_NS4plusIdEEEE10hipError_tPvRmT2_T3_mT4_P12ihipStream_tbEUlmE_dEESB_NS0_8identityIvEEEESG_SJ_SK_mSL_SN_bEUlT_E_NS1_11comp_targetILNS1_3genE0ELNS1_11target_archE4294967295ELNS1_3gpuE0ELNS1_3repE0EEENS1_30default_config_static_selectorELNS0_4arch9wavefront6targetE1EEEvT1_,"axG",@progbits,_ZN7rocprim17ROCPRIM_400000_NS6detail17trampoline_kernelINS0_14default_configENS1_25transform_config_selectorIdLb0EEEZNS1_14transform_implILb0ES3_S5_NS0_18transform_iteratorINS0_17counting_iteratorImlEEZNS1_24adjacent_difference_implIS3_Lb1ELb0EPdSB_N6thrust23THRUST_200600_302600_NS4plusIdEEEE10hipError_tPvRmT2_T3_mT4_P12ihipStream_tbEUlmE_dEESB_NS0_8identityIvEEEESG_SJ_SK_mSL_SN_bEUlT_E_NS1_11comp_targetILNS1_3genE0ELNS1_11target_archE4294967295ELNS1_3gpuE0ELNS1_3repE0EEENS1_30default_config_static_selectorELNS0_4arch9wavefront6targetE1EEEvT1_,comdat
	.protected	_ZN7rocprim17ROCPRIM_400000_NS6detail17trampoline_kernelINS0_14default_configENS1_25transform_config_selectorIdLb0EEEZNS1_14transform_implILb0ES3_S5_NS0_18transform_iteratorINS0_17counting_iteratorImlEEZNS1_24adjacent_difference_implIS3_Lb1ELb0EPdSB_N6thrust23THRUST_200600_302600_NS4plusIdEEEE10hipError_tPvRmT2_T3_mT4_P12ihipStream_tbEUlmE_dEESB_NS0_8identityIvEEEESG_SJ_SK_mSL_SN_bEUlT_E_NS1_11comp_targetILNS1_3genE0ELNS1_11target_archE4294967295ELNS1_3gpuE0ELNS1_3repE0EEENS1_30default_config_static_selectorELNS0_4arch9wavefront6targetE1EEEvT1_ ; -- Begin function _ZN7rocprim17ROCPRIM_400000_NS6detail17trampoline_kernelINS0_14default_configENS1_25transform_config_selectorIdLb0EEEZNS1_14transform_implILb0ES3_S5_NS0_18transform_iteratorINS0_17counting_iteratorImlEEZNS1_24adjacent_difference_implIS3_Lb1ELb0EPdSB_N6thrust23THRUST_200600_302600_NS4plusIdEEEE10hipError_tPvRmT2_T3_mT4_P12ihipStream_tbEUlmE_dEESB_NS0_8identityIvEEEESG_SJ_SK_mSL_SN_bEUlT_E_NS1_11comp_targetILNS1_3genE0ELNS1_11target_archE4294967295ELNS1_3gpuE0ELNS1_3repE0EEENS1_30default_config_static_selectorELNS0_4arch9wavefront6targetE1EEEvT1_
	.globl	_ZN7rocprim17ROCPRIM_400000_NS6detail17trampoline_kernelINS0_14default_configENS1_25transform_config_selectorIdLb0EEEZNS1_14transform_implILb0ES3_S5_NS0_18transform_iteratorINS0_17counting_iteratorImlEEZNS1_24adjacent_difference_implIS3_Lb1ELb0EPdSB_N6thrust23THRUST_200600_302600_NS4plusIdEEEE10hipError_tPvRmT2_T3_mT4_P12ihipStream_tbEUlmE_dEESB_NS0_8identityIvEEEESG_SJ_SK_mSL_SN_bEUlT_E_NS1_11comp_targetILNS1_3genE0ELNS1_11target_archE4294967295ELNS1_3gpuE0ELNS1_3repE0EEENS1_30default_config_static_selectorELNS0_4arch9wavefront6targetE1EEEvT1_
	.p2align	8
	.type	_ZN7rocprim17ROCPRIM_400000_NS6detail17trampoline_kernelINS0_14default_configENS1_25transform_config_selectorIdLb0EEEZNS1_14transform_implILb0ES3_S5_NS0_18transform_iteratorINS0_17counting_iteratorImlEEZNS1_24adjacent_difference_implIS3_Lb1ELb0EPdSB_N6thrust23THRUST_200600_302600_NS4plusIdEEEE10hipError_tPvRmT2_T3_mT4_P12ihipStream_tbEUlmE_dEESB_NS0_8identityIvEEEESG_SJ_SK_mSL_SN_bEUlT_E_NS1_11comp_targetILNS1_3genE0ELNS1_11target_archE4294967295ELNS1_3gpuE0ELNS1_3repE0EEENS1_30default_config_static_selectorELNS0_4arch9wavefront6targetE1EEEvT1_,@function
_ZN7rocprim17ROCPRIM_400000_NS6detail17trampoline_kernelINS0_14default_configENS1_25transform_config_selectorIdLb0EEEZNS1_14transform_implILb0ES3_S5_NS0_18transform_iteratorINS0_17counting_iteratorImlEEZNS1_24adjacent_difference_implIS3_Lb1ELb0EPdSB_N6thrust23THRUST_200600_302600_NS4plusIdEEEE10hipError_tPvRmT2_T3_mT4_P12ihipStream_tbEUlmE_dEESB_NS0_8identityIvEEEESG_SJ_SK_mSL_SN_bEUlT_E_NS1_11comp_targetILNS1_3genE0ELNS1_11target_archE4294967295ELNS1_3gpuE0ELNS1_3repE0EEENS1_30default_config_static_selectorELNS0_4arch9wavefront6targetE1EEEvT1_: ; @_ZN7rocprim17ROCPRIM_400000_NS6detail17trampoline_kernelINS0_14default_configENS1_25transform_config_selectorIdLb0EEEZNS1_14transform_implILb0ES3_S5_NS0_18transform_iteratorINS0_17counting_iteratorImlEEZNS1_24adjacent_difference_implIS3_Lb1ELb0EPdSB_N6thrust23THRUST_200600_302600_NS4plusIdEEEE10hipError_tPvRmT2_T3_mT4_P12ihipStream_tbEUlmE_dEESB_NS0_8identityIvEEEESG_SJ_SK_mSL_SN_bEUlT_E_NS1_11comp_targetILNS1_3genE0ELNS1_11target_archE4294967295ELNS1_3gpuE0ELNS1_3repE0EEENS1_30default_config_static_selectorELNS0_4arch9wavefront6targetE1EEEvT1_
; %bb.0:
	.section	.rodata,"a",@progbits
	.p2align	6, 0x0
	.amdhsa_kernel _ZN7rocprim17ROCPRIM_400000_NS6detail17trampoline_kernelINS0_14default_configENS1_25transform_config_selectorIdLb0EEEZNS1_14transform_implILb0ES3_S5_NS0_18transform_iteratorINS0_17counting_iteratorImlEEZNS1_24adjacent_difference_implIS3_Lb1ELb0EPdSB_N6thrust23THRUST_200600_302600_NS4plusIdEEEE10hipError_tPvRmT2_T3_mT4_P12ihipStream_tbEUlmE_dEESB_NS0_8identityIvEEEESG_SJ_SK_mSL_SN_bEUlT_E_NS1_11comp_targetILNS1_3genE0ELNS1_11target_archE4294967295ELNS1_3gpuE0ELNS1_3repE0EEENS1_30default_config_static_selectorELNS0_4arch9wavefront6targetE1EEEvT1_
		.amdhsa_group_segment_fixed_size 0
		.amdhsa_private_segment_fixed_size 0
		.amdhsa_kernarg_size 56
		.amdhsa_user_sgpr_count 6
		.amdhsa_user_sgpr_private_segment_buffer 1
		.amdhsa_user_sgpr_dispatch_ptr 0
		.amdhsa_user_sgpr_queue_ptr 0
		.amdhsa_user_sgpr_kernarg_segment_ptr 1
		.amdhsa_user_sgpr_dispatch_id 0
		.amdhsa_user_sgpr_flat_scratch_init 0
		.amdhsa_user_sgpr_kernarg_preload_length 0
		.amdhsa_user_sgpr_kernarg_preload_offset 0
		.amdhsa_user_sgpr_private_segment_size 0
		.amdhsa_uses_dynamic_stack 0
		.amdhsa_system_sgpr_private_segment_wavefront_offset 0
		.amdhsa_system_sgpr_workgroup_id_x 1
		.amdhsa_system_sgpr_workgroup_id_y 0
		.amdhsa_system_sgpr_workgroup_id_z 0
		.amdhsa_system_sgpr_workgroup_info 0
		.amdhsa_system_vgpr_workitem_id 0
		.amdhsa_next_free_vgpr 1
		.amdhsa_next_free_sgpr 0
		.amdhsa_accum_offset 4
		.amdhsa_reserve_vcc 0
		.amdhsa_reserve_flat_scratch 0
		.amdhsa_float_round_mode_32 0
		.amdhsa_float_round_mode_16_64 0
		.amdhsa_float_denorm_mode_32 3
		.amdhsa_float_denorm_mode_16_64 3
		.amdhsa_dx10_clamp 1
		.amdhsa_ieee_mode 1
		.amdhsa_fp16_overflow 0
		.amdhsa_tg_split 0
		.amdhsa_exception_fp_ieee_invalid_op 0
		.amdhsa_exception_fp_denorm_src 0
		.amdhsa_exception_fp_ieee_div_zero 0
		.amdhsa_exception_fp_ieee_overflow 0
		.amdhsa_exception_fp_ieee_underflow 0
		.amdhsa_exception_fp_ieee_inexact 0
		.amdhsa_exception_int_div_zero 0
	.end_amdhsa_kernel
	.section	.text._ZN7rocprim17ROCPRIM_400000_NS6detail17trampoline_kernelINS0_14default_configENS1_25transform_config_selectorIdLb0EEEZNS1_14transform_implILb0ES3_S5_NS0_18transform_iteratorINS0_17counting_iteratorImlEEZNS1_24adjacent_difference_implIS3_Lb1ELb0EPdSB_N6thrust23THRUST_200600_302600_NS4plusIdEEEE10hipError_tPvRmT2_T3_mT4_P12ihipStream_tbEUlmE_dEESB_NS0_8identityIvEEEESG_SJ_SK_mSL_SN_bEUlT_E_NS1_11comp_targetILNS1_3genE0ELNS1_11target_archE4294967295ELNS1_3gpuE0ELNS1_3repE0EEENS1_30default_config_static_selectorELNS0_4arch9wavefront6targetE1EEEvT1_,"axG",@progbits,_ZN7rocprim17ROCPRIM_400000_NS6detail17trampoline_kernelINS0_14default_configENS1_25transform_config_selectorIdLb0EEEZNS1_14transform_implILb0ES3_S5_NS0_18transform_iteratorINS0_17counting_iteratorImlEEZNS1_24adjacent_difference_implIS3_Lb1ELb0EPdSB_N6thrust23THRUST_200600_302600_NS4plusIdEEEE10hipError_tPvRmT2_T3_mT4_P12ihipStream_tbEUlmE_dEESB_NS0_8identityIvEEEESG_SJ_SK_mSL_SN_bEUlT_E_NS1_11comp_targetILNS1_3genE0ELNS1_11target_archE4294967295ELNS1_3gpuE0ELNS1_3repE0EEENS1_30default_config_static_selectorELNS0_4arch9wavefront6targetE1EEEvT1_,comdat
.Lfunc_end449:
	.size	_ZN7rocprim17ROCPRIM_400000_NS6detail17trampoline_kernelINS0_14default_configENS1_25transform_config_selectorIdLb0EEEZNS1_14transform_implILb0ES3_S5_NS0_18transform_iteratorINS0_17counting_iteratorImlEEZNS1_24adjacent_difference_implIS3_Lb1ELb0EPdSB_N6thrust23THRUST_200600_302600_NS4plusIdEEEE10hipError_tPvRmT2_T3_mT4_P12ihipStream_tbEUlmE_dEESB_NS0_8identityIvEEEESG_SJ_SK_mSL_SN_bEUlT_E_NS1_11comp_targetILNS1_3genE0ELNS1_11target_archE4294967295ELNS1_3gpuE0ELNS1_3repE0EEENS1_30default_config_static_selectorELNS0_4arch9wavefront6targetE1EEEvT1_, .Lfunc_end449-_ZN7rocprim17ROCPRIM_400000_NS6detail17trampoline_kernelINS0_14default_configENS1_25transform_config_selectorIdLb0EEEZNS1_14transform_implILb0ES3_S5_NS0_18transform_iteratorINS0_17counting_iteratorImlEEZNS1_24adjacent_difference_implIS3_Lb1ELb0EPdSB_N6thrust23THRUST_200600_302600_NS4plusIdEEEE10hipError_tPvRmT2_T3_mT4_P12ihipStream_tbEUlmE_dEESB_NS0_8identityIvEEEESG_SJ_SK_mSL_SN_bEUlT_E_NS1_11comp_targetILNS1_3genE0ELNS1_11target_archE4294967295ELNS1_3gpuE0ELNS1_3repE0EEENS1_30default_config_static_selectorELNS0_4arch9wavefront6targetE1EEEvT1_
                                        ; -- End function
	.section	.AMDGPU.csdata,"",@progbits
; Kernel info:
; codeLenInByte = 0
; NumSgprs: 4
; NumVgprs: 0
; NumAgprs: 0
; TotalNumVgprs: 0
; ScratchSize: 0
; MemoryBound: 0
; FloatMode: 240
; IeeeMode: 1
; LDSByteSize: 0 bytes/workgroup (compile time only)
; SGPRBlocks: 0
; VGPRBlocks: 0
; NumSGPRsForWavesPerEU: 4
; NumVGPRsForWavesPerEU: 1
; AccumOffset: 4
; Occupancy: 8
; WaveLimiterHint : 0
; COMPUTE_PGM_RSRC2:SCRATCH_EN: 0
; COMPUTE_PGM_RSRC2:USER_SGPR: 6
; COMPUTE_PGM_RSRC2:TRAP_HANDLER: 0
; COMPUTE_PGM_RSRC2:TGID_X_EN: 1
; COMPUTE_PGM_RSRC2:TGID_Y_EN: 0
; COMPUTE_PGM_RSRC2:TGID_Z_EN: 0
; COMPUTE_PGM_RSRC2:TIDIG_COMP_CNT: 0
; COMPUTE_PGM_RSRC3_GFX90A:ACCUM_OFFSET: 0
; COMPUTE_PGM_RSRC3_GFX90A:TG_SPLIT: 0
	.section	.text._ZN7rocprim17ROCPRIM_400000_NS6detail17trampoline_kernelINS0_14default_configENS1_25transform_config_selectorIdLb0EEEZNS1_14transform_implILb0ES3_S5_NS0_18transform_iteratorINS0_17counting_iteratorImlEEZNS1_24adjacent_difference_implIS3_Lb1ELb0EPdSB_N6thrust23THRUST_200600_302600_NS4plusIdEEEE10hipError_tPvRmT2_T3_mT4_P12ihipStream_tbEUlmE_dEESB_NS0_8identityIvEEEESG_SJ_SK_mSL_SN_bEUlT_E_NS1_11comp_targetILNS1_3genE5ELNS1_11target_archE942ELNS1_3gpuE9ELNS1_3repE0EEENS1_30default_config_static_selectorELNS0_4arch9wavefront6targetE1EEEvT1_,"axG",@progbits,_ZN7rocprim17ROCPRIM_400000_NS6detail17trampoline_kernelINS0_14default_configENS1_25transform_config_selectorIdLb0EEEZNS1_14transform_implILb0ES3_S5_NS0_18transform_iteratorINS0_17counting_iteratorImlEEZNS1_24adjacent_difference_implIS3_Lb1ELb0EPdSB_N6thrust23THRUST_200600_302600_NS4plusIdEEEE10hipError_tPvRmT2_T3_mT4_P12ihipStream_tbEUlmE_dEESB_NS0_8identityIvEEEESG_SJ_SK_mSL_SN_bEUlT_E_NS1_11comp_targetILNS1_3genE5ELNS1_11target_archE942ELNS1_3gpuE9ELNS1_3repE0EEENS1_30default_config_static_selectorELNS0_4arch9wavefront6targetE1EEEvT1_,comdat
	.protected	_ZN7rocprim17ROCPRIM_400000_NS6detail17trampoline_kernelINS0_14default_configENS1_25transform_config_selectorIdLb0EEEZNS1_14transform_implILb0ES3_S5_NS0_18transform_iteratorINS0_17counting_iteratorImlEEZNS1_24adjacent_difference_implIS3_Lb1ELb0EPdSB_N6thrust23THRUST_200600_302600_NS4plusIdEEEE10hipError_tPvRmT2_T3_mT4_P12ihipStream_tbEUlmE_dEESB_NS0_8identityIvEEEESG_SJ_SK_mSL_SN_bEUlT_E_NS1_11comp_targetILNS1_3genE5ELNS1_11target_archE942ELNS1_3gpuE9ELNS1_3repE0EEENS1_30default_config_static_selectorELNS0_4arch9wavefront6targetE1EEEvT1_ ; -- Begin function _ZN7rocprim17ROCPRIM_400000_NS6detail17trampoline_kernelINS0_14default_configENS1_25transform_config_selectorIdLb0EEEZNS1_14transform_implILb0ES3_S5_NS0_18transform_iteratorINS0_17counting_iteratorImlEEZNS1_24adjacent_difference_implIS3_Lb1ELb0EPdSB_N6thrust23THRUST_200600_302600_NS4plusIdEEEE10hipError_tPvRmT2_T3_mT4_P12ihipStream_tbEUlmE_dEESB_NS0_8identityIvEEEESG_SJ_SK_mSL_SN_bEUlT_E_NS1_11comp_targetILNS1_3genE5ELNS1_11target_archE942ELNS1_3gpuE9ELNS1_3repE0EEENS1_30default_config_static_selectorELNS0_4arch9wavefront6targetE1EEEvT1_
	.globl	_ZN7rocprim17ROCPRIM_400000_NS6detail17trampoline_kernelINS0_14default_configENS1_25transform_config_selectorIdLb0EEEZNS1_14transform_implILb0ES3_S5_NS0_18transform_iteratorINS0_17counting_iteratorImlEEZNS1_24adjacent_difference_implIS3_Lb1ELb0EPdSB_N6thrust23THRUST_200600_302600_NS4plusIdEEEE10hipError_tPvRmT2_T3_mT4_P12ihipStream_tbEUlmE_dEESB_NS0_8identityIvEEEESG_SJ_SK_mSL_SN_bEUlT_E_NS1_11comp_targetILNS1_3genE5ELNS1_11target_archE942ELNS1_3gpuE9ELNS1_3repE0EEENS1_30default_config_static_selectorELNS0_4arch9wavefront6targetE1EEEvT1_
	.p2align	8
	.type	_ZN7rocprim17ROCPRIM_400000_NS6detail17trampoline_kernelINS0_14default_configENS1_25transform_config_selectorIdLb0EEEZNS1_14transform_implILb0ES3_S5_NS0_18transform_iteratorINS0_17counting_iteratorImlEEZNS1_24adjacent_difference_implIS3_Lb1ELb0EPdSB_N6thrust23THRUST_200600_302600_NS4plusIdEEEE10hipError_tPvRmT2_T3_mT4_P12ihipStream_tbEUlmE_dEESB_NS0_8identityIvEEEESG_SJ_SK_mSL_SN_bEUlT_E_NS1_11comp_targetILNS1_3genE5ELNS1_11target_archE942ELNS1_3gpuE9ELNS1_3repE0EEENS1_30default_config_static_selectorELNS0_4arch9wavefront6targetE1EEEvT1_,@function
_ZN7rocprim17ROCPRIM_400000_NS6detail17trampoline_kernelINS0_14default_configENS1_25transform_config_selectorIdLb0EEEZNS1_14transform_implILb0ES3_S5_NS0_18transform_iteratorINS0_17counting_iteratorImlEEZNS1_24adjacent_difference_implIS3_Lb1ELb0EPdSB_N6thrust23THRUST_200600_302600_NS4plusIdEEEE10hipError_tPvRmT2_T3_mT4_P12ihipStream_tbEUlmE_dEESB_NS0_8identityIvEEEESG_SJ_SK_mSL_SN_bEUlT_E_NS1_11comp_targetILNS1_3genE5ELNS1_11target_archE942ELNS1_3gpuE9ELNS1_3repE0EEENS1_30default_config_static_selectorELNS0_4arch9wavefront6targetE1EEEvT1_: ; @_ZN7rocprim17ROCPRIM_400000_NS6detail17trampoline_kernelINS0_14default_configENS1_25transform_config_selectorIdLb0EEEZNS1_14transform_implILb0ES3_S5_NS0_18transform_iteratorINS0_17counting_iteratorImlEEZNS1_24adjacent_difference_implIS3_Lb1ELb0EPdSB_N6thrust23THRUST_200600_302600_NS4plusIdEEEE10hipError_tPvRmT2_T3_mT4_P12ihipStream_tbEUlmE_dEESB_NS0_8identityIvEEEESG_SJ_SK_mSL_SN_bEUlT_E_NS1_11comp_targetILNS1_3genE5ELNS1_11target_archE942ELNS1_3gpuE9ELNS1_3repE0EEENS1_30default_config_static_selectorELNS0_4arch9wavefront6targetE1EEEvT1_
; %bb.0:
	.section	.rodata,"a",@progbits
	.p2align	6, 0x0
	.amdhsa_kernel _ZN7rocprim17ROCPRIM_400000_NS6detail17trampoline_kernelINS0_14default_configENS1_25transform_config_selectorIdLb0EEEZNS1_14transform_implILb0ES3_S5_NS0_18transform_iteratorINS0_17counting_iteratorImlEEZNS1_24adjacent_difference_implIS3_Lb1ELb0EPdSB_N6thrust23THRUST_200600_302600_NS4plusIdEEEE10hipError_tPvRmT2_T3_mT4_P12ihipStream_tbEUlmE_dEESB_NS0_8identityIvEEEESG_SJ_SK_mSL_SN_bEUlT_E_NS1_11comp_targetILNS1_3genE5ELNS1_11target_archE942ELNS1_3gpuE9ELNS1_3repE0EEENS1_30default_config_static_selectorELNS0_4arch9wavefront6targetE1EEEvT1_
		.amdhsa_group_segment_fixed_size 0
		.amdhsa_private_segment_fixed_size 0
		.amdhsa_kernarg_size 56
		.amdhsa_user_sgpr_count 6
		.amdhsa_user_sgpr_private_segment_buffer 1
		.amdhsa_user_sgpr_dispatch_ptr 0
		.amdhsa_user_sgpr_queue_ptr 0
		.amdhsa_user_sgpr_kernarg_segment_ptr 1
		.amdhsa_user_sgpr_dispatch_id 0
		.amdhsa_user_sgpr_flat_scratch_init 0
		.amdhsa_user_sgpr_kernarg_preload_length 0
		.amdhsa_user_sgpr_kernarg_preload_offset 0
		.amdhsa_user_sgpr_private_segment_size 0
		.amdhsa_uses_dynamic_stack 0
		.amdhsa_system_sgpr_private_segment_wavefront_offset 0
		.amdhsa_system_sgpr_workgroup_id_x 1
		.amdhsa_system_sgpr_workgroup_id_y 0
		.amdhsa_system_sgpr_workgroup_id_z 0
		.amdhsa_system_sgpr_workgroup_info 0
		.amdhsa_system_vgpr_workitem_id 0
		.amdhsa_next_free_vgpr 1
		.amdhsa_next_free_sgpr 0
		.amdhsa_accum_offset 4
		.amdhsa_reserve_vcc 0
		.amdhsa_reserve_flat_scratch 0
		.amdhsa_float_round_mode_32 0
		.amdhsa_float_round_mode_16_64 0
		.amdhsa_float_denorm_mode_32 3
		.amdhsa_float_denorm_mode_16_64 3
		.amdhsa_dx10_clamp 1
		.amdhsa_ieee_mode 1
		.amdhsa_fp16_overflow 0
		.amdhsa_tg_split 0
		.amdhsa_exception_fp_ieee_invalid_op 0
		.amdhsa_exception_fp_denorm_src 0
		.amdhsa_exception_fp_ieee_div_zero 0
		.amdhsa_exception_fp_ieee_overflow 0
		.amdhsa_exception_fp_ieee_underflow 0
		.amdhsa_exception_fp_ieee_inexact 0
		.amdhsa_exception_int_div_zero 0
	.end_amdhsa_kernel
	.section	.text._ZN7rocprim17ROCPRIM_400000_NS6detail17trampoline_kernelINS0_14default_configENS1_25transform_config_selectorIdLb0EEEZNS1_14transform_implILb0ES3_S5_NS0_18transform_iteratorINS0_17counting_iteratorImlEEZNS1_24adjacent_difference_implIS3_Lb1ELb0EPdSB_N6thrust23THRUST_200600_302600_NS4plusIdEEEE10hipError_tPvRmT2_T3_mT4_P12ihipStream_tbEUlmE_dEESB_NS0_8identityIvEEEESG_SJ_SK_mSL_SN_bEUlT_E_NS1_11comp_targetILNS1_3genE5ELNS1_11target_archE942ELNS1_3gpuE9ELNS1_3repE0EEENS1_30default_config_static_selectorELNS0_4arch9wavefront6targetE1EEEvT1_,"axG",@progbits,_ZN7rocprim17ROCPRIM_400000_NS6detail17trampoline_kernelINS0_14default_configENS1_25transform_config_selectorIdLb0EEEZNS1_14transform_implILb0ES3_S5_NS0_18transform_iteratorINS0_17counting_iteratorImlEEZNS1_24adjacent_difference_implIS3_Lb1ELb0EPdSB_N6thrust23THRUST_200600_302600_NS4plusIdEEEE10hipError_tPvRmT2_T3_mT4_P12ihipStream_tbEUlmE_dEESB_NS0_8identityIvEEEESG_SJ_SK_mSL_SN_bEUlT_E_NS1_11comp_targetILNS1_3genE5ELNS1_11target_archE942ELNS1_3gpuE9ELNS1_3repE0EEENS1_30default_config_static_selectorELNS0_4arch9wavefront6targetE1EEEvT1_,comdat
.Lfunc_end450:
	.size	_ZN7rocprim17ROCPRIM_400000_NS6detail17trampoline_kernelINS0_14default_configENS1_25transform_config_selectorIdLb0EEEZNS1_14transform_implILb0ES3_S5_NS0_18transform_iteratorINS0_17counting_iteratorImlEEZNS1_24adjacent_difference_implIS3_Lb1ELb0EPdSB_N6thrust23THRUST_200600_302600_NS4plusIdEEEE10hipError_tPvRmT2_T3_mT4_P12ihipStream_tbEUlmE_dEESB_NS0_8identityIvEEEESG_SJ_SK_mSL_SN_bEUlT_E_NS1_11comp_targetILNS1_3genE5ELNS1_11target_archE942ELNS1_3gpuE9ELNS1_3repE0EEENS1_30default_config_static_selectorELNS0_4arch9wavefront6targetE1EEEvT1_, .Lfunc_end450-_ZN7rocprim17ROCPRIM_400000_NS6detail17trampoline_kernelINS0_14default_configENS1_25transform_config_selectorIdLb0EEEZNS1_14transform_implILb0ES3_S5_NS0_18transform_iteratorINS0_17counting_iteratorImlEEZNS1_24adjacent_difference_implIS3_Lb1ELb0EPdSB_N6thrust23THRUST_200600_302600_NS4plusIdEEEE10hipError_tPvRmT2_T3_mT4_P12ihipStream_tbEUlmE_dEESB_NS0_8identityIvEEEESG_SJ_SK_mSL_SN_bEUlT_E_NS1_11comp_targetILNS1_3genE5ELNS1_11target_archE942ELNS1_3gpuE9ELNS1_3repE0EEENS1_30default_config_static_selectorELNS0_4arch9wavefront6targetE1EEEvT1_
                                        ; -- End function
	.section	.AMDGPU.csdata,"",@progbits
; Kernel info:
; codeLenInByte = 0
; NumSgprs: 4
; NumVgprs: 0
; NumAgprs: 0
; TotalNumVgprs: 0
; ScratchSize: 0
; MemoryBound: 0
; FloatMode: 240
; IeeeMode: 1
; LDSByteSize: 0 bytes/workgroup (compile time only)
; SGPRBlocks: 0
; VGPRBlocks: 0
; NumSGPRsForWavesPerEU: 4
; NumVGPRsForWavesPerEU: 1
; AccumOffset: 4
; Occupancy: 8
; WaveLimiterHint : 0
; COMPUTE_PGM_RSRC2:SCRATCH_EN: 0
; COMPUTE_PGM_RSRC2:USER_SGPR: 6
; COMPUTE_PGM_RSRC2:TRAP_HANDLER: 0
; COMPUTE_PGM_RSRC2:TGID_X_EN: 1
; COMPUTE_PGM_RSRC2:TGID_Y_EN: 0
; COMPUTE_PGM_RSRC2:TGID_Z_EN: 0
; COMPUTE_PGM_RSRC2:TIDIG_COMP_CNT: 0
; COMPUTE_PGM_RSRC3_GFX90A:ACCUM_OFFSET: 0
; COMPUTE_PGM_RSRC3_GFX90A:TG_SPLIT: 0
	.section	.text._ZN7rocprim17ROCPRIM_400000_NS6detail17trampoline_kernelINS0_14default_configENS1_25transform_config_selectorIdLb0EEEZNS1_14transform_implILb0ES3_S5_NS0_18transform_iteratorINS0_17counting_iteratorImlEEZNS1_24adjacent_difference_implIS3_Lb1ELb0EPdSB_N6thrust23THRUST_200600_302600_NS4plusIdEEEE10hipError_tPvRmT2_T3_mT4_P12ihipStream_tbEUlmE_dEESB_NS0_8identityIvEEEESG_SJ_SK_mSL_SN_bEUlT_E_NS1_11comp_targetILNS1_3genE4ELNS1_11target_archE910ELNS1_3gpuE8ELNS1_3repE0EEENS1_30default_config_static_selectorELNS0_4arch9wavefront6targetE1EEEvT1_,"axG",@progbits,_ZN7rocprim17ROCPRIM_400000_NS6detail17trampoline_kernelINS0_14default_configENS1_25transform_config_selectorIdLb0EEEZNS1_14transform_implILb0ES3_S5_NS0_18transform_iteratorINS0_17counting_iteratorImlEEZNS1_24adjacent_difference_implIS3_Lb1ELb0EPdSB_N6thrust23THRUST_200600_302600_NS4plusIdEEEE10hipError_tPvRmT2_T3_mT4_P12ihipStream_tbEUlmE_dEESB_NS0_8identityIvEEEESG_SJ_SK_mSL_SN_bEUlT_E_NS1_11comp_targetILNS1_3genE4ELNS1_11target_archE910ELNS1_3gpuE8ELNS1_3repE0EEENS1_30default_config_static_selectorELNS0_4arch9wavefront6targetE1EEEvT1_,comdat
	.protected	_ZN7rocprim17ROCPRIM_400000_NS6detail17trampoline_kernelINS0_14default_configENS1_25transform_config_selectorIdLb0EEEZNS1_14transform_implILb0ES3_S5_NS0_18transform_iteratorINS0_17counting_iteratorImlEEZNS1_24adjacent_difference_implIS3_Lb1ELb0EPdSB_N6thrust23THRUST_200600_302600_NS4plusIdEEEE10hipError_tPvRmT2_T3_mT4_P12ihipStream_tbEUlmE_dEESB_NS0_8identityIvEEEESG_SJ_SK_mSL_SN_bEUlT_E_NS1_11comp_targetILNS1_3genE4ELNS1_11target_archE910ELNS1_3gpuE8ELNS1_3repE0EEENS1_30default_config_static_selectorELNS0_4arch9wavefront6targetE1EEEvT1_ ; -- Begin function _ZN7rocprim17ROCPRIM_400000_NS6detail17trampoline_kernelINS0_14default_configENS1_25transform_config_selectorIdLb0EEEZNS1_14transform_implILb0ES3_S5_NS0_18transform_iteratorINS0_17counting_iteratorImlEEZNS1_24adjacent_difference_implIS3_Lb1ELb0EPdSB_N6thrust23THRUST_200600_302600_NS4plusIdEEEE10hipError_tPvRmT2_T3_mT4_P12ihipStream_tbEUlmE_dEESB_NS0_8identityIvEEEESG_SJ_SK_mSL_SN_bEUlT_E_NS1_11comp_targetILNS1_3genE4ELNS1_11target_archE910ELNS1_3gpuE8ELNS1_3repE0EEENS1_30default_config_static_selectorELNS0_4arch9wavefront6targetE1EEEvT1_
	.globl	_ZN7rocprim17ROCPRIM_400000_NS6detail17trampoline_kernelINS0_14default_configENS1_25transform_config_selectorIdLb0EEEZNS1_14transform_implILb0ES3_S5_NS0_18transform_iteratorINS0_17counting_iteratorImlEEZNS1_24adjacent_difference_implIS3_Lb1ELb0EPdSB_N6thrust23THRUST_200600_302600_NS4plusIdEEEE10hipError_tPvRmT2_T3_mT4_P12ihipStream_tbEUlmE_dEESB_NS0_8identityIvEEEESG_SJ_SK_mSL_SN_bEUlT_E_NS1_11comp_targetILNS1_3genE4ELNS1_11target_archE910ELNS1_3gpuE8ELNS1_3repE0EEENS1_30default_config_static_selectorELNS0_4arch9wavefront6targetE1EEEvT1_
	.p2align	8
	.type	_ZN7rocprim17ROCPRIM_400000_NS6detail17trampoline_kernelINS0_14default_configENS1_25transform_config_selectorIdLb0EEEZNS1_14transform_implILb0ES3_S5_NS0_18transform_iteratorINS0_17counting_iteratorImlEEZNS1_24adjacent_difference_implIS3_Lb1ELb0EPdSB_N6thrust23THRUST_200600_302600_NS4plusIdEEEE10hipError_tPvRmT2_T3_mT4_P12ihipStream_tbEUlmE_dEESB_NS0_8identityIvEEEESG_SJ_SK_mSL_SN_bEUlT_E_NS1_11comp_targetILNS1_3genE4ELNS1_11target_archE910ELNS1_3gpuE8ELNS1_3repE0EEENS1_30default_config_static_selectorELNS0_4arch9wavefront6targetE1EEEvT1_,@function
_ZN7rocprim17ROCPRIM_400000_NS6detail17trampoline_kernelINS0_14default_configENS1_25transform_config_selectorIdLb0EEEZNS1_14transform_implILb0ES3_S5_NS0_18transform_iteratorINS0_17counting_iteratorImlEEZNS1_24adjacent_difference_implIS3_Lb1ELb0EPdSB_N6thrust23THRUST_200600_302600_NS4plusIdEEEE10hipError_tPvRmT2_T3_mT4_P12ihipStream_tbEUlmE_dEESB_NS0_8identityIvEEEESG_SJ_SK_mSL_SN_bEUlT_E_NS1_11comp_targetILNS1_3genE4ELNS1_11target_archE910ELNS1_3gpuE8ELNS1_3repE0EEENS1_30default_config_static_selectorELNS0_4arch9wavefront6targetE1EEEvT1_: ; @_ZN7rocprim17ROCPRIM_400000_NS6detail17trampoline_kernelINS0_14default_configENS1_25transform_config_selectorIdLb0EEEZNS1_14transform_implILb0ES3_S5_NS0_18transform_iteratorINS0_17counting_iteratorImlEEZNS1_24adjacent_difference_implIS3_Lb1ELb0EPdSB_N6thrust23THRUST_200600_302600_NS4plusIdEEEE10hipError_tPvRmT2_T3_mT4_P12ihipStream_tbEUlmE_dEESB_NS0_8identityIvEEEESG_SJ_SK_mSL_SN_bEUlT_E_NS1_11comp_targetILNS1_3genE4ELNS1_11target_archE910ELNS1_3gpuE8ELNS1_3repE0EEENS1_30default_config_static_selectorELNS0_4arch9wavefront6targetE1EEEvT1_
; %bb.0:
	s_load_dwordx4 s[0:3], s[4:5], 0x18
	s_load_dwordx2 s[14:15], s[4:5], 0x28
	s_load_dwordx4 s[8:11], s[4:5], 0x0
	s_load_dword s12, s[4:5], 0x10
	s_waitcnt lgkmcnt(0)
	s_load_dword s3, s[4:5], 0x38
                                        ; kill: killed $sgpr4_sgpr5
	s_lshl_b64 s[4:5], s[0:1], 3
	s_add_u32 s14, s14, s4
	s_addc_u32 s15, s15, s5
	s_lshl_b32 s4, s6, 9
	s_waitcnt lgkmcnt(0)
	s_add_i32 s3, s3, -1
	s_add_u32 s7, s8, s4
	s_addc_u32 s8, s9, 0
	s_add_u32 s16, s7, s0
	s_addc_u32 s17, s8, s1
	s_mov_b32 s5, 0
	s_cmp_lg_u32 s6, s3
	v_lshlrev_b32_e32 v1, 3, v0
	s_cbranch_scc0 .LBB451_2
; %bb.1:
	v_mov_b32_e32 v2, s17
	v_add_co_u32_e32 v3, vcc, s16, v0
	v_addc_co_u32_e32 v5, vcc, 0, v2, vcc
	v_mad_u64_u32 v[2:3], s[0:1], v3, s12, 0
	v_mov_b32_e32 v4, v3
	v_mad_u64_u32 v[4:5], s[0:1], v5, s12, v[4:5]
	v_mov_b32_e32 v3, v4
	v_lshlrev_b64 v[2:3], 3, v[2:3]
	s_mov_b32 s13, s5
	v_mov_b32_e32 v4, s11
	v_add_co_u32_e32 v2, vcc, s10, v2
	v_addc_co_u32_e32 v3, vcc, v4, v3, vcc
	s_lshl_b64 s[0:1], s[12:13], 11
	global_load_dwordx2 v[8:9], v[2:3], off
	v_mov_b32_e32 v4, s1
	v_add_co_u32_e32 v2, vcc, s0, v2
	v_addc_co_u32_e32 v3, vcc, v3, v4, vcc
	global_load_dwordx2 v[4:5], v[2:3], off
	s_lshl_b64 s[6:7], s[4:5], 3
	s_add_u32 s6, s14, s6
	s_addc_u32 s7, s15, s7
	v_mov_b32_e32 v2, s7
	v_add_co_u32_e32 v6, vcc, s6, v1
	v_addc_co_u32_e32 v7, vcc, 0, v2, vcc
	s_waitcnt vmcnt(1)
	global_store_dwordx2 v1, v[8:9], s[6:7]
	s_mov_b64 s[6:7], -1
	s_cbranch_execz .LBB451_3
	s_branch .LBB451_12
.LBB451_2:
	s_mov_b64 s[6:7], 0
                                        ; implicit-def: $vgpr4_vgpr5
                                        ; implicit-def: $vgpr6_vgpr7
.LBB451_3:
	s_sub_i32 s8, s2, s4
	v_cmp_gt_u32_e32 vcc, s8, v0
                                        ; implicit-def: $vgpr2_vgpr3_vgpr4_vgpr5
	s_and_saveexec_b64 s[2:3], vcc
	s_cbranch_execz .LBB451_5
; %bb.4:
	v_mov_b32_e32 v2, s17
	v_add_co_u32_e64 v3, s[0:1], s16, v0
	s_waitcnt vmcnt(1)
	v_addc_co_u32_e64 v5, s[0:1], 0, v2, s[0:1]
	v_mad_u64_u32 v[2:3], s[0:1], v3, s12, 0
	v_mov_b32_e32 v4, v3
	v_mad_u64_u32 v[4:5], s[0:1], v5, s12, v[4:5]
	v_mov_b32_e32 v3, v4
	v_lshlrev_b64 v[2:3], 3, v[2:3]
	v_mov_b32_e32 v4, s11
	v_add_co_u32_e64 v2, s[0:1], s10, v2
	v_addc_co_u32_e64 v3, s[0:1], v4, v3, s[0:1]
	global_load_dwordx2 v[2:3], v[2:3], off
.LBB451_5:
	s_or_b64 exec, exec, s[2:3]
	v_or_b32_e32 v0, 0x100, v0
	v_cmp_gt_u32_e64 s[0:1], s8, v0
	s_and_saveexec_b64 s[8:9], s[0:1]
	s_cbranch_execz .LBB451_7
; %bb.6:
	s_waitcnt vmcnt(1)
	v_mov_b32_e32 v4, s17
	v_add_co_u32_e64 v0, s[2:3], s16, v0
	v_addc_co_u32_e64 v6, s[2:3], 0, v4, s[2:3]
	v_mad_u64_u32 v[4:5], s[2:3], v0, s12, 0
	v_mov_b32_e32 v0, v5
	v_mad_u64_u32 v[6:7], s[2:3], v6, s12, v[0:1]
	v_mov_b32_e32 v5, v6
	v_lshlrev_b64 v[4:5], 3, v[4:5]
	v_mov_b32_e32 v0, s11
	v_add_co_u32_e64 v4, s[2:3], s10, v4
	v_addc_co_u32_e64 v5, s[2:3], v0, v5, s[2:3]
	global_load_dwordx2 v[4:5], v[4:5], off
.LBB451_7:
	s_or_b64 exec, exec, s[8:9]
	s_lshl_b64 s[2:3], s[4:5], 3
	s_add_u32 s2, s14, s2
	s_addc_u32 s3, s15, s3
	v_mov_b32_e32 v0, s3
	v_add_co_u32_e64 v6, s[2:3], s2, v1
	v_addc_co_u32_e64 v7, s[2:3], 0, v0, s[2:3]
	s_and_saveexec_b64 s[2:3], vcc
	s_cbranch_execz .LBB451_9
; %bb.8:
	s_waitcnt vmcnt(0)
	global_store_dwordx2 v[6:7], v[2:3], off
.LBB451_9:
	s_or_b64 exec, exec, s[2:3]
	s_and_saveexec_b64 s[2:3], s[0:1]
; %bb.10:
	s_or_b64 s[6:7], s[6:7], exec
; %bb.11:
	s_or_b64 exec, exec, s[2:3]
.LBB451_12:
	s_and_saveexec_b64 s[0:1], s[6:7]
	s_cbranch_execnz .LBB451_14
; %bb.13:
	s_endpgm
.LBB451_14:
	s_waitcnt vmcnt(0)
	global_store_dwordx2 v[6:7], v[4:5], off offset:2048
	s_endpgm
	.section	.rodata,"a",@progbits
	.p2align	6, 0x0
	.amdhsa_kernel _ZN7rocprim17ROCPRIM_400000_NS6detail17trampoline_kernelINS0_14default_configENS1_25transform_config_selectorIdLb0EEEZNS1_14transform_implILb0ES3_S5_NS0_18transform_iteratorINS0_17counting_iteratorImlEEZNS1_24adjacent_difference_implIS3_Lb1ELb0EPdSB_N6thrust23THRUST_200600_302600_NS4plusIdEEEE10hipError_tPvRmT2_T3_mT4_P12ihipStream_tbEUlmE_dEESB_NS0_8identityIvEEEESG_SJ_SK_mSL_SN_bEUlT_E_NS1_11comp_targetILNS1_3genE4ELNS1_11target_archE910ELNS1_3gpuE8ELNS1_3repE0EEENS1_30default_config_static_selectorELNS0_4arch9wavefront6targetE1EEEvT1_
		.amdhsa_group_segment_fixed_size 0
		.amdhsa_private_segment_fixed_size 0
		.amdhsa_kernarg_size 312
		.amdhsa_user_sgpr_count 6
		.amdhsa_user_sgpr_private_segment_buffer 1
		.amdhsa_user_sgpr_dispatch_ptr 0
		.amdhsa_user_sgpr_queue_ptr 0
		.amdhsa_user_sgpr_kernarg_segment_ptr 1
		.amdhsa_user_sgpr_dispatch_id 0
		.amdhsa_user_sgpr_flat_scratch_init 0
		.amdhsa_user_sgpr_kernarg_preload_length 0
		.amdhsa_user_sgpr_kernarg_preload_offset 0
		.amdhsa_user_sgpr_private_segment_size 0
		.amdhsa_uses_dynamic_stack 0
		.amdhsa_system_sgpr_private_segment_wavefront_offset 0
		.amdhsa_system_sgpr_workgroup_id_x 1
		.amdhsa_system_sgpr_workgroup_id_y 0
		.amdhsa_system_sgpr_workgroup_id_z 0
		.amdhsa_system_sgpr_workgroup_info 0
		.amdhsa_system_vgpr_workitem_id 0
		.amdhsa_next_free_vgpr 10
		.amdhsa_next_free_sgpr 18
		.amdhsa_accum_offset 12
		.amdhsa_reserve_vcc 1
		.amdhsa_reserve_flat_scratch 0
		.amdhsa_float_round_mode_32 0
		.amdhsa_float_round_mode_16_64 0
		.amdhsa_float_denorm_mode_32 3
		.amdhsa_float_denorm_mode_16_64 3
		.amdhsa_dx10_clamp 1
		.amdhsa_ieee_mode 1
		.amdhsa_fp16_overflow 0
		.amdhsa_tg_split 0
		.amdhsa_exception_fp_ieee_invalid_op 0
		.amdhsa_exception_fp_denorm_src 0
		.amdhsa_exception_fp_ieee_div_zero 0
		.amdhsa_exception_fp_ieee_overflow 0
		.amdhsa_exception_fp_ieee_underflow 0
		.amdhsa_exception_fp_ieee_inexact 0
		.amdhsa_exception_int_div_zero 0
	.end_amdhsa_kernel
	.section	.text._ZN7rocprim17ROCPRIM_400000_NS6detail17trampoline_kernelINS0_14default_configENS1_25transform_config_selectorIdLb0EEEZNS1_14transform_implILb0ES3_S5_NS0_18transform_iteratorINS0_17counting_iteratorImlEEZNS1_24adjacent_difference_implIS3_Lb1ELb0EPdSB_N6thrust23THRUST_200600_302600_NS4plusIdEEEE10hipError_tPvRmT2_T3_mT4_P12ihipStream_tbEUlmE_dEESB_NS0_8identityIvEEEESG_SJ_SK_mSL_SN_bEUlT_E_NS1_11comp_targetILNS1_3genE4ELNS1_11target_archE910ELNS1_3gpuE8ELNS1_3repE0EEENS1_30default_config_static_selectorELNS0_4arch9wavefront6targetE1EEEvT1_,"axG",@progbits,_ZN7rocprim17ROCPRIM_400000_NS6detail17trampoline_kernelINS0_14default_configENS1_25transform_config_selectorIdLb0EEEZNS1_14transform_implILb0ES3_S5_NS0_18transform_iteratorINS0_17counting_iteratorImlEEZNS1_24adjacent_difference_implIS3_Lb1ELb0EPdSB_N6thrust23THRUST_200600_302600_NS4plusIdEEEE10hipError_tPvRmT2_T3_mT4_P12ihipStream_tbEUlmE_dEESB_NS0_8identityIvEEEESG_SJ_SK_mSL_SN_bEUlT_E_NS1_11comp_targetILNS1_3genE4ELNS1_11target_archE910ELNS1_3gpuE8ELNS1_3repE0EEENS1_30default_config_static_selectorELNS0_4arch9wavefront6targetE1EEEvT1_,comdat
.Lfunc_end451:
	.size	_ZN7rocprim17ROCPRIM_400000_NS6detail17trampoline_kernelINS0_14default_configENS1_25transform_config_selectorIdLb0EEEZNS1_14transform_implILb0ES3_S5_NS0_18transform_iteratorINS0_17counting_iteratorImlEEZNS1_24adjacent_difference_implIS3_Lb1ELb0EPdSB_N6thrust23THRUST_200600_302600_NS4plusIdEEEE10hipError_tPvRmT2_T3_mT4_P12ihipStream_tbEUlmE_dEESB_NS0_8identityIvEEEESG_SJ_SK_mSL_SN_bEUlT_E_NS1_11comp_targetILNS1_3genE4ELNS1_11target_archE910ELNS1_3gpuE8ELNS1_3repE0EEENS1_30default_config_static_selectorELNS0_4arch9wavefront6targetE1EEEvT1_, .Lfunc_end451-_ZN7rocprim17ROCPRIM_400000_NS6detail17trampoline_kernelINS0_14default_configENS1_25transform_config_selectorIdLb0EEEZNS1_14transform_implILb0ES3_S5_NS0_18transform_iteratorINS0_17counting_iteratorImlEEZNS1_24adjacent_difference_implIS3_Lb1ELb0EPdSB_N6thrust23THRUST_200600_302600_NS4plusIdEEEE10hipError_tPvRmT2_T3_mT4_P12ihipStream_tbEUlmE_dEESB_NS0_8identityIvEEEESG_SJ_SK_mSL_SN_bEUlT_E_NS1_11comp_targetILNS1_3genE4ELNS1_11target_archE910ELNS1_3gpuE8ELNS1_3repE0EEENS1_30default_config_static_selectorELNS0_4arch9wavefront6targetE1EEEvT1_
                                        ; -- End function
	.section	.AMDGPU.csdata,"",@progbits
; Kernel info:
; codeLenInByte = 556
; NumSgprs: 22
; NumVgprs: 10
; NumAgprs: 0
; TotalNumVgprs: 10
; ScratchSize: 0
; MemoryBound: 0
; FloatMode: 240
; IeeeMode: 1
; LDSByteSize: 0 bytes/workgroup (compile time only)
; SGPRBlocks: 2
; VGPRBlocks: 1
; NumSGPRsForWavesPerEU: 22
; NumVGPRsForWavesPerEU: 10
; AccumOffset: 12
; Occupancy: 8
; WaveLimiterHint : 0
; COMPUTE_PGM_RSRC2:SCRATCH_EN: 0
; COMPUTE_PGM_RSRC2:USER_SGPR: 6
; COMPUTE_PGM_RSRC2:TRAP_HANDLER: 0
; COMPUTE_PGM_RSRC2:TGID_X_EN: 1
; COMPUTE_PGM_RSRC2:TGID_Y_EN: 0
; COMPUTE_PGM_RSRC2:TGID_Z_EN: 0
; COMPUTE_PGM_RSRC2:TIDIG_COMP_CNT: 0
; COMPUTE_PGM_RSRC3_GFX90A:ACCUM_OFFSET: 2
; COMPUTE_PGM_RSRC3_GFX90A:TG_SPLIT: 0
	.section	.text._ZN7rocprim17ROCPRIM_400000_NS6detail17trampoline_kernelINS0_14default_configENS1_25transform_config_selectorIdLb0EEEZNS1_14transform_implILb0ES3_S5_NS0_18transform_iteratorINS0_17counting_iteratorImlEEZNS1_24adjacent_difference_implIS3_Lb1ELb0EPdSB_N6thrust23THRUST_200600_302600_NS4plusIdEEEE10hipError_tPvRmT2_T3_mT4_P12ihipStream_tbEUlmE_dEESB_NS0_8identityIvEEEESG_SJ_SK_mSL_SN_bEUlT_E_NS1_11comp_targetILNS1_3genE3ELNS1_11target_archE908ELNS1_3gpuE7ELNS1_3repE0EEENS1_30default_config_static_selectorELNS0_4arch9wavefront6targetE1EEEvT1_,"axG",@progbits,_ZN7rocprim17ROCPRIM_400000_NS6detail17trampoline_kernelINS0_14default_configENS1_25transform_config_selectorIdLb0EEEZNS1_14transform_implILb0ES3_S5_NS0_18transform_iteratorINS0_17counting_iteratorImlEEZNS1_24adjacent_difference_implIS3_Lb1ELb0EPdSB_N6thrust23THRUST_200600_302600_NS4plusIdEEEE10hipError_tPvRmT2_T3_mT4_P12ihipStream_tbEUlmE_dEESB_NS0_8identityIvEEEESG_SJ_SK_mSL_SN_bEUlT_E_NS1_11comp_targetILNS1_3genE3ELNS1_11target_archE908ELNS1_3gpuE7ELNS1_3repE0EEENS1_30default_config_static_selectorELNS0_4arch9wavefront6targetE1EEEvT1_,comdat
	.protected	_ZN7rocprim17ROCPRIM_400000_NS6detail17trampoline_kernelINS0_14default_configENS1_25transform_config_selectorIdLb0EEEZNS1_14transform_implILb0ES3_S5_NS0_18transform_iteratorINS0_17counting_iteratorImlEEZNS1_24adjacent_difference_implIS3_Lb1ELb0EPdSB_N6thrust23THRUST_200600_302600_NS4plusIdEEEE10hipError_tPvRmT2_T3_mT4_P12ihipStream_tbEUlmE_dEESB_NS0_8identityIvEEEESG_SJ_SK_mSL_SN_bEUlT_E_NS1_11comp_targetILNS1_3genE3ELNS1_11target_archE908ELNS1_3gpuE7ELNS1_3repE0EEENS1_30default_config_static_selectorELNS0_4arch9wavefront6targetE1EEEvT1_ ; -- Begin function _ZN7rocprim17ROCPRIM_400000_NS6detail17trampoline_kernelINS0_14default_configENS1_25transform_config_selectorIdLb0EEEZNS1_14transform_implILb0ES3_S5_NS0_18transform_iteratorINS0_17counting_iteratorImlEEZNS1_24adjacent_difference_implIS3_Lb1ELb0EPdSB_N6thrust23THRUST_200600_302600_NS4plusIdEEEE10hipError_tPvRmT2_T3_mT4_P12ihipStream_tbEUlmE_dEESB_NS0_8identityIvEEEESG_SJ_SK_mSL_SN_bEUlT_E_NS1_11comp_targetILNS1_3genE3ELNS1_11target_archE908ELNS1_3gpuE7ELNS1_3repE0EEENS1_30default_config_static_selectorELNS0_4arch9wavefront6targetE1EEEvT1_
	.globl	_ZN7rocprim17ROCPRIM_400000_NS6detail17trampoline_kernelINS0_14default_configENS1_25transform_config_selectorIdLb0EEEZNS1_14transform_implILb0ES3_S5_NS0_18transform_iteratorINS0_17counting_iteratorImlEEZNS1_24adjacent_difference_implIS3_Lb1ELb0EPdSB_N6thrust23THRUST_200600_302600_NS4plusIdEEEE10hipError_tPvRmT2_T3_mT4_P12ihipStream_tbEUlmE_dEESB_NS0_8identityIvEEEESG_SJ_SK_mSL_SN_bEUlT_E_NS1_11comp_targetILNS1_3genE3ELNS1_11target_archE908ELNS1_3gpuE7ELNS1_3repE0EEENS1_30default_config_static_selectorELNS0_4arch9wavefront6targetE1EEEvT1_
	.p2align	8
	.type	_ZN7rocprim17ROCPRIM_400000_NS6detail17trampoline_kernelINS0_14default_configENS1_25transform_config_selectorIdLb0EEEZNS1_14transform_implILb0ES3_S5_NS0_18transform_iteratorINS0_17counting_iteratorImlEEZNS1_24adjacent_difference_implIS3_Lb1ELb0EPdSB_N6thrust23THRUST_200600_302600_NS4plusIdEEEE10hipError_tPvRmT2_T3_mT4_P12ihipStream_tbEUlmE_dEESB_NS0_8identityIvEEEESG_SJ_SK_mSL_SN_bEUlT_E_NS1_11comp_targetILNS1_3genE3ELNS1_11target_archE908ELNS1_3gpuE7ELNS1_3repE0EEENS1_30default_config_static_selectorELNS0_4arch9wavefront6targetE1EEEvT1_,@function
_ZN7rocprim17ROCPRIM_400000_NS6detail17trampoline_kernelINS0_14default_configENS1_25transform_config_selectorIdLb0EEEZNS1_14transform_implILb0ES3_S5_NS0_18transform_iteratorINS0_17counting_iteratorImlEEZNS1_24adjacent_difference_implIS3_Lb1ELb0EPdSB_N6thrust23THRUST_200600_302600_NS4plusIdEEEE10hipError_tPvRmT2_T3_mT4_P12ihipStream_tbEUlmE_dEESB_NS0_8identityIvEEEESG_SJ_SK_mSL_SN_bEUlT_E_NS1_11comp_targetILNS1_3genE3ELNS1_11target_archE908ELNS1_3gpuE7ELNS1_3repE0EEENS1_30default_config_static_selectorELNS0_4arch9wavefront6targetE1EEEvT1_: ; @_ZN7rocprim17ROCPRIM_400000_NS6detail17trampoline_kernelINS0_14default_configENS1_25transform_config_selectorIdLb0EEEZNS1_14transform_implILb0ES3_S5_NS0_18transform_iteratorINS0_17counting_iteratorImlEEZNS1_24adjacent_difference_implIS3_Lb1ELb0EPdSB_N6thrust23THRUST_200600_302600_NS4plusIdEEEE10hipError_tPvRmT2_T3_mT4_P12ihipStream_tbEUlmE_dEESB_NS0_8identityIvEEEESG_SJ_SK_mSL_SN_bEUlT_E_NS1_11comp_targetILNS1_3genE3ELNS1_11target_archE908ELNS1_3gpuE7ELNS1_3repE0EEENS1_30default_config_static_selectorELNS0_4arch9wavefront6targetE1EEEvT1_
; %bb.0:
	.section	.rodata,"a",@progbits
	.p2align	6, 0x0
	.amdhsa_kernel _ZN7rocprim17ROCPRIM_400000_NS6detail17trampoline_kernelINS0_14default_configENS1_25transform_config_selectorIdLb0EEEZNS1_14transform_implILb0ES3_S5_NS0_18transform_iteratorINS0_17counting_iteratorImlEEZNS1_24adjacent_difference_implIS3_Lb1ELb0EPdSB_N6thrust23THRUST_200600_302600_NS4plusIdEEEE10hipError_tPvRmT2_T3_mT4_P12ihipStream_tbEUlmE_dEESB_NS0_8identityIvEEEESG_SJ_SK_mSL_SN_bEUlT_E_NS1_11comp_targetILNS1_3genE3ELNS1_11target_archE908ELNS1_3gpuE7ELNS1_3repE0EEENS1_30default_config_static_selectorELNS0_4arch9wavefront6targetE1EEEvT1_
		.amdhsa_group_segment_fixed_size 0
		.amdhsa_private_segment_fixed_size 0
		.amdhsa_kernarg_size 56
		.amdhsa_user_sgpr_count 6
		.amdhsa_user_sgpr_private_segment_buffer 1
		.amdhsa_user_sgpr_dispatch_ptr 0
		.amdhsa_user_sgpr_queue_ptr 0
		.amdhsa_user_sgpr_kernarg_segment_ptr 1
		.amdhsa_user_sgpr_dispatch_id 0
		.amdhsa_user_sgpr_flat_scratch_init 0
		.amdhsa_user_sgpr_kernarg_preload_length 0
		.amdhsa_user_sgpr_kernarg_preload_offset 0
		.amdhsa_user_sgpr_private_segment_size 0
		.amdhsa_uses_dynamic_stack 0
		.amdhsa_system_sgpr_private_segment_wavefront_offset 0
		.amdhsa_system_sgpr_workgroup_id_x 1
		.amdhsa_system_sgpr_workgroup_id_y 0
		.amdhsa_system_sgpr_workgroup_id_z 0
		.amdhsa_system_sgpr_workgroup_info 0
		.amdhsa_system_vgpr_workitem_id 0
		.amdhsa_next_free_vgpr 1
		.amdhsa_next_free_sgpr 0
		.amdhsa_accum_offset 4
		.amdhsa_reserve_vcc 0
		.amdhsa_reserve_flat_scratch 0
		.amdhsa_float_round_mode_32 0
		.amdhsa_float_round_mode_16_64 0
		.amdhsa_float_denorm_mode_32 3
		.amdhsa_float_denorm_mode_16_64 3
		.amdhsa_dx10_clamp 1
		.amdhsa_ieee_mode 1
		.amdhsa_fp16_overflow 0
		.amdhsa_tg_split 0
		.amdhsa_exception_fp_ieee_invalid_op 0
		.amdhsa_exception_fp_denorm_src 0
		.amdhsa_exception_fp_ieee_div_zero 0
		.amdhsa_exception_fp_ieee_overflow 0
		.amdhsa_exception_fp_ieee_underflow 0
		.amdhsa_exception_fp_ieee_inexact 0
		.amdhsa_exception_int_div_zero 0
	.end_amdhsa_kernel
	.section	.text._ZN7rocprim17ROCPRIM_400000_NS6detail17trampoline_kernelINS0_14default_configENS1_25transform_config_selectorIdLb0EEEZNS1_14transform_implILb0ES3_S5_NS0_18transform_iteratorINS0_17counting_iteratorImlEEZNS1_24adjacent_difference_implIS3_Lb1ELb0EPdSB_N6thrust23THRUST_200600_302600_NS4plusIdEEEE10hipError_tPvRmT2_T3_mT4_P12ihipStream_tbEUlmE_dEESB_NS0_8identityIvEEEESG_SJ_SK_mSL_SN_bEUlT_E_NS1_11comp_targetILNS1_3genE3ELNS1_11target_archE908ELNS1_3gpuE7ELNS1_3repE0EEENS1_30default_config_static_selectorELNS0_4arch9wavefront6targetE1EEEvT1_,"axG",@progbits,_ZN7rocprim17ROCPRIM_400000_NS6detail17trampoline_kernelINS0_14default_configENS1_25transform_config_selectorIdLb0EEEZNS1_14transform_implILb0ES3_S5_NS0_18transform_iteratorINS0_17counting_iteratorImlEEZNS1_24adjacent_difference_implIS3_Lb1ELb0EPdSB_N6thrust23THRUST_200600_302600_NS4plusIdEEEE10hipError_tPvRmT2_T3_mT4_P12ihipStream_tbEUlmE_dEESB_NS0_8identityIvEEEESG_SJ_SK_mSL_SN_bEUlT_E_NS1_11comp_targetILNS1_3genE3ELNS1_11target_archE908ELNS1_3gpuE7ELNS1_3repE0EEENS1_30default_config_static_selectorELNS0_4arch9wavefront6targetE1EEEvT1_,comdat
.Lfunc_end452:
	.size	_ZN7rocprim17ROCPRIM_400000_NS6detail17trampoline_kernelINS0_14default_configENS1_25transform_config_selectorIdLb0EEEZNS1_14transform_implILb0ES3_S5_NS0_18transform_iteratorINS0_17counting_iteratorImlEEZNS1_24adjacent_difference_implIS3_Lb1ELb0EPdSB_N6thrust23THRUST_200600_302600_NS4plusIdEEEE10hipError_tPvRmT2_T3_mT4_P12ihipStream_tbEUlmE_dEESB_NS0_8identityIvEEEESG_SJ_SK_mSL_SN_bEUlT_E_NS1_11comp_targetILNS1_3genE3ELNS1_11target_archE908ELNS1_3gpuE7ELNS1_3repE0EEENS1_30default_config_static_selectorELNS0_4arch9wavefront6targetE1EEEvT1_, .Lfunc_end452-_ZN7rocprim17ROCPRIM_400000_NS6detail17trampoline_kernelINS0_14default_configENS1_25transform_config_selectorIdLb0EEEZNS1_14transform_implILb0ES3_S5_NS0_18transform_iteratorINS0_17counting_iteratorImlEEZNS1_24adjacent_difference_implIS3_Lb1ELb0EPdSB_N6thrust23THRUST_200600_302600_NS4plusIdEEEE10hipError_tPvRmT2_T3_mT4_P12ihipStream_tbEUlmE_dEESB_NS0_8identityIvEEEESG_SJ_SK_mSL_SN_bEUlT_E_NS1_11comp_targetILNS1_3genE3ELNS1_11target_archE908ELNS1_3gpuE7ELNS1_3repE0EEENS1_30default_config_static_selectorELNS0_4arch9wavefront6targetE1EEEvT1_
                                        ; -- End function
	.section	.AMDGPU.csdata,"",@progbits
; Kernel info:
; codeLenInByte = 0
; NumSgprs: 4
; NumVgprs: 0
; NumAgprs: 0
; TotalNumVgprs: 0
; ScratchSize: 0
; MemoryBound: 0
; FloatMode: 240
; IeeeMode: 1
; LDSByteSize: 0 bytes/workgroup (compile time only)
; SGPRBlocks: 0
; VGPRBlocks: 0
; NumSGPRsForWavesPerEU: 4
; NumVGPRsForWavesPerEU: 1
; AccumOffset: 4
; Occupancy: 8
; WaveLimiterHint : 0
; COMPUTE_PGM_RSRC2:SCRATCH_EN: 0
; COMPUTE_PGM_RSRC2:USER_SGPR: 6
; COMPUTE_PGM_RSRC2:TRAP_HANDLER: 0
; COMPUTE_PGM_RSRC2:TGID_X_EN: 1
; COMPUTE_PGM_RSRC2:TGID_Y_EN: 0
; COMPUTE_PGM_RSRC2:TGID_Z_EN: 0
; COMPUTE_PGM_RSRC2:TIDIG_COMP_CNT: 0
; COMPUTE_PGM_RSRC3_GFX90A:ACCUM_OFFSET: 0
; COMPUTE_PGM_RSRC3_GFX90A:TG_SPLIT: 0
	.section	.text._ZN7rocprim17ROCPRIM_400000_NS6detail17trampoline_kernelINS0_14default_configENS1_25transform_config_selectorIdLb0EEEZNS1_14transform_implILb0ES3_S5_NS0_18transform_iteratorINS0_17counting_iteratorImlEEZNS1_24adjacent_difference_implIS3_Lb1ELb0EPdSB_N6thrust23THRUST_200600_302600_NS4plusIdEEEE10hipError_tPvRmT2_T3_mT4_P12ihipStream_tbEUlmE_dEESB_NS0_8identityIvEEEESG_SJ_SK_mSL_SN_bEUlT_E_NS1_11comp_targetILNS1_3genE2ELNS1_11target_archE906ELNS1_3gpuE6ELNS1_3repE0EEENS1_30default_config_static_selectorELNS0_4arch9wavefront6targetE1EEEvT1_,"axG",@progbits,_ZN7rocprim17ROCPRIM_400000_NS6detail17trampoline_kernelINS0_14default_configENS1_25transform_config_selectorIdLb0EEEZNS1_14transform_implILb0ES3_S5_NS0_18transform_iteratorINS0_17counting_iteratorImlEEZNS1_24adjacent_difference_implIS3_Lb1ELb0EPdSB_N6thrust23THRUST_200600_302600_NS4plusIdEEEE10hipError_tPvRmT2_T3_mT4_P12ihipStream_tbEUlmE_dEESB_NS0_8identityIvEEEESG_SJ_SK_mSL_SN_bEUlT_E_NS1_11comp_targetILNS1_3genE2ELNS1_11target_archE906ELNS1_3gpuE6ELNS1_3repE0EEENS1_30default_config_static_selectorELNS0_4arch9wavefront6targetE1EEEvT1_,comdat
	.protected	_ZN7rocprim17ROCPRIM_400000_NS6detail17trampoline_kernelINS0_14default_configENS1_25transform_config_selectorIdLb0EEEZNS1_14transform_implILb0ES3_S5_NS0_18transform_iteratorINS0_17counting_iteratorImlEEZNS1_24adjacent_difference_implIS3_Lb1ELb0EPdSB_N6thrust23THRUST_200600_302600_NS4plusIdEEEE10hipError_tPvRmT2_T3_mT4_P12ihipStream_tbEUlmE_dEESB_NS0_8identityIvEEEESG_SJ_SK_mSL_SN_bEUlT_E_NS1_11comp_targetILNS1_3genE2ELNS1_11target_archE906ELNS1_3gpuE6ELNS1_3repE0EEENS1_30default_config_static_selectorELNS0_4arch9wavefront6targetE1EEEvT1_ ; -- Begin function _ZN7rocprim17ROCPRIM_400000_NS6detail17trampoline_kernelINS0_14default_configENS1_25transform_config_selectorIdLb0EEEZNS1_14transform_implILb0ES3_S5_NS0_18transform_iteratorINS0_17counting_iteratorImlEEZNS1_24adjacent_difference_implIS3_Lb1ELb0EPdSB_N6thrust23THRUST_200600_302600_NS4plusIdEEEE10hipError_tPvRmT2_T3_mT4_P12ihipStream_tbEUlmE_dEESB_NS0_8identityIvEEEESG_SJ_SK_mSL_SN_bEUlT_E_NS1_11comp_targetILNS1_3genE2ELNS1_11target_archE906ELNS1_3gpuE6ELNS1_3repE0EEENS1_30default_config_static_selectorELNS0_4arch9wavefront6targetE1EEEvT1_
	.globl	_ZN7rocprim17ROCPRIM_400000_NS6detail17trampoline_kernelINS0_14default_configENS1_25transform_config_selectorIdLb0EEEZNS1_14transform_implILb0ES3_S5_NS0_18transform_iteratorINS0_17counting_iteratorImlEEZNS1_24adjacent_difference_implIS3_Lb1ELb0EPdSB_N6thrust23THRUST_200600_302600_NS4plusIdEEEE10hipError_tPvRmT2_T3_mT4_P12ihipStream_tbEUlmE_dEESB_NS0_8identityIvEEEESG_SJ_SK_mSL_SN_bEUlT_E_NS1_11comp_targetILNS1_3genE2ELNS1_11target_archE906ELNS1_3gpuE6ELNS1_3repE0EEENS1_30default_config_static_selectorELNS0_4arch9wavefront6targetE1EEEvT1_
	.p2align	8
	.type	_ZN7rocprim17ROCPRIM_400000_NS6detail17trampoline_kernelINS0_14default_configENS1_25transform_config_selectorIdLb0EEEZNS1_14transform_implILb0ES3_S5_NS0_18transform_iteratorINS0_17counting_iteratorImlEEZNS1_24adjacent_difference_implIS3_Lb1ELb0EPdSB_N6thrust23THRUST_200600_302600_NS4plusIdEEEE10hipError_tPvRmT2_T3_mT4_P12ihipStream_tbEUlmE_dEESB_NS0_8identityIvEEEESG_SJ_SK_mSL_SN_bEUlT_E_NS1_11comp_targetILNS1_3genE2ELNS1_11target_archE906ELNS1_3gpuE6ELNS1_3repE0EEENS1_30default_config_static_selectorELNS0_4arch9wavefront6targetE1EEEvT1_,@function
_ZN7rocprim17ROCPRIM_400000_NS6detail17trampoline_kernelINS0_14default_configENS1_25transform_config_selectorIdLb0EEEZNS1_14transform_implILb0ES3_S5_NS0_18transform_iteratorINS0_17counting_iteratorImlEEZNS1_24adjacent_difference_implIS3_Lb1ELb0EPdSB_N6thrust23THRUST_200600_302600_NS4plusIdEEEE10hipError_tPvRmT2_T3_mT4_P12ihipStream_tbEUlmE_dEESB_NS0_8identityIvEEEESG_SJ_SK_mSL_SN_bEUlT_E_NS1_11comp_targetILNS1_3genE2ELNS1_11target_archE906ELNS1_3gpuE6ELNS1_3repE0EEENS1_30default_config_static_selectorELNS0_4arch9wavefront6targetE1EEEvT1_: ; @_ZN7rocprim17ROCPRIM_400000_NS6detail17trampoline_kernelINS0_14default_configENS1_25transform_config_selectorIdLb0EEEZNS1_14transform_implILb0ES3_S5_NS0_18transform_iteratorINS0_17counting_iteratorImlEEZNS1_24adjacent_difference_implIS3_Lb1ELb0EPdSB_N6thrust23THRUST_200600_302600_NS4plusIdEEEE10hipError_tPvRmT2_T3_mT4_P12ihipStream_tbEUlmE_dEESB_NS0_8identityIvEEEESG_SJ_SK_mSL_SN_bEUlT_E_NS1_11comp_targetILNS1_3genE2ELNS1_11target_archE906ELNS1_3gpuE6ELNS1_3repE0EEENS1_30default_config_static_selectorELNS0_4arch9wavefront6targetE1EEEvT1_
; %bb.0:
	.section	.rodata,"a",@progbits
	.p2align	6, 0x0
	.amdhsa_kernel _ZN7rocprim17ROCPRIM_400000_NS6detail17trampoline_kernelINS0_14default_configENS1_25transform_config_selectorIdLb0EEEZNS1_14transform_implILb0ES3_S5_NS0_18transform_iteratorINS0_17counting_iteratorImlEEZNS1_24adjacent_difference_implIS3_Lb1ELb0EPdSB_N6thrust23THRUST_200600_302600_NS4plusIdEEEE10hipError_tPvRmT2_T3_mT4_P12ihipStream_tbEUlmE_dEESB_NS0_8identityIvEEEESG_SJ_SK_mSL_SN_bEUlT_E_NS1_11comp_targetILNS1_3genE2ELNS1_11target_archE906ELNS1_3gpuE6ELNS1_3repE0EEENS1_30default_config_static_selectorELNS0_4arch9wavefront6targetE1EEEvT1_
		.amdhsa_group_segment_fixed_size 0
		.amdhsa_private_segment_fixed_size 0
		.amdhsa_kernarg_size 56
		.amdhsa_user_sgpr_count 6
		.amdhsa_user_sgpr_private_segment_buffer 1
		.amdhsa_user_sgpr_dispatch_ptr 0
		.amdhsa_user_sgpr_queue_ptr 0
		.amdhsa_user_sgpr_kernarg_segment_ptr 1
		.amdhsa_user_sgpr_dispatch_id 0
		.amdhsa_user_sgpr_flat_scratch_init 0
		.amdhsa_user_sgpr_kernarg_preload_length 0
		.amdhsa_user_sgpr_kernarg_preload_offset 0
		.amdhsa_user_sgpr_private_segment_size 0
		.amdhsa_uses_dynamic_stack 0
		.amdhsa_system_sgpr_private_segment_wavefront_offset 0
		.amdhsa_system_sgpr_workgroup_id_x 1
		.amdhsa_system_sgpr_workgroup_id_y 0
		.amdhsa_system_sgpr_workgroup_id_z 0
		.amdhsa_system_sgpr_workgroup_info 0
		.amdhsa_system_vgpr_workitem_id 0
		.amdhsa_next_free_vgpr 1
		.amdhsa_next_free_sgpr 0
		.amdhsa_accum_offset 4
		.amdhsa_reserve_vcc 0
		.amdhsa_reserve_flat_scratch 0
		.amdhsa_float_round_mode_32 0
		.amdhsa_float_round_mode_16_64 0
		.amdhsa_float_denorm_mode_32 3
		.amdhsa_float_denorm_mode_16_64 3
		.amdhsa_dx10_clamp 1
		.amdhsa_ieee_mode 1
		.amdhsa_fp16_overflow 0
		.amdhsa_tg_split 0
		.amdhsa_exception_fp_ieee_invalid_op 0
		.amdhsa_exception_fp_denorm_src 0
		.amdhsa_exception_fp_ieee_div_zero 0
		.amdhsa_exception_fp_ieee_overflow 0
		.amdhsa_exception_fp_ieee_underflow 0
		.amdhsa_exception_fp_ieee_inexact 0
		.amdhsa_exception_int_div_zero 0
	.end_amdhsa_kernel
	.section	.text._ZN7rocprim17ROCPRIM_400000_NS6detail17trampoline_kernelINS0_14default_configENS1_25transform_config_selectorIdLb0EEEZNS1_14transform_implILb0ES3_S5_NS0_18transform_iteratorINS0_17counting_iteratorImlEEZNS1_24adjacent_difference_implIS3_Lb1ELb0EPdSB_N6thrust23THRUST_200600_302600_NS4plusIdEEEE10hipError_tPvRmT2_T3_mT4_P12ihipStream_tbEUlmE_dEESB_NS0_8identityIvEEEESG_SJ_SK_mSL_SN_bEUlT_E_NS1_11comp_targetILNS1_3genE2ELNS1_11target_archE906ELNS1_3gpuE6ELNS1_3repE0EEENS1_30default_config_static_selectorELNS0_4arch9wavefront6targetE1EEEvT1_,"axG",@progbits,_ZN7rocprim17ROCPRIM_400000_NS6detail17trampoline_kernelINS0_14default_configENS1_25transform_config_selectorIdLb0EEEZNS1_14transform_implILb0ES3_S5_NS0_18transform_iteratorINS0_17counting_iteratorImlEEZNS1_24adjacent_difference_implIS3_Lb1ELb0EPdSB_N6thrust23THRUST_200600_302600_NS4plusIdEEEE10hipError_tPvRmT2_T3_mT4_P12ihipStream_tbEUlmE_dEESB_NS0_8identityIvEEEESG_SJ_SK_mSL_SN_bEUlT_E_NS1_11comp_targetILNS1_3genE2ELNS1_11target_archE906ELNS1_3gpuE6ELNS1_3repE0EEENS1_30default_config_static_selectorELNS0_4arch9wavefront6targetE1EEEvT1_,comdat
.Lfunc_end453:
	.size	_ZN7rocprim17ROCPRIM_400000_NS6detail17trampoline_kernelINS0_14default_configENS1_25transform_config_selectorIdLb0EEEZNS1_14transform_implILb0ES3_S5_NS0_18transform_iteratorINS0_17counting_iteratorImlEEZNS1_24adjacent_difference_implIS3_Lb1ELb0EPdSB_N6thrust23THRUST_200600_302600_NS4plusIdEEEE10hipError_tPvRmT2_T3_mT4_P12ihipStream_tbEUlmE_dEESB_NS0_8identityIvEEEESG_SJ_SK_mSL_SN_bEUlT_E_NS1_11comp_targetILNS1_3genE2ELNS1_11target_archE906ELNS1_3gpuE6ELNS1_3repE0EEENS1_30default_config_static_selectorELNS0_4arch9wavefront6targetE1EEEvT1_, .Lfunc_end453-_ZN7rocprim17ROCPRIM_400000_NS6detail17trampoline_kernelINS0_14default_configENS1_25transform_config_selectorIdLb0EEEZNS1_14transform_implILb0ES3_S5_NS0_18transform_iteratorINS0_17counting_iteratorImlEEZNS1_24adjacent_difference_implIS3_Lb1ELb0EPdSB_N6thrust23THRUST_200600_302600_NS4plusIdEEEE10hipError_tPvRmT2_T3_mT4_P12ihipStream_tbEUlmE_dEESB_NS0_8identityIvEEEESG_SJ_SK_mSL_SN_bEUlT_E_NS1_11comp_targetILNS1_3genE2ELNS1_11target_archE906ELNS1_3gpuE6ELNS1_3repE0EEENS1_30default_config_static_selectorELNS0_4arch9wavefront6targetE1EEEvT1_
                                        ; -- End function
	.section	.AMDGPU.csdata,"",@progbits
; Kernel info:
; codeLenInByte = 0
; NumSgprs: 4
; NumVgprs: 0
; NumAgprs: 0
; TotalNumVgprs: 0
; ScratchSize: 0
; MemoryBound: 0
; FloatMode: 240
; IeeeMode: 1
; LDSByteSize: 0 bytes/workgroup (compile time only)
; SGPRBlocks: 0
; VGPRBlocks: 0
; NumSGPRsForWavesPerEU: 4
; NumVGPRsForWavesPerEU: 1
; AccumOffset: 4
; Occupancy: 8
; WaveLimiterHint : 0
; COMPUTE_PGM_RSRC2:SCRATCH_EN: 0
; COMPUTE_PGM_RSRC2:USER_SGPR: 6
; COMPUTE_PGM_RSRC2:TRAP_HANDLER: 0
; COMPUTE_PGM_RSRC2:TGID_X_EN: 1
; COMPUTE_PGM_RSRC2:TGID_Y_EN: 0
; COMPUTE_PGM_RSRC2:TGID_Z_EN: 0
; COMPUTE_PGM_RSRC2:TIDIG_COMP_CNT: 0
; COMPUTE_PGM_RSRC3_GFX90A:ACCUM_OFFSET: 0
; COMPUTE_PGM_RSRC3_GFX90A:TG_SPLIT: 0
	.section	.text._ZN7rocprim17ROCPRIM_400000_NS6detail17trampoline_kernelINS0_14default_configENS1_25transform_config_selectorIdLb0EEEZNS1_14transform_implILb0ES3_S5_NS0_18transform_iteratorINS0_17counting_iteratorImlEEZNS1_24adjacent_difference_implIS3_Lb1ELb0EPdSB_N6thrust23THRUST_200600_302600_NS4plusIdEEEE10hipError_tPvRmT2_T3_mT4_P12ihipStream_tbEUlmE_dEESB_NS0_8identityIvEEEESG_SJ_SK_mSL_SN_bEUlT_E_NS1_11comp_targetILNS1_3genE10ELNS1_11target_archE1201ELNS1_3gpuE5ELNS1_3repE0EEENS1_30default_config_static_selectorELNS0_4arch9wavefront6targetE1EEEvT1_,"axG",@progbits,_ZN7rocprim17ROCPRIM_400000_NS6detail17trampoline_kernelINS0_14default_configENS1_25transform_config_selectorIdLb0EEEZNS1_14transform_implILb0ES3_S5_NS0_18transform_iteratorINS0_17counting_iteratorImlEEZNS1_24adjacent_difference_implIS3_Lb1ELb0EPdSB_N6thrust23THRUST_200600_302600_NS4plusIdEEEE10hipError_tPvRmT2_T3_mT4_P12ihipStream_tbEUlmE_dEESB_NS0_8identityIvEEEESG_SJ_SK_mSL_SN_bEUlT_E_NS1_11comp_targetILNS1_3genE10ELNS1_11target_archE1201ELNS1_3gpuE5ELNS1_3repE0EEENS1_30default_config_static_selectorELNS0_4arch9wavefront6targetE1EEEvT1_,comdat
	.protected	_ZN7rocprim17ROCPRIM_400000_NS6detail17trampoline_kernelINS0_14default_configENS1_25transform_config_selectorIdLb0EEEZNS1_14transform_implILb0ES3_S5_NS0_18transform_iteratorINS0_17counting_iteratorImlEEZNS1_24adjacent_difference_implIS3_Lb1ELb0EPdSB_N6thrust23THRUST_200600_302600_NS4plusIdEEEE10hipError_tPvRmT2_T3_mT4_P12ihipStream_tbEUlmE_dEESB_NS0_8identityIvEEEESG_SJ_SK_mSL_SN_bEUlT_E_NS1_11comp_targetILNS1_3genE10ELNS1_11target_archE1201ELNS1_3gpuE5ELNS1_3repE0EEENS1_30default_config_static_selectorELNS0_4arch9wavefront6targetE1EEEvT1_ ; -- Begin function _ZN7rocprim17ROCPRIM_400000_NS6detail17trampoline_kernelINS0_14default_configENS1_25transform_config_selectorIdLb0EEEZNS1_14transform_implILb0ES3_S5_NS0_18transform_iteratorINS0_17counting_iteratorImlEEZNS1_24adjacent_difference_implIS3_Lb1ELb0EPdSB_N6thrust23THRUST_200600_302600_NS4plusIdEEEE10hipError_tPvRmT2_T3_mT4_P12ihipStream_tbEUlmE_dEESB_NS0_8identityIvEEEESG_SJ_SK_mSL_SN_bEUlT_E_NS1_11comp_targetILNS1_3genE10ELNS1_11target_archE1201ELNS1_3gpuE5ELNS1_3repE0EEENS1_30default_config_static_selectorELNS0_4arch9wavefront6targetE1EEEvT1_
	.globl	_ZN7rocprim17ROCPRIM_400000_NS6detail17trampoline_kernelINS0_14default_configENS1_25transform_config_selectorIdLb0EEEZNS1_14transform_implILb0ES3_S5_NS0_18transform_iteratorINS0_17counting_iteratorImlEEZNS1_24adjacent_difference_implIS3_Lb1ELb0EPdSB_N6thrust23THRUST_200600_302600_NS4plusIdEEEE10hipError_tPvRmT2_T3_mT4_P12ihipStream_tbEUlmE_dEESB_NS0_8identityIvEEEESG_SJ_SK_mSL_SN_bEUlT_E_NS1_11comp_targetILNS1_3genE10ELNS1_11target_archE1201ELNS1_3gpuE5ELNS1_3repE0EEENS1_30default_config_static_selectorELNS0_4arch9wavefront6targetE1EEEvT1_
	.p2align	8
	.type	_ZN7rocprim17ROCPRIM_400000_NS6detail17trampoline_kernelINS0_14default_configENS1_25transform_config_selectorIdLb0EEEZNS1_14transform_implILb0ES3_S5_NS0_18transform_iteratorINS0_17counting_iteratorImlEEZNS1_24adjacent_difference_implIS3_Lb1ELb0EPdSB_N6thrust23THRUST_200600_302600_NS4plusIdEEEE10hipError_tPvRmT2_T3_mT4_P12ihipStream_tbEUlmE_dEESB_NS0_8identityIvEEEESG_SJ_SK_mSL_SN_bEUlT_E_NS1_11comp_targetILNS1_3genE10ELNS1_11target_archE1201ELNS1_3gpuE5ELNS1_3repE0EEENS1_30default_config_static_selectorELNS0_4arch9wavefront6targetE1EEEvT1_,@function
_ZN7rocprim17ROCPRIM_400000_NS6detail17trampoline_kernelINS0_14default_configENS1_25transform_config_selectorIdLb0EEEZNS1_14transform_implILb0ES3_S5_NS0_18transform_iteratorINS0_17counting_iteratorImlEEZNS1_24adjacent_difference_implIS3_Lb1ELb0EPdSB_N6thrust23THRUST_200600_302600_NS4plusIdEEEE10hipError_tPvRmT2_T3_mT4_P12ihipStream_tbEUlmE_dEESB_NS0_8identityIvEEEESG_SJ_SK_mSL_SN_bEUlT_E_NS1_11comp_targetILNS1_3genE10ELNS1_11target_archE1201ELNS1_3gpuE5ELNS1_3repE0EEENS1_30default_config_static_selectorELNS0_4arch9wavefront6targetE1EEEvT1_: ; @_ZN7rocprim17ROCPRIM_400000_NS6detail17trampoline_kernelINS0_14default_configENS1_25transform_config_selectorIdLb0EEEZNS1_14transform_implILb0ES3_S5_NS0_18transform_iteratorINS0_17counting_iteratorImlEEZNS1_24adjacent_difference_implIS3_Lb1ELb0EPdSB_N6thrust23THRUST_200600_302600_NS4plusIdEEEE10hipError_tPvRmT2_T3_mT4_P12ihipStream_tbEUlmE_dEESB_NS0_8identityIvEEEESG_SJ_SK_mSL_SN_bEUlT_E_NS1_11comp_targetILNS1_3genE10ELNS1_11target_archE1201ELNS1_3gpuE5ELNS1_3repE0EEENS1_30default_config_static_selectorELNS0_4arch9wavefront6targetE1EEEvT1_
; %bb.0:
	.section	.rodata,"a",@progbits
	.p2align	6, 0x0
	.amdhsa_kernel _ZN7rocprim17ROCPRIM_400000_NS6detail17trampoline_kernelINS0_14default_configENS1_25transform_config_selectorIdLb0EEEZNS1_14transform_implILb0ES3_S5_NS0_18transform_iteratorINS0_17counting_iteratorImlEEZNS1_24adjacent_difference_implIS3_Lb1ELb0EPdSB_N6thrust23THRUST_200600_302600_NS4plusIdEEEE10hipError_tPvRmT2_T3_mT4_P12ihipStream_tbEUlmE_dEESB_NS0_8identityIvEEEESG_SJ_SK_mSL_SN_bEUlT_E_NS1_11comp_targetILNS1_3genE10ELNS1_11target_archE1201ELNS1_3gpuE5ELNS1_3repE0EEENS1_30default_config_static_selectorELNS0_4arch9wavefront6targetE1EEEvT1_
		.amdhsa_group_segment_fixed_size 0
		.amdhsa_private_segment_fixed_size 0
		.amdhsa_kernarg_size 56
		.amdhsa_user_sgpr_count 6
		.amdhsa_user_sgpr_private_segment_buffer 1
		.amdhsa_user_sgpr_dispatch_ptr 0
		.amdhsa_user_sgpr_queue_ptr 0
		.amdhsa_user_sgpr_kernarg_segment_ptr 1
		.amdhsa_user_sgpr_dispatch_id 0
		.amdhsa_user_sgpr_flat_scratch_init 0
		.amdhsa_user_sgpr_kernarg_preload_length 0
		.amdhsa_user_sgpr_kernarg_preload_offset 0
		.amdhsa_user_sgpr_private_segment_size 0
		.amdhsa_uses_dynamic_stack 0
		.amdhsa_system_sgpr_private_segment_wavefront_offset 0
		.amdhsa_system_sgpr_workgroup_id_x 1
		.amdhsa_system_sgpr_workgroup_id_y 0
		.amdhsa_system_sgpr_workgroup_id_z 0
		.amdhsa_system_sgpr_workgroup_info 0
		.amdhsa_system_vgpr_workitem_id 0
		.amdhsa_next_free_vgpr 1
		.amdhsa_next_free_sgpr 0
		.amdhsa_accum_offset 4
		.amdhsa_reserve_vcc 0
		.amdhsa_reserve_flat_scratch 0
		.amdhsa_float_round_mode_32 0
		.amdhsa_float_round_mode_16_64 0
		.amdhsa_float_denorm_mode_32 3
		.amdhsa_float_denorm_mode_16_64 3
		.amdhsa_dx10_clamp 1
		.amdhsa_ieee_mode 1
		.amdhsa_fp16_overflow 0
		.amdhsa_tg_split 0
		.amdhsa_exception_fp_ieee_invalid_op 0
		.amdhsa_exception_fp_denorm_src 0
		.amdhsa_exception_fp_ieee_div_zero 0
		.amdhsa_exception_fp_ieee_overflow 0
		.amdhsa_exception_fp_ieee_underflow 0
		.amdhsa_exception_fp_ieee_inexact 0
		.amdhsa_exception_int_div_zero 0
	.end_amdhsa_kernel
	.section	.text._ZN7rocprim17ROCPRIM_400000_NS6detail17trampoline_kernelINS0_14default_configENS1_25transform_config_selectorIdLb0EEEZNS1_14transform_implILb0ES3_S5_NS0_18transform_iteratorINS0_17counting_iteratorImlEEZNS1_24adjacent_difference_implIS3_Lb1ELb0EPdSB_N6thrust23THRUST_200600_302600_NS4plusIdEEEE10hipError_tPvRmT2_T3_mT4_P12ihipStream_tbEUlmE_dEESB_NS0_8identityIvEEEESG_SJ_SK_mSL_SN_bEUlT_E_NS1_11comp_targetILNS1_3genE10ELNS1_11target_archE1201ELNS1_3gpuE5ELNS1_3repE0EEENS1_30default_config_static_selectorELNS0_4arch9wavefront6targetE1EEEvT1_,"axG",@progbits,_ZN7rocprim17ROCPRIM_400000_NS6detail17trampoline_kernelINS0_14default_configENS1_25transform_config_selectorIdLb0EEEZNS1_14transform_implILb0ES3_S5_NS0_18transform_iteratorINS0_17counting_iteratorImlEEZNS1_24adjacent_difference_implIS3_Lb1ELb0EPdSB_N6thrust23THRUST_200600_302600_NS4plusIdEEEE10hipError_tPvRmT2_T3_mT4_P12ihipStream_tbEUlmE_dEESB_NS0_8identityIvEEEESG_SJ_SK_mSL_SN_bEUlT_E_NS1_11comp_targetILNS1_3genE10ELNS1_11target_archE1201ELNS1_3gpuE5ELNS1_3repE0EEENS1_30default_config_static_selectorELNS0_4arch9wavefront6targetE1EEEvT1_,comdat
.Lfunc_end454:
	.size	_ZN7rocprim17ROCPRIM_400000_NS6detail17trampoline_kernelINS0_14default_configENS1_25transform_config_selectorIdLb0EEEZNS1_14transform_implILb0ES3_S5_NS0_18transform_iteratorINS0_17counting_iteratorImlEEZNS1_24adjacent_difference_implIS3_Lb1ELb0EPdSB_N6thrust23THRUST_200600_302600_NS4plusIdEEEE10hipError_tPvRmT2_T3_mT4_P12ihipStream_tbEUlmE_dEESB_NS0_8identityIvEEEESG_SJ_SK_mSL_SN_bEUlT_E_NS1_11comp_targetILNS1_3genE10ELNS1_11target_archE1201ELNS1_3gpuE5ELNS1_3repE0EEENS1_30default_config_static_selectorELNS0_4arch9wavefront6targetE1EEEvT1_, .Lfunc_end454-_ZN7rocprim17ROCPRIM_400000_NS6detail17trampoline_kernelINS0_14default_configENS1_25transform_config_selectorIdLb0EEEZNS1_14transform_implILb0ES3_S5_NS0_18transform_iteratorINS0_17counting_iteratorImlEEZNS1_24adjacent_difference_implIS3_Lb1ELb0EPdSB_N6thrust23THRUST_200600_302600_NS4plusIdEEEE10hipError_tPvRmT2_T3_mT4_P12ihipStream_tbEUlmE_dEESB_NS0_8identityIvEEEESG_SJ_SK_mSL_SN_bEUlT_E_NS1_11comp_targetILNS1_3genE10ELNS1_11target_archE1201ELNS1_3gpuE5ELNS1_3repE0EEENS1_30default_config_static_selectorELNS0_4arch9wavefront6targetE1EEEvT1_
                                        ; -- End function
	.section	.AMDGPU.csdata,"",@progbits
; Kernel info:
; codeLenInByte = 0
; NumSgprs: 4
; NumVgprs: 0
; NumAgprs: 0
; TotalNumVgprs: 0
; ScratchSize: 0
; MemoryBound: 0
; FloatMode: 240
; IeeeMode: 1
; LDSByteSize: 0 bytes/workgroup (compile time only)
; SGPRBlocks: 0
; VGPRBlocks: 0
; NumSGPRsForWavesPerEU: 4
; NumVGPRsForWavesPerEU: 1
; AccumOffset: 4
; Occupancy: 8
; WaveLimiterHint : 0
; COMPUTE_PGM_RSRC2:SCRATCH_EN: 0
; COMPUTE_PGM_RSRC2:USER_SGPR: 6
; COMPUTE_PGM_RSRC2:TRAP_HANDLER: 0
; COMPUTE_PGM_RSRC2:TGID_X_EN: 1
; COMPUTE_PGM_RSRC2:TGID_Y_EN: 0
; COMPUTE_PGM_RSRC2:TGID_Z_EN: 0
; COMPUTE_PGM_RSRC2:TIDIG_COMP_CNT: 0
; COMPUTE_PGM_RSRC3_GFX90A:ACCUM_OFFSET: 0
; COMPUTE_PGM_RSRC3_GFX90A:TG_SPLIT: 0
	.section	.text._ZN7rocprim17ROCPRIM_400000_NS6detail17trampoline_kernelINS0_14default_configENS1_25transform_config_selectorIdLb0EEEZNS1_14transform_implILb0ES3_S5_NS0_18transform_iteratorINS0_17counting_iteratorImlEEZNS1_24adjacent_difference_implIS3_Lb1ELb0EPdSB_N6thrust23THRUST_200600_302600_NS4plusIdEEEE10hipError_tPvRmT2_T3_mT4_P12ihipStream_tbEUlmE_dEESB_NS0_8identityIvEEEESG_SJ_SK_mSL_SN_bEUlT_E_NS1_11comp_targetILNS1_3genE10ELNS1_11target_archE1200ELNS1_3gpuE4ELNS1_3repE0EEENS1_30default_config_static_selectorELNS0_4arch9wavefront6targetE1EEEvT1_,"axG",@progbits,_ZN7rocprim17ROCPRIM_400000_NS6detail17trampoline_kernelINS0_14default_configENS1_25transform_config_selectorIdLb0EEEZNS1_14transform_implILb0ES3_S5_NS0_18transform_iteratorINS0_17counting_iteratorImlEEZNS1_24adjacent_difference_implIS3_Lb1ELb0EPdSB_N6thrust23THRUST_200600_302600_NS4plusIdEEEE10hipError_tPvRmT2_T3_mT4_P12ihipStream_tbEUlmE_dEESB_NS0_8identityIvEEEESG_SJ_SK_mSL_SN_bEUlT_E_NS1_11comp_targetILNS1_3genE10ELNS1_11target_archE1200ELNS1_3gpuE4ELNS1_3repE0EEENS1_30default_config_static_selectorELNS0_4arch9wavefront6targetE1EEEvT1_,comdat
	.protected	_ZN7rocprim17ROCPRIM_400000_NS6detail17trampoline_kernelINS0_14default_configENS1_25transform_config_selectorIdLb0EEEZNS1_14transform_implILb0ES3_S5_NS0_18transform_iteratorINS0_17counting_iteratorImlEEZNS1_24adjacent_difference_implIS3_Lb1ELb0EPdSB_N6thrust23THRUST_200600_302600_NS4plusIdEEEE10hipError_tPvRmT2_T3_mT4_P12ihipStream_tbEUlmE_dEESB_NS0_8identityIvEEEESG_SJ_SK_mSL_SN_bEUlT_E_NS1_11comp_targetILNS1_3genE10ELNS1_11target_archE1200ELNS1_3gpuE4ELNS1_3repE0EEENS1_30default_config_static_selectorELNS0_4arch9wavefront6targetE1EEEvT1_ ; -- Begin function _ZN7rocprim17ROCPRIM_400000_NS6detail17trampoline_kernelINS0_14default_configENS1_25transform_config_selectorIdLb0EEEZNS1_14transform_implILb0ES3_S5_NS0_18transform_iteratorINS0_17counting_iteratorImlEEZNS1_24adjacent_difference_implIS3_Lb1ELb0EPdSB_N6thrust23THRUST_200600_302600_NS4plusIdEEEE10hipError_tPvRmT2_T3_mT4_P12ihipStream_tbEUlmE_dEESB_NS0_8identityIvEEEESG_SJ_SK_mSL_SN_bEUlT_E_NS1_11comp_targetILNS1_3genE10ELNS1_11target_archE1200ELNS1_3gpuE4ELNS1_3repE0EEENS1_30default_config_static_selectorELNS0_4arch9wavefront6targetE1EEEvT1_
	.globl	_ZN7rocprim17ROCPRIM_400000_NS6detail17trampoline_kernelINS0_14default_configENS1_25transform_config_selectorIdLb0EEEZNS1_14transform_implILb0ES3_S5_NS0_18transform_iteratorINS0_17counting_iteratorImlEEZNS1_24adjacent_difference_implIS3_Lb1ELb0EPdSB_N6thrust23THRUST_200600_302600_NS4plusIdEEEE10hipError_tPvRmT2_T3_mT4_P12ihipStream_tbEUlmE_dEESB_NS0_8identityIvEEEESG_SJ_SK_mSL_SN_bEUlT_E_NS1_11comp_targetILNS1_3genE10ELNS1_11target_archE1200ELNS1_3gpuE4ELNS1_3repE0EEENS1_30default_config_static_selectorELNS0_4arch9wavefront6targetE1EEEvT1_
	.p2align	8
	.type	_ZN7rocprim17ROCPRIM_400000_NS6detail17trampoline_kernelINS0_14default_configENS1_25transform_config_selectorIdLb0EEEZNS1_14transform_implILb0ES3_S5_NS0_18transform_iteratorINS0_17counting_iteratorImlEEZNS1_24adjacent_difference_implIS3_Lb1ELb0EPdSB_N6thrust23THRUST_200600_302600_NS4plusIdEEEE10hipError_tPvRmT2_T3_mT4_P12ihipStream_tbEUlmE_dEESB_NS0_8identityIvEEEESG_SJ_SK_mSL_SN_bEUlT_E_NS1_11comp_targetILNS1_3genE10ELNS1_11target_archE1200ELNS1_3gpuE4ELNS1_3repE0EEENS1_30default_config_static_selectorELNS0_4arch9wavefront6targetE1EEEvT1_,@function
_ZN7rocprim17ROCPRIM_400000_NS6detail17trampoline_kernelINS0_14default_configENS1_25transform_config_selectorIdLb0EEEZNS1_14transform_implILb0ES3_S5_NS0_18transform_iteratorINS0_17counting_iteratorImlEEZNS1_24adjacent_difference_implIS3_Lb1ELb0EPdSB_N6thrust23THRUST_200600_302600_NS4plusIdEEEE10hipError_tPvRmT2_T3_mT4_P12ihipStream_tbEUlmE_dEESB_NS0_8identityIvEEEESG_SJ_SK_mSL_SN_bEUlT_E_NS1_11comp_targetILNS1_3genE10ELNS1_11target_archE1200ELNS1_3gpuE4ELNS1_3repE0EEENS1_30default_config_static_selectorELNS0_4arch9wavefront6targetE1EEEvT1_: ; @_ZN7rocprim17ROCPRIM_400000_NS6detail17trampoline_kernelINS0_14default_configENS1_25transform_config_selectorIdLb0EEEZNS1_14transform_implILb0ES3_S5_NS0_18transform_iteratorINS0_17counting_iteratorImlEEZNS1_24adjacent_difference_implIS3_Lb1ELb0EPdSB_N6thrust23THRUST_200600_302600_NS4plusIdEEEE10hipError_tPvRmT2_T3_mT4_P12ihipStream_tbEUlmE_dEESB_NS0_8identityIvEEEESG_SJ_SK_mSL_SN_bEUlT_E_NS1_11comp_targetILNS1_3genE10ELNS1_11target_archE1200ELNS1_3gpuE4ELNS1_3repE0EEENS1_30default_config_static_selectorELNS0_4arch9wavefront6targetE1EEEvT1_
; %bb.0:
	.section	.rodata,"a",@progbits
	.p2align	6, 0x0
	.amdhsa_kernel _ZN7rocprim17ROCPRIM_400000_NS6detail17trampoline_kernelINS0_14default_configENS1_25transform_config_selectorIdLb0EEEZNS1_14transform_implILb0ES3_S5_NS0_18transform_iteratorINS0_17counting_iteratorImlEEZNS1_24adjacent_difference_implIS3_Lb1ELb0EPdSB_N6thrust23THRUST_200600_302600_NS4plusIdEEEE10hipError_tPvRmT2_T3_mT4_P12ihipStream_tbEUlmE_dEESB_NS0_8identityIvEEEESG_SJ_SK_mSL_SN_bEUlT_E_NS1_11comp_targetILNS1_3genE10ELNS1_11target_archE1200ELNS1_3gpuE4ELNS1_3repE0EEENS1_30default_config_static_selectorELNS0_4arch9wavefront6targetE1EEEvT1_
		.amdhsa_group_segment_fixed_size 0
		.amdhsa_private_segment_fixed_size 0
		.amdhsa_kernarg_size 56
		.amdhsa_user_sgpr_count 6
		.amdhsa_user_sgpr_private_segment_buffer 1
		.amdhsa_user_sgpr_dispatch_ptr 0
		.amdhsa_user_sgpr_queue_ptr 0
		.amdhsa_user_sgpr_kernarg_segment_ptr 1
		.amdhsa_user_sgpr_dispatch_id 0
		.amdhsa_user_sgpr_flat_scratch_init 0
		.amdhsa_user_sgpr_kernarg_preload_length 0
		.amdhsa_user_sgpr_kernarg_preload_offset 0
		.amdhsa_user_sgpr_private_segment_size 0
		.amdhsa_uses_dynamic_stack 0
		.amdhsa_system_sgpr_private_segment_wavefront_offset 0
		.amdhsa_system_sgpr_workgroup_id_x 1
		.amdhsa_system_sgpr_workgroup_id_y 0
		.amdhsa_system_sgpr_workgroup_id_z 0
		.amdhsa_system_sgpr_workgroup_info 0
		.amdhsa_system_vgpr_workitem_id 0
		.amdhsa_next_free_vgpr 1
		.amdhsa_next_free_sgpr 0
		.amdhsa_accum_offset 4
		.amdhsa_reserve_vcc 0
		.amdhsa_reserve_flat_scratch 0
		.amdhsa_float_round_mode_32 0
		.amdhsa_float_round_mode_16_64 0
		.amdhsa_float_denorm_mode_32 3
		.amdhsa_float_denorm_mode_16_64 3
		.amdhsa_dx10_clamp 1
		.amdhsa_ieee_mode 1
		.amdhsa_fp16_overflow 0
		.amdhsa_tg_split 0
		.amdhsa_exception_fp_ieee_invalid_op 0
		.amdhsa_exception_fp_denorm_src 0
		.amdhsa_exception_fp_ieee_div_zero 0
		.amdhsa_exception_fp_ieee_overflow 0
		.amdhsa_exception_fp_ieee_underflow 0
		.amdhsa_exception_fp_ieee_inexact 0
		.amdhsa_exception_int_div_zero 0
	.end_amdhsa_kernel
	.section	.text._ZN7rocprim17ROCPRIM_400000_NS6detail17trampoline_kernelINS0_14default_configENS1_25transform_config_selectorIdLb0EEEZNS1_14transform_implILb0ES3_S5_NS0_18transform_iteratorINS0_17counting_iteratorImlEEZNS1_24adjacent_difference_implIS3_Lb1ELb0EPdSB_N6thrust23THRUST_200600_302600_NS4plusIdEEEE10hipError_tPvRmT2_T3_mT4_P12ihipStream_tbEUlmE_dEESB_NS0_8identityIvEEEESG_SJ_SK_mSL_SN_bEUlT_E_NS1_11comp_targetILNS1_3genE10ELNS1_11target_archE1200ELNS1_3gpuE4ELNS1_3repE0EEENS1_30default_config_static_selectorELNS0_4arch9wavefront6targetE1EEEvT1_,"axG",@progbits,_ZN7rocprim17ROCPRIM_400000_NS6detail17trampoline_kernelINS0_14default_configENS1_25transform_config_selectorIdLb0EEEZNS1_14transform_implILb0ES3_S5_NS0_18transform_iteratorINS0_17counting_iteratorImlEEZNS1_24adjacent_difference_implIS3_Lb1ELb0EPdSB_N6thrust23THRUST_200600_302600_NS4plusIdEEEE10hipError_tPvRmT2_T3_mT4_P12ihipStream_tbEUlmE_dEESB_NS0_8identityIvEEEESG_SJ_SK_mSL_SN_bEUlT_E_NS1_11comp_targetILNS1_3genE10ELNS1_11target_archE1200ELNS1_3gpuE4ELNS1_3repE0EEENS1_30default_config_static_selectorELNS0_4arch9wavefront6targetE1EEEvT1_,comdat
.Lfunc_end455:
	.size	_ZN7rocprim17ROCPRIM_400000_NS6detail17trampoline_kernelINS0_14default_configENS1_25transform_config_selectorIdLb0EEEZNS1_14transform_implILb0ES3_S5_NS0_18transform_iteratorINS0_17counting_iteratorImlEEZNS1_24adjacent_difference_implIS3_Lb1ELb0EPdSB_N6thrust23THRUST_200600_302600_NS4plusIdEEEE10hipError_tPvRmT2_T3_mT4_P12ihipStream_tbEUlmE_dEESB_NS0_8identityIvEEEESG_SJ_SK_mSL_SN_bEUlT_E_NS1_11comp_targetILNS1_3genE10ELNS1_11target_archE1200ELNS1_3gpuE4ELNS1_3repE0EEENS1_30default_config_static_selectorELNS0_4arch9wavefront6targetE1EEEvT1_, .Lfunc_end455-_ZN7rocprim17ROCPRIM_400000_NS6detail17trampoline_kernelINS0_14default_configENS1_25transform_config_selectorIdLb0EEEZNS1_14transform_implILb0ES3_S5_NS0_18transform_iteratorINS0_17counting_iteratorImlEEZNS1_24adjacent_difference_implIS3_Lb1ELb0EPdSB_N6thrust23THRUST_200600_302600_NS4plusIdEEEE10hipError_tPvRmT2_T3_mT4_P12ihipStream_tbEUlmE_dEESB_NS0_8identityIvEEEESG_SJ_SK_mSL_SN_bEUlT_E_NS1_11comp_targetILNS1_3genE10ELNS1_11target_archE1200ELNS1_3gpuE4ELNS1_3repE0EEENS1_30default_config_static_selectorELNS0_4arch9wavefront6targetE1EEEvT1_
                                        ; -- End function
	.section	.AMDGPU.csdata,"",@progbits
; Kernel info:
; codeLenInByte = 0
; NumSgprs: 4
; NumVgprs: 0
; NumAgprs: 0
; TotalNumVgprs: 0
; ScratchSize: 0
; MemoryBound: 0
; FloatMode: 240
; IeeeMode: 1
; LDSByteSize: 0 bytes/workgroup (compile time only)
; SGPRBlocks: 0
; VGPRBlocks: 0
; NumSGPRsForWavesPerEU: 4
; NumVGPRsForWavesPerEU: 1
; AccumOffset: 4
; Occupancy: 8
; WaveLimiterHint : 0
; COMPUTE_PGM_RSRC2:SCRATCH_EN: 0
; COMPUTE_PGM_RSRC2:USER_SGPR: 6
; COMPUTE_PGM_RSRC2:TRAP_HANDLER: 0
; COMPUTE_PGM_RSRC2:TGID_X_EN: 1
; COMPUTE_PGM_RSRC2:TGID_Y_EN: 0
; COMPUTE_PGM_RSRC2:TGID_Z_EN: 0
; COMPUTE_PGM_RSRC2:TIDIG_COMP_CNT: 0
; COMPUTE_PGM_RSRC3_GFX90A:ACCUM_OFFSET: 0
; COMPUTE_PGM_RSRC3_GFX90A:TG_SPLIT: 0
	.section	.text._ZN7rocprim17ROCPRIM_400000_NS6detail17trampoline_kernelINS0_14default_configENS1_25transform_config_selectorIdLb0EEEZNS1_14transform_implILb0ES3_S5_NS0_18transform_iteratorINS0_17counting_iteratorImlEEZNS1_24adjacent_difference_implIS3_Lb1ELb0EPdSB_N6thrust23THRUST_200600_302600_NS4plusIdEEEE10hipError_tPvRmT2_T3_mT4_P12ihipStream_tbEUlmE_dEESB_NS0_8identityIvEEEESG_SJ_SK_mSL_SN_bEUlT_E_NS1_11comp_targetILNS1_3genE9ELNS1_11target_archE1100ELNS1_3gpuE3ELNS1_3repE0EEENS1_30default_config_static_selectorELNS0_4arch9wavefront6targetE1EEEvT1_,"axG",@progbits,_ZN7rocprim17ROCPRIM_400000_NS6detail17trampoline_kernelINS0_14default_configENS1_25transform_config_selectorIdLb0EEEZNS1_14transform_implILb0ES3_S5_NS0_18transform_iteratorINS0_17counting_iteratorImlEEZNS1_24adjacent_difference_implIS3_Lb1ELb0EPdSB_N6thrust23THRUST_200600_302600_NS4plusIdEEEE10hipError_tPvRmT2_T3_mT4_P12ihipStream_tbEUlmE_dEESB_NS0_8identityIvEEEESG_SJ_SK_mSL_SN_bEUlT_E_NS1_11comp_targetILNS1_3genE9ELNS1_11target_archE1100ELNS1_3gpuE3ELNS1_3repE0EEENS1_30default_config_static_selectorELNS0_4arch9wavefront6targetE1EEEvT1_,comdat
	.protected	_ZN7rocprim17ROCPRIM_400000_NS6detail17trampoline_kernelINS0_14default_configENS1_25transform_config_selectorIdLb0EEEZNS1_14transform_implILb0ES3_S5_NS0_18transform_iteratorINS0_17counting_iteratorImlEEZNS1_24adjacent_difference_implIS3_Lb1ELb0EPdSB_N6thrust23THRUST_200600_302600_NS4plusIdEEEE10hipError_tPvRmT2_T3_mT4_P12ihipStream_tbEUlmE_dEESB_NS0_8identityIvEEEESG_SJ_SK_mSL_SN_bEUlT_E_NS1_11comp_targetILNS1_3genE9ELNS1_11target_archE1100ELNS1_3gpuE3ELNS1_3repE0EEENS1_30default_config_static_selectorELNS0_4arch9wavefront6targetE1EEEvT1_ ; -- Begin function _ZN7rocprim17ROCPRIM_400000_NS6detail17trampoline_kernelINS0_14default_configENS1_25transform_config_selectorIdLb0EEEZNS1_14transform_implILb0ES3_S5_NS0_18transform_iteratorINS0_17counting_iteratorImlEEZNS1_24adjacent_difference_implIS3_Lb1ELb0EPdSB_N6thrust23THRUST_200600_302600_NS4plusIdEEEE10hipError_tPvRmT2_T3_mT4_P12ihipStream_tbEUlmE_dEESB_NS0_8identityIvEEEESG_SJ_SK_mSL_SN_bEUlT_E_NS1_11comp_targetILNS1_3genE9ELNS1_11target_archE1100ELNS1_3gpuE3ELNS1_3repE0EEENS1_30default_config_static_selectorELNS0_4arch9wavefront6targetE1EEEvT1_
	.globl	_ZN7rocprim17ROCPRIM_400000_NS6detail17trampoline_kernelINS0_14default_configENS1_25transform_config_selectorIdLb0EEEZNS1_14transform_implILb0ES3_S5_NS0_18transform_iteratorINS0_17counting_iteratorImlEEZNS1_24adjacent_difference_implIS3_Lb1ELb0EPdSB_N6thrust23THRUST_200600_302600_NS4plusIdEEEE10hipError_tPvRmT2_T3_mT4_P12ihipStream_tbEUlmE_dEESB_NS0_8identityIvEEEESG_SJ_SK_mSL_SN_bEUlT_E_NS1_11comp_targetILNS1_3genE9ELNS1_11target_archE1100ELNS1_3gpuE3ELNS1_3repE0EEENS1_30default_config_static_selectorELNS0_4arch9wavefront6targetE1EEEvT1_
	.p2align	8
	.type	_ZN7rocprim17ROCPRIM_400000_NS6detail17trampoline_kernelINS0_14default_configENS1_25transform_config_selectorIdLb0EEEZNS1_14transform_implILb0ES3_S5_NS0_18transform_iteratorINS0_17counting_iteratorImlEEZNS1_24adjacent_difference_implIS3_Lb1ELb0EPdSB_N6thrust23THRUST_200600_302600_NS4plusIdEEEE10hipError_tPvRmT2_T3_mT4_P12ihipStream_tbEUlmE_dEESB_NS0_8identityIvEEEESG_SJ_SK_mSL_SN_bEUlT_E_NS1_11comp_targetILNS1_3genE9ELNS1_11target_archE1100ELNS1_3gpuE3ELNS1_3repE0EEENS1_30default_config_static_selectorELNS0_4arch9wavefront6targetE1EEEvT1_,@function
_ZN7rocprim17ROCPRIM_400000_NS6detail17trampoline_kernelINS0_14default_configENS1_25transform_config_selectorIdLb0EEEZNS1_14transform_implILb0ES3_S5_NS0_18transform_iteratorINS0_17counting_iteratorImlEEZNS1_24adjacent_difference_implIS3_Lb1ELb0EPdSB_N6thrust23THRUST_200600_302600_NS4plusIdEEEE10hipError_tPvRmT2_T3_mT4_P12ihipStream_tbEUlmE_dEESB_NS0_8identityIvEEEESG_SJ_SK_mSL_SN_bEUlT_E_NS1_11comp_targetILNS1_3genE9ELNS1_11target_archE1100ELNS1_3gpuE3ELNS1_3repE0EEENS1_30default_config_static_selectorELNS0_4arch9wavefront6targetE1EEEvT1_: ; @_ZN7rocprim17ROCPRIM_400000_NS6detail17trampoline_kernelINS0_14default_configENS1_25transform_config_selectorIdLb0EEEZNS1_14transform_implILb0ES3_S5_NS0_18transform_iteratorINS0_17counting_iteratorImlEEZNS1_24adjacent_difference_implIS3_Lb1ELb0EPdSB_N6thrust23THRUST_200600_302600_NS4plusIdEEEE10hipError_tPvRmT2_T3_mT4_P12ihipStream_tbEUlmE_dEESB_NS0_8identityIvEEEESG_SJ_SK_mSL_SN_bEUlT_E_NS1_11comp_targetILNS1_3genE9ELNS1_11target_archE1100ELNS1_3gpuE3ELNS1_3repE0EEENS1_30default_config_static_selectorELNS0_4arch9wavefront6targetE1EEEvT1_
; %bb.0:
	.section	.rodata,"a",@progbits
	.p2align	6, 0x0
	.amdhsa_kernel _ZN7rocprim17ROCPRIM_400000_NS6detail17trampoline_kernelINS0_14default_configENS1_25transform_config_selectorIdLb0EEEZNS1_14transform_implILb0ES3_S5_NS0_18transform_iteratorINS0_17counting_iteratorImlEEZNS1_24adjacent_difference_implIS3_Lb1ELb0EPdSB_N6thrust23THRUST_200600_302600_NS4plusIdEEEE10hipError_tPvRmT2_T3_mT4_P12ihipStream_tbEUlmE_dEESB_NS0_8identityIvEEEESG_SJ_SK_mSL_SN_bEUlT_E_NS1_11comp_targetILNS1_3genE9ELNS1_11target_archE1100ELNS1_3gpuE3ELNS1_3repE0EEENS1_30default_config_static_selectorELNS0_4arch9wavefront6targetE1EEEvT1_
		.amdhsa_group_segment_fixed_size 0
		.amdhsa_private_segment_fixed_size 0
		.amdhsa_kernarg_size 56
		.amdhsa_user_sgpr_count 6
		.amdhsa_user_sgpr_private_segment_buffer 1
		.amdhsa_user_sgpr_dispatch_ptr 0
		.amdhsa_user_sgpr_queue_ptr 0
		.amdhsa_user_sgpr_kernarg_segment_ptr 1
		.amdhsa_user_sgpr_dispatch_id 0
		.amdhsa_user_sgpr_flat_scratch_init 0
		.amdhsa_user_sgpr_kernarg_preload_length 0
		.amdhsa_user_sgpr_kernarg_preload_offset 0
		.amdhsa_user_sgpr_private_segment_size 0
		.amdhsa_uses_dynamic_stack 0
		.amdhsa_system_sgpr_private_segment_wavefront_offset 0
		.amdhsa_system_sgpr_workgroup_id_x 1
		.amdhsa_system_sgpr_workgroup_id_y 0
		.amdhsa_system_sgpr_workgroup_id_z 0
		.amdhsa_system_sgpr_workgroup_info 0
		.amdhsa_system_vgpr_workitem_id 0
		.amdhsa_next_free_vgpr 1
		.amdhsa_next_free_sgpr 0
		.amdhsa_accum_offset 4
		.amdhsa_reserve_vcc 0
		.amdhsa_reserve_flat_scratch 0
		.amdhsa_float_round_mode_32 0
		.amdhsa_float_round_mode_16_64 0
		.amdhsa_float_denorm_mode_32 3
		.amdhsa_float_denorm_mode_16_64 3
		.amdhsa_dx10_clamp 1
		.amdhsa_ieee_mode 1
		.amdhsa_fp16_overflow 0
		.amdhsa_tg_split 0
		.amdhsa_exception_fp_ieee_invalid_op 0
		.amdhsa_exception_fp_denorm_src 0
		.amdhsa_exception_fp_ieee_div_zero 0
		.amdhsa_exception_fp_ieee_overflow 0
		.amdhsa_exception_fp_ieee_underflow 0
		.amdhsa_exception_fp_ieee_inexact 0
		.amdhsa_exception_int_div_zero 0
	.end_amdhsa_kernel
	.section	.text._ZN7rocprim17ROCPRIM_400000_NS6detail17trampoline_kernelINS0_14default_configENS1_25transform_config_selectorIdLb0EEEZNS1_14transform_implILb0ES3_S5_NS0_18transform_iteratorINS0_17counting_iteratorImlEEZNS1_24adjacent_difference_implIS3_Lb1ELb0EPdSB_N6thrust23THRUST_200600_302600_NS4plusIdEEEE10hipError_tPvRmT2_T3_mT4_P12ihipStream_tbEUlmE_dEESB_NS0_8identityIvEEEESG_SJ_SK_mSL_SN_bEUlT_E_NS1_11comp_targetILNS1_3genE9ELNS1_11target_archE1100ELNS1_3gpuE3ELNS1_3repE0EEENS1_30default_config_static_selectorELNS0_4arch9wavefront6targetE1EEEvT1_,"axG",@progbits,_ZN7rocprim17ROCPRIM_400000_NS6detail17trampoline_kernelINS0_14default_configENS1_25transform_config_selectorIdLb0EEEZNS1_14transform_implILb0ES3_S5_NS0_18transform_iteratorINS0_17counting_iteratorImlEEZNS1_24adjacent_difference_implIS3_Lb1ELb0EPdSB_N6thrust23THRUST_200600_302600_NS4plusIdEEEE10hipError_tPvRmT2_T3_mT4_P12ihipStream_tbEUlmE_dEESB_NS0_8identityIvEEEESG_SJ_SK_mSL_SN_bEUlT_E_NS1_11comp_targetILNS1_3genE9ELNS1_11target_archE1100ELNS1_3gpuE3ELNS1_3repE0EEENS1_30default_config_static_selectorELNS0_4arch9wavefront6targetE1EEEvT1_,comdat
.Lfunc_end456:
	.size	_ZN7rocprim17ROCPRIM_400000_NS6detail17trampoline_kernelINS0_14default_configENS1_25transform_config_selectorIdLb0EEEZNS1_14transform_implILb0ES3_S5_NS0_18transform_iteratorINS0_17counting_iteratorImlEEZNS1_24adjacent_difference_implIS3_Lb1ELb0EPdSB_N6thrust23THRUST_200600_302600_NS4plusIdEEEE10hipError_tPvRmT2_T3_mT4_P12ihipStream_tbEUlmE_dEESB_NS0_8identityIvEEEESG_SJ_SK_mSL_SN_bEUlT_E_NS1_11comp_targetILNS1_3genE9ELNS1_11target_archE1100ELNS1_3gpuE3ELNS1_3repE0EEENS1_30default_config_static_selectorELNS0_4arch9wavefront6targetE1EEEvT1_, .Lfunc_end456-_ZN7rocprim17ROCPRIM_400000_NS6detail17trampoline_kernelINS0_14default_configENS1_25transform_config_selectorIdLb0EEEZNS1_14transform_implILb0ES3_S5_NS0_18transform_iteratorINS0_17counting_iteratorImlEEZNS1_24adjacent_difference_implIS3_Lb1ELb0EPdSB_N6thrust23THRUST_200600_302600_NS4plusIdEEEE10hipError_tPvRmT2_T3_mT4_P12ihipStream_tbEUlmE_dEESB_NS0_8identityIvEEEESG_SJ_SK_mSL_SN_bEUlT_E_NS1_11comp_targetILNS1_3genE9ELNS1_11target_archE1100ELNS1_3gpuE3ELNS1_3repE0EEENS1_30default_config_static_selectorELNS0_4arch9wavefront6targetE1EEEvT1_
                                        ; -- End function
	.section	.AMDGPU.csdata,"",@progbits
; Kernel info:
; codeLenInByte = 0
; NumSgprs: 4
; NumVgprs: 0
; NumAgprs: 0
; TotalNumVgprs: 0
; ScratchSize: 0
; MemoryBound: 0
; FloatMode: 240
; IeeeMode: 1
; LDSByteSize: 0 bytes/workgroup (compile time only)
; SGPRBlocks: 0
; VGPRBlocks: 0
; NumSGPRsForWavesPerEU: 4
; NumVGPRsForWavesPerEU: 1
; AccumOffset: 4
; Occupancy: 8
; WaveLimiterHint : 0
; COMPUTE_PGM_RSRC2:SCRATCH_EN: 0
; COMPUTE_PGM_RSRC2:USER_SGPR: 6
; COMPUTE_PGM_RSRC2:TRAP_HANDLER: 0
; COMPUTE_PGM_RSRC2:TGID_X_EN: 1
; COMPUTE_PGM_RSRC2:TGID_Y_EN: 0
; COMPUTE_PGM_RSRC2:TGID_Z_EN: 0
; COMPUTE_PGM_RSRC2:TIDIG_COMP_CNT: 0
; COMPUTE_PGM_RSRC3_GFX90A:ACCUM_OFFSET: 0
; COMPUTE_PGM_RSRC3_GFX90A:TG_SPLIT: 0
	.section	.text._ZN7rocprim17ROCPRIM_400000_NS6detail17trampoline_kernelINS0_14default_configENS1_25transform_config_selectorIdLb0EEEZNS1_14transform_implILb0ES3_S5_NS0_18transform_iteratorINS0_17counting_iteratorImlEEZNS1_24adjacent_difference_implIS3_Lb1ELb0EPdSB_N6thrust23THRUST_200600_302600_NS4plusIdEEEE10hipError_tPvRmT2_T3_mT4_P12ihipStream_tbEUlmE_dEESB_NS0_8identityIvEEEESG_SJ_SK_mSL_SN_bEUlT_E_NS1_11comp_targetILNS1_3genE8ELNS1_11target_archE1030ELNS1_3gpuE2ELNS1_3repE0EEENS1_30default_config_static_selectorELNS0_4arch9wavefront6targetE1EEEvT1_,"axG",@progbits,_ZN7rocprim17ROCPRIM_400000_NS6detail17trampoline_kernelINS0_14default_configENS1_25transform_config_selectorIdLb0EEEZNS1_14transform_implILb0ES3_S5_NS0_18transform_iteratorINS0_17counting_iteratorImlEEZNS1_24adjacent_difference_implIS3_Lb1ELb0EPdSB_N6thrust23THRUST_200600_302600_NS4plusIdEEEE10hipError_tPvRmT2_T3_mT4_P12ihipStream_tbEUlmE_dEESB_NS0_8identityIvEEEESG_SJ_SK_mSL_SN_bEUlT_E_NS1_11comp_targetILNS1_3genE8ELNS1_11target_archE1030ELNS1_3gpuE2ELNS1_3repE0EEENS1_30default_config_static_selectorELNS0_4arch9wavefront6targetE1EEEvT1_,comdat
	.protected	_ZN7rocprim17ROCPRIM_400000_NS6detail17trampoline_kernelINS0_14default_configENS1_25transform_config_selectorIdLb0EEEZNS1_14transform_implILb0ES3_S5_NS0_18transform_iteratorINS0_17counting_iteratorImlEEZNS1_24adjacent_difference_implIS3_Lb1ELb0EPdSB_N6thrust23THRUST_200600_302600_NS4plusIdEEEE10hipError_tPvRmT2_T3_mT4_P12ihipStream_tbEUlmE_dEESB_NS0_8identityIvEEEESG_SJ_SK_mSL_SN_bEUlT_E_NS1_11comp_targetILNS1_3genE8ELNS1_11target_archE1030ELNS1_3gpuE2ELNS1_3repE0EEENS1_30default_config_static_selectorELNS0_4arch9wavefront6targetE1EEEvT1_ ; -- Begin function _ZN7rocprim17ROCPRIM_400000_NS6detail17trampoline_kernelINS0_14default_configENS1_25transform_config_selectorIdLb0EEEZNS1_14transform_implILb0ES3_S5_NS0_18transform_iteratorINS0_17counting_iteratorImlEEZNS1_24adjacent_difference_implIS3_Lb1ELb0EPdSB_N6thrust23THRUST_200600_302600_NS4plusIdEEEE10hipError_tPvRmT2_T3_mT4_P12ihipStream_tbEUlmE_dEESB_NS0_8identityIvEEEESG_SJ_SK_mSL_SN_bEUlT_E_NS1_11comp_targetILNS1_3genE8ELNS1_11target_archE1030ELNS1_3gpuE2ELNS1_3repE0EEENS1_30default_config_static_selectorELNS0_4arch9wavefront6targetE1EEEvT1_
	.globl	_ZN7rocprim17ROCPRIM_400000_NS6detail17trampoline_kernelINS0_14default_configENS1_25transform_config_selectorIdLb0EEEZNS1_14transform_implILb0ES3_S5_NS0_18transform_iteratorINS0_17counting_iteratorImlEEZNS1_24adjacent_difference_implIS3_Lb1ELb0EPdSB_N6thrust23THRUST_200600_302600_NS4plusIdEEEE10hipError_tPvRmT2_T3_mT4_P12ihipStream_tbEUlmE_dEESB_NS0_8identityIvEEEESG_SJ_SK_mSL_SN_bEUlT_E_NS1_11comp_targetILNS1_3genE8ELNS1_11target_archE1030ELNS1_3gpuE2ELNS1_3repE0EEENS1_30default_config_static_selectorELNS0_4arch9wavefront6targetE1EEEvT1_
	.p2align	8
	.type	_ZN7rocprim17ROCPRIM_400000_NS6detail17trampoline_kernelINS0_14default_configENS1_25transform_config_selectorIdLb0EEEZNS1_14transform_implILb0ES3_S5_NS0_18transform_iteratorINS0_17counting_iteratorImlEEZNS1_24adjacent_difference_implIS3_Lb1ELb0EPdSB_N6thrust23THRUST_200600_302600_NS4plusIdEEEE10hipError_tPvRmT2_T3_mT4_P12ihipStream_tbEUlmE_dEESB_NS0_8identityIvEEEESG_SJ_SK_mSL_SN_bEUlT_E_NS1_11comp_targetILNS1_3genE8ELNS1_11target_archE1030ELNS1_3gpuE2ELNS1_3repE0EEENS1_30default_config_static_selectorELNS0_4arch9wavefront6targetE1EEEvT1_,@function
_ZN7rocprim17ROCPRIM_400000_NS6detail17trampoline_kernelINS0_14default_configENS1_25transform_config_selectorIdLb0EEEZNS1_14transform_implILb0ES3_S5_NS0_18transform_iteratorINS0_17counting_iteratorImlEEZNS1_24adjacent_difference_implIS3_Lb1ELb0EPdSB_N6thrust23THRUST_200600_302600_NS4plusIdEEEE10hipError_tPvRmT2_T3_mT4_P12ihipStream_tbEUlmE_dEESB_NS0_8identityIvEEEESG_SJ_SK_mSL_SN_bEUlT_E_NS1_11comp_targetILNS1_3genE8ELNS1_11target_archE1030ELNS1_3gpuE2ELNS1_3repE0EEENS1_30default_config_static_selectorELNS0_4arch9wavefront6targetE1EEEvT1_: ; @_ZN7rocprim17ROCPRIM_400000_NS6detail17trampoline_kernelINS0_14default_configENS1_25transform_config_selectorIdLb0EEEZNS1_14transform_implILb0ES3_S5_NS0_18transform_iteratorINS0_17counting_iteratorImlEEZNS1_24adjacent_difference_implIS3_Lb1ELb0EPdSB_N6thrust23THRUST_200600_302600_NS4plusIdEEEE10hipError_tPvRmT2_T3_mT4_P12ihipStream_tbEUlmE_dEESB_NS0_8identityIvEEEESG_SJ_SK_mSL_SN_bEUlT_E_NS1_11comp_targetILNS1_3genE8ELNS1_11target_archE1030ELNS1_3gpuE2ELNS1_3repE0EEENS1_30default_config_static_selectorELNS0_4arch9wavefront6targetE1EEEvT1_
; %bb.0:
	.section	.rodata,"a",@progbits
	.p2align	6, 0x0
	.amdhsa_kernel _ZN7rocprim17ROCPRIM_400000_NS6detail17trampoline_kernelINS0_14default_configENS1_25transform_config_selectorIdLb0EEEZNS1_14transform_implILb0ES3_S5_NS0_18transform_iteratorINS0_17counting_iteratorImlEEZNS1_24adjacent_difference_implIS3_Lb1ELb0EPdSB_N6thrust23THRUST_200600_302600_NS4plusIdEEEE10hipError_tPvRmT2_T3_mT4_P12ihipStream_tbEUlmE_dEESB_NS0_8identityIvEEEESG_SJ_SK_mSL_SN_bEUlT_E_NS1_11comp_targetILNS1_3genE8ELNS1_11target_archE1030ELNS1_3gpuE2ELNS1_3repE0EEENS1_30default_config_static_selectorELNS0_4arch9wavefront6targetE1EEEvT1_
		.amdhsa_group_segment_fixed_size 0
		.amdhsa_private_segment_fixed_size 0
		.amdhsa_kernarg_size 56
		.amdhsa_user_sgpr_count 6
		.amdhsa_user_sgpr_private_segment_buffer 1
		.amdhsa_user_sgpr_dispatch_ptr 0
		.amdhsa_user_sgpr_queue_ptr 0
		.amdhsa_user_sgpr_kernarg_segment_ptr 1
		.amdhsa_user_sgpr_dispatch_id 0
		.amdhsa_user_sgpr_flat_scratch_init 0
		.amdhsa_user_sgpr_kernarg_preload_length 0
		.amdhsa_user_sgpr_kernarg_preload_offset 0
		.amdhsa_user_sgpr_private_segment_size 0
		.amdhsa_uses_dynamic_stack 0
		.amdhsa_system_sgpr_private_segment_wavefront_offset 0
		.amdhsa_system_sgpr_workgroup_id_x 1
		.amdhsa_system_sgpr_workgroup_id_y 0
		.amdhsa_system_sgpr_workgroup_id_z 0
		.amdhsa_system_sgpr_workgroup_info 0
		.amdhsa_system_vgpr_workitem_id 0
		.amdhsa_next_free_vgpr 1
		.amdhsa_next_free_sgpr 0
		.amdhsa_accum_offset 4
		.amdhsa_reserve_vcc 0
		.amdhsa_reserve_flat_scratch 0
		.amdhsa_float_round_mode_32 0
		.amdhsa_float_round_mode_16_64 0
		.amdhsa_float_denorm_mode_32 3
		.amdhsa_float_denorm_mode_16_64 3
		.amdhsa_dx10_clamp 1
		.amdhsa_ieee_mode 1
		.amdhsa_fp16_overflow 0
		.amdhsa_tg_split 0
		.amdhsa_exception_fp_ieee_invalid_op 0
		.amdhsa_exception_fp_denorm_src 0
		.amdhsa_exception_fp_ieee_div_zero 0
		.amdhsa_exception_fp_ieee_overflow 0
		.amdhsa_exception_fp_ieee_underflow 0
		.amdhsa_exception_fp_ieee_inexact 0
		.amdhsa_exception_int_div_zero 0
	.end_amdhsa_kernel
	.section	.text._ZN7rocprim17ROCPRIM_400000_NS6detail17trampoline_kernelINS0_14default_configENS1_25transform_config_selectorIdLb0EEEZNS1_14transform_implILb0ES3_S5_NS0_18transform_iteratorINS0_17counting_iteratorImlEEZNS1_24adjacent_difference_implIS3_Lb1ELb0EPdSB_N6thrust23THRUST_200600_302600_NS4plusIdEEEE10hipError_tPvRmT2_T3_mT4_P12ihipStream_tbEUlmE_dEESB_NS0_8identityIvEEEESG_SJ_SK_mSL_SN_bEUlT_E_NS1_11comp_targetILNS1_3genE8ELNS1_11target_archE1030ELNS1_3gpuE2ELNS1_3repE0EEENS1_30default_config_static_selectorELNS0_4arch9wavefront6targetE1EEEvT1_,"axG",@progbits,_ZN7rocprim17ROCPRIM_400000_NS6detail17trampoline_kernelINS0_14default_configENS1_25transform_config_selectorIdLb0EEEZNS1_14transform_implILb0ES3_S5_NS0_18transform_iteratorINS0_17counting_iteratorImlEEZNS1_24adjacent_difference_implIS3_Lb1ELb0EPdSB_N6thrust23THRUST_200600_302600_NS4plusIdEEEE10hipError_tPvRmT2_T3_mT4_P12ihipStream_tbEUlmE_dEESB_NS0_8identityIvEEEESG_SJ_SK_mSL_SN_bEUlT_E_NS1_11comp_targetILNS1_3genE8ELNS1_11target_archE1030ELNS1_3gpuE2ELNS1_3repE0EEENS1_30default_config_static_selectorELNS0_4arch9wavefront6targetE1EEEvT1_,comdat
.Lfunc_end457:
	.size	_ZN7rocprim17ROCPRIM_400000_NS6detail17trampoline_kernelINS0_14default_configENS1_25transform_config_selectorIdLb0EEEZNS1_14transform_implILb0ES3_S5_NS0_18transform_iteratorINS0_17counting_iteratorImlEEZNS1_24adjacent_difference_implIS3_Lb1ELb0EPdSB_N6thrust23THRUST_200600_302600_NS4plusIdEEEE10hipError_tPvRmT2_T3_mT4_P12ihipStream_tbEUlmE_dEESB_NS0_8identityIvEEEESG_SJ_SK_mSL_SN_bEUlT_E_NS1_11comp_targetILNS1_3genE8ELNS1_11target_archE1030ELNS1_3gpuE2ELNS1_3repE0EEENS1_30default_config_static_selectorELNS0_4arch9wavefront6targetE1EEEvT1_, .Lfunc_end457-_ZN7rocprim17ROCPRIM_400000_NS6detail17trampoline_kernelINS0_14default_configENS1_25transform_config_selectorIdLb0EEEZNS1_14transform_implILb0ES3_S5_NS0_18transform_iteratorINS0_17counting_iteratorImlEEZNS1_24adjacent_difference_implIS3_Lb1ELb0EPdSB_N6thrust23THRUST_200600_302600_NS4plusIdEEEE10hipError_tPvRmT2_T3_mT4_P12ihipStream_tbEUlmE_dEESB_NS0_8identityIvEEEESG_SJ_SK_mSL_SN_bEUlT_E_NS1_11comp_targetILNS1_3genE8ELNS1_11target_archE1030ELNS1_3gpuE2ELNS1_3repE0EEENS1_30default_config_static_selectorELNS0_4arch9wavefront6targetE1EEEvT1_
                                        ; -- End function
	.section	.AMDGPU.csdata,"",@progbits
; Kernel info:
; codeLenInByte = 0
; NumSgprs: 4
; NumVgprs: 0
; NumAgprs: 0
; TotalNumVgprs: 0
; ScratchSize: 0
; MemoryBound: 0
; FloatMode: 240
; IeeeMode: 1
; LDSByteSize: 0 bytes/workgroup (compile time only)
; SGPRBlocks: 0
; VGPRBlocks: 0
; NumSGPRsForWavesPerEU: 4
; NumVGPRsForWavesPerEU: 1
; AccumOffset: 4
; Occupancy: 8
; WaveLimiterHint : 0
; COMPUTE_PGM_RSRC2:SCRATCH_EN: 0
; COMPUTE_PGM_RSRC2:USER_SGPR: 6
; COMPUTE_PGM_RSRC2:TRAP_HANDLER: 0
; COMPUTE_PGM_RSRC2:TGID_X_EN: 1
; COMPUTE_PGM_RSRC2:TGID_Y_EN: 0
; COMPUTE_PGM_RSRC2:TGID_Z_EN: 0
; COMPUTE_PGM_RSRC2:TIDIG_COMP_CNT: 0
; COMPUTE_PGM_RSRC3_GFX90A:ACCUM_OFFSET: 0
; COMPUTE_PGM_RSRC3_GFX90A:TG_SPLIT: 0
	.section	.text._ZN7rocprim17ROCPRIM_400000_NS6detail17trampoline_kernelINS0_14default_configENS1_35adjacent_difference_config_selectorILb1EdEEZNS1_24adjacent_difference_implIS3_Lb1ELb0EPdS7_N6thrust23THRUST_200600_302600_NS4plusIdEEEE10hipError_tPvRmT2_T3_mT4_P12ihipStream_tbEUlT_E_NS1_11comp_targetILNS1_3genE0ELNS1_11target_archE4294967295ELNS1_3gpuE0ELNS1_3repE0EEENS1_30default_config_static_selectorELNS0_4arch9wavefront6targetE1EEEvT1_,"axG",@progbits,_ZN7rocprim17ROCPRIM_400000_NS6detail17trampoline_kernelINS0_14default_configENS1_35adjacent_difference_config_selectorILb1EdEEZNS1_24adjacent_difference_implIS3_Lb1ELb0EPdS7_N6thrust23THRUST_200600_302600_NS4plusIdEEEE10hipError_tPvRmT2_T3_mT4_P12ihipStream_tbEUlT_E_NS1_11comp_targetILNS1_3genE0ELNS1_11target_archE4294967295ELNS1_3gpuE0ELNS1_3repE0EEENS1_30default_config_static_selectorELNS0_4arch9wavefront6targetE1EEEvT1_,comdat
	.protected	_ZN7rocprim17ROCPRIM_400000_NS6detail17trampoline_kernelINS0_14default_configENS1_35adjacent_difference_config_selectorILb1EdEEZNS1_24adjacent_difference_implIS3_Lb1ELb0EPdS7_N6thrust23THRUST_200600_302600_NS4plusIdEEEE10hipError_tPvRmT2_T3_mT4_P12ihipStream_tbEUlT_E_NS1_11comp_targetILNS1_3genE0ELNS1_11target_archE4294967295ELNS1_3gpuE0ELNS1_3repE0EEENS1_30default_config_static_selectorELNS0_4arch9wavefront6targetE1EEEvT1_ ; -- Begin function _ZN7rocprim17ROCPRIM_400000_NS6detail17trampoline_kernelINS0_14default_configENS1_35adjacent_difference_config_selectorILb1EdEEZNS1_24adjacent_difference_implIS3_Lb1ELb0EPdS7_N6thrust23THRUST_200600_302600_NS4plusIdEEEE10hipError_tPvRmT2_T3_mT4_P12ihipStream_tbEUlT_E_NS1_11comp_targetILNS1_3genE0ELNS1_11target_archE4294967295ELNS1_3gpuE0ELNS1_3repE0EEENS1_30default_config_static_selectorELNS0_4arch9wavefront6targetE1EEEvT1_
	.globl	_ZN7rocprim17ROCPRIM_400000_NS6detail17trampoline_kernelINS0_14default_configENS1_35adjacent_difference_config_selectorILb1EdEEZNS1_24adjacent_difference_implIS3_Lb1ELb0EPdS7_N6thrust23THRUST_200600_302600_NS4plusIdEEEE10hipError_tPvRmT2_T3_mT4_P12ihipStream_tbEUlT_E_NS1_11comp_targetILNS1_3genE0ELNS1_11target_archE4294967295ELNS1_3gpuE0ELNS1_3repE0EEENS1_30default_config_static_selectorELNS0_4arch9wavefront6targetE1EEEvT1_
	.p2align	8
	.type	_ZN7rocprim17ROCPRIM_400000_NS6detail17trampoline_kernelINS0_14default_configENS1_35adjacent_difference_config_selectorILb1EdEEZNS1_24adjacent_difference_implIS3_Lb1ELb0EPdS7_N6thrust23THRUST_200600_302600_NS4plusIdEEEE10hipError_tPvRmT2_T3_mT4_P12ihipStream_tbEUlT_E_NS1_11comp_targetILNS1_3genE0ELNS1_11target_archE4294967295ELNS1_3gpuE0ELNS1_3repE0EEENS1_30default_config_static_selectorELNS0_4arch9wavefront6targetE1EEEvT1_,@function
_ZN7rocprim17ROCPRIM_400000_NS6detail17trampoline_kernelINS0_14default_configENS1_35adjacent_difference_config_selectorILb1EdEEZNS1_24adjacent_difference_implIS3_Lb1ELb0EPdS7_N6thrust23THRUST_200600_302600_NS4plusIdEEEE10hipError_tPvRmT2_T3_mT4_P12ihipStream_tbEUlT_E_NS1_11comp_targetILNS1_3genE0ELNS1_11target_archE4294967295ELNS1_3gpuE0ELNS1_3repE0EEENS1_30default_config_static_selectorELNS0_4arch9wavefront6targetE1EEEvT1_: ; @_ZN7rocprim17ROCPRIM_400000_NS6detail17trampoline_kernelINS0_14default_configENS1_35adjacent_difference_config_selectorILb1EdEEZNS1_24adjacent_difference_implIS3_Lb1ELb0EPdS7_N6thrust23THRUST_200600_302600_NS4plusIdEEEE10hipError_tPvRmT2_T3_mT4_P12ihipStream_tbEUlT_E_NS1_11comp_targetILNS1_3genE0ELNS1_11target_archE4294967295ELNS1_3gpuE0ELNS1_3repE0EEENS1_30default_config_static_selectorELNS0_4arch9wavefront6targetE1EEEvT1_
; %bb.0:
	.section	.rodata,"a",@progbits
	.p2align	6, 0x0
	.amdhsa_kernel _ZN7rocprim17ROCPRIM_400000_NS6detail17trampoline_kernelINS0_14default_configENS1_35adjacent_difference_config_selectorILb1EdEEZNS1_24adjacent_difference_implIS3_Lb1ELb0EPdS7_N6thrust23THRUST_200600_302600_NS4plusIdEEEE10hipError_tPvRmT2_T3_mT4_P12ihipStream_tbEUlT_E_NS1_11comp_targetILNS1_3genE0ELNS1_11target_archE4294967295ELNS1_3gpuE0ELNS1_3repE0EEENS1_30default_config_static_selectorELNS0_4arch9wavefront6targetE1EEEvT1_
		.amdhsa_group_segment_fixed_size 0
		.amdhsa_private_segment_fixed_size 0
		.amdhsa_kernarg_size 56
		.amdhsa_user_sgpr_count 6
		.amdhsa_user_sgpr_private_segment_buffer 1
		.amdhsa_user_sgpr_dispatch_ptr 0
		.amdhsa_user_sgpr_queue_ptr 0
		.amdhsa_user_sgpr_kernarg_segment_ptr 1
		.amdhsa_user_sgpr_dispatch_id 0
		.amdhsa_user_sgpr_flat_scratch_init 0
		.amdhsa_user_sgpr_kernarg_preload_length 0
		.amdhsa_user_sgpr_kernarg_preload_offset 0
		.amdhsa_user_sgpr_private_segment_size 0
		.amdhsa_uses_dynamic_stack 0
		.amdhsa_system_sgpr_private_segment_wavefront_offset 0
		.amdhsa_system_sgpr_workgroup_id_x 1
		.amdhsa_system_sgpr_workgroup_id_y 0
		.amdhsa_system_sgpr_workgroup_id_z 0
		.amdhsa_system_sgpr_workgroup_info 0
		.amdhsa_system_vgpr_workitem_id 0
		.amdhsa_next_free_vgpr 1
		.amdhsa_next_free_sgpr 0
		.amdhsa_accum_offset 4
		.amdhsa_reserve_vcc 0
		.amdhsa_reserve_flat_scratch 0
		.amdhsa_float_round_mode_32 0
		.amdhsa_float_round_mode_16_64 0
		.amdhsa_float_denorm_mode_32 3
		.amdhsa_float_denorm_mode_16_64 3
		.amdhsa_dx10_clamp 1
		.amdhsa_ieee_mode 1
		.amdhsa_fp16_overflow 0
		.amdhsa_tg_split 0
		.amdhsa_exception_fp_ieee_invalid_op 0
		.amdhsa_exception_fp_denorm_src 0
		.amdhsa_exception_fp_ieee_div_zero 0
		.amdhsa_exception_fp_ieee_overflow 0
		.amdhsa_exception_fp_ieee_underflow 0
		.amdhsa_exception_fp_ieee_inexact 0
		.amdhsa_exception_int_div_zero 0
	.end_amdhsa_kernel
	.section	.text._ZN7rocprim17ROCPRIM_400000_NS6detail17trampoline_kernelINS0_14default_configENS1_35adjacent_difference_config_selectorILb1EdEEZNS1_24adjacent_difference_implIS3_Lb1ELb0EPdS7_N6thrust23THRUST_200600_302600_NS4plusIdEEEE10hipError_tPvRmT2_T3_mT4_P12ihipStream_tbEUlT_E_NS1_11comp_targetILNS1_3genE0ELNS1_11target_archE4294967295ELNS1_3gpuE0ELNS1_3repE0EEENS1_30default_config_static_selectorELNS0_4arch9wavefront6targetE1EEEvT1_,"axG",@progbits,_ZN7rocprim17ROCPRIM_400000_NS6detail17trampoline_kernelINS0_14default_configENS1_35adjacent_difference_config_selectorILb1EdEEZNS1_24adjacent_difference_implIS3_Lb1ELb0EPdS7_N6thrust23THRUST_200600_302600_NS4plusIdEEEE10hipError_tPvRmT2_T3_mT4_P12ihipStream_tbEUlT_E_NS1_11comp_targetILNS1_3genE0ELNS1_11target_archE4294967295ELNS1_3gpuE0ELNS1_3repE0EEENS1_30default_config_static_selectorELNS0_4arch9wavefront6targetE1EEEvT1_,comdat
.Lfunc_end458:
	.size	_ZN7rocprim17ROCPRIM_400000_NS6detail17trampoline_kernelINS0_14default_configENS1_35adjacent_difference_config_selectorILb1EdEEZNS1_24adjacent_difference_implIS3_Lb1ELb0EPdS7_N6thrust23THRUST_200600_302600_NS4plusIdEEEE10hipError_tPvRmT2_T3_mT4_P12ihipStream_tbEUlT_E_NS1_11comp_targetILNS1_3genE0ELNS1_11target_archE4294967295ELNS1_3gpuE0ELNS1_3repE0EEENS1_30default_config_static_selectorELNS0_4arch9wavefront6targetE1EEEvT1_, .Lfunc_end458-_ZN7rocprim17ROCPRIM_400000_NS6detail17trampoline_kernelINS0_14default_configENS1_35adjacent_difference_config_selectorILb1EdEEZNS1_24adjacent_difference_implIS3_Lb1ELb0EPdS7_N6thrust23THRUST_200600_302600_NS4plusIdEEEE10hipError_tPvRmT2_T3_mT4_P12ihipStream_tbEUlT_E_NS1_11comp_targetILNS1_3genE0ELNS1_11target_archE4294967295ELNS1_3gpuE0ELNS1_3repE0EEENS1_30default_config_static_selectorELNS0_4arch9wavefront6targetE1EEEvT1_
                                        ; -- End function
	.section	.AMDGPU.csdata,"",@progbits
; Kernel info:
; codeLenInByte = 0
; NumSgprs: 4
; NumVgprs: 0
; NumAgprs: 0
; TotalNumVgprs: 0
; ScratchSize: 0
; MemoryBound: 0
; FloatMode: 240
; IeeeMode: 1
; LDSByteSize: 0 bytes/workgroup (compile time only)
; SGPRBlocks: 0
; VGPRBlocks: 0
; NumSGPRsForWavesPerEU: 4
; NumVGPRsForWavesPerEU: 1
; AccumOffset: 4
; Occupancy: 8
; WaveLimiterHint : 0
; COMPUTE_PGM_RSRC2:SCRATCH_EN: 0
; COMPUTE_PGM_RSRC2:USER_SGPR: 6
; COMPUTE_PGM_RSRC2:TRAP_HANDLER: 0
; COMPUTE_PGM_RSRC2:TGID_X_EN: 1
; COMPUTE_PGM_RSRC2:TGID_Y_EN: 0
; COMPUTE_PGM_RSRC2:TGID_Z_EN: 0
; COMPUTE_PGM_RSRC2:TIDIG_COMP_CNT: 0
; COMPUTE_PGM_RSRC3_GFX90A:ACCUM_OFFSET: 0
; COMPUTE_PGM_RSRC3_GFX90A:TG_SPLIT: 0
	.section	.text._ZN7rocprim17ROCPRIM_400000_NS6detail17trampoline_kernelINS0_14default_configENS1_35adjacent_difference_config_selectorILb1EdEEZNS1_24adjacent_difference_implIS3_Lb1ELb0EPdS7_N6thrust23THRUST_200600_302600_NS4plusIdEEEE10hipError_tPvRmT2_T3_mT4_P12ihipStream_tbEUlT_E_NS1_11comp_targetILNS1_3genE10ELNS1_11target_archE1201ELNS1_3gpuE5ELNS1_3repE0EEENS1_30default_config_static_selectorELNS0_4arch9wavefront6targetE1EEEvT1_,"axG",@progbits,_ZN7rocprim17ROCPRIM_400000_NS6detail17trampoline_kernelINS0_14default_configENS1_35adjacent_difference_config_selectorILb1EdEEZNS1_24adjacent_difference_implIS3_Lb1ELb0EPdS7_N6thrust23THRUST_200600_302600_NS4plusIdEEEE10hipError_tPvRmT2_T3_mT4_P12ihipStream_tbEUlT_E_NS1_11comp_targetILNS1_3genE10ELNS1_11target_archE1201ELNS1_3gpuE5ELNS1_3repE0EEENS1_30default_config_static_selectorELNS0_4arch9wavefront6targetE1EEEvT1_,comdat
	.protected	_ZN7rocprim17ROCPRIM_400000_NS6detail17trampoline_kernelINS0_14default_configENS1_35adjacent_difference_config_selectorILb1EdEEZNS1_24adjacent_difference_implIS3_Lb1ELb0EPdS7_N6thrust23THRUST_200600_302600_NS4plusIdEEEE10hipError_tPvRmT2_T3_mT4_P12ihipStream_tbEUlT_E_NS1_11comp_targetILNS1_3genE10ELNS1_11target_archE1201ELNS1_3gpuE5ELNS1_3repE0EEENS1_30default_config_static_selectorELNS0_4arch9wavefront6targetE1EEEvT1_ ; -- Begin function _ZN7rocprim17ROCPRIM_400000_NS6detail17trampoline_kernelINS0_14default_configENS1_35adjacent_difference_config_selectorILb1EdEEZNS1_24adjacent_difference_implIS3_Lb1ELb0EPdS7_N6thrust23THRUST_200600_302600_NS4plusIdEEEE10hipError_tPvRmT2_T3_mT4_P12ihipStream_tbEUlT_E_NS1_11comp_targetILNS1_3genE10ELNS1_11target_archE1201ELNS1_3gpuE5ELNS1_3repE0EEENS1_30default_config_static_selectorELNS0_4arch9wavefront6targetE1EEEvT1_
	.globl	_ZN7rocprim17ROCPRIM_400000_NS6detail17trampoline_kernelINS0_14default_configENS1_35adjacent_difference_config_selectorILb1EdEEZNS1_24adjacent_difference_implIS3_Lb1ELb0EPdS7_N6thrust23THRUST_200600_302600_NS4plusIdEEEE10hipError_tPvRmT2_T3_mT4_P12ihipStream_tbEUlT_E_NS1_11comp_targetILNS1_3genE10ELNS1_11target_archE1201ELNS1_3gpuE5ELNS1_3repE0EEENS1_30default_config_static_selectorELNS0_4arch9wavefront6targetE1EEEvT1_
	.p2align	8
	.type	_ZN7rocprim17ROCPRIM_400000_NS6detail17trampoline_kernelINS0_14default_configENS1_35adjacent_difference_config_selectorILb1EdEEZNS1_24adjacent_difference_implIS3_Lb1ELb0EPdS7_N6thrust23THRUST_200600_302600_NS4plusIdEEEE10hipError_tPvRmT2_T3_mT4_P12ihipStream_tbEUlT_E_NS1_11comp_targetILNS1_3genE10ELNS1_11target_archE1201ELNS1_3gpuE5ELNS1_3repE0EEENS1_30default_config_static_selectorELNS0_4arch9wavefront6targetE1EEEvT1_,@function
_ZN7rocprim17ROCPRIM_400000_NS6detail17trampoline_kernelINS0_14default_configENS1_35adjacent_difference_config_selectorILb1EdEEZNS1_24adjacent_difference_implIS3_Lb1ELb0EPdS7_N6thrust23THRUST_200600_302600_NS4plusIdEEEE10hipError_tPvRmT2_T3_mT4_P12ihipStream_tbEUlT_E_NS1_11comp_targetILNS1_3genE10ELNS1_11target_archE1201ELNS1_3gpuE5ELNS1_3repE0EEENS1_30default_config_static_selectorELNS0_4arch9wavefront6targetE1EEEvT1_: ; @_ZN7rocprim17ROCPRIM_400000_NS6detail17trampoline_kernelINS0_14default_configENS1_35adjacent_difference_config_selectorILb1EdEEZNS1_24adjacent_difference_implIS3_Lb1ELb0EPdS7_N6thrust23THRUST_200600_302600_NS4plusIdEEEE10hipError_tPvRmT2_T3_mT4_P12ihipStream_tbEUlT_E_NS1_11comp_targetILNS1_3genE10ELNS1_11target_archE1201ELNS1_3gpuE5ELNS1_3repE0EEENS1_30default_config_static_selectorELNS0_4arch9wavefront6targetE1EEEvT1_
; %bb.0:
	.section	.rodata,"a",@progbits
	.p2align	6, 0x0
	.amdhsa_kernel _ZN7rocprim17ROCPRIM_400000_NS6detail17trampoline_kernelINS0_14default_configENS1_35adjacent_difference_config_selectorILb1EdEEZNS1_24adjacent_difference_implIS3_Lb1ELb0EPdS7_N6thrust23THRUST_200600_302600_NS4plusIdEEEE10hipError_tPvRmT2_T3_mT4_P12ihipStream_tbEUlT_E_NS1_11comp_targetILNS1_3genE10ELNS1_11target_archE1201ELNS1_3gpuE5ELNS1_3repE0EEENS1_30default_config_static_selectorELNS0_4arch9wavefront6targetE1EEEvT1_
		.amdhsa_group_segment_fixed_size 0
		.amdhsa_private_segment_fixed_size 0
		.amdhsa_kernarg_size 56
		.amdhsa_user_sgpr_count 6
		.amdhsa_user_sgpr_private_segment_buffer 1
		.amdhsa_user_sgpr_dispatch_ptr 0
		.amdhsa_user_sgpr_queue_ptr 0
		.amdhsa_user_sgpr_kernarg_segment_ptr 1
		.amdhsa_user_sgpr_dispatch_id 0
		.amdhsa_user_sgpr_flat_scratch_init 0
		.amdhsa_user_sgpr_kernarg_preload_length 0
		.amdhsa_user_sgpr_kernarg_preload_offset 0
		.amdhsa_user_sgpr_private_segment_size 0
		.amdhsa_uses_dynamic_stack 0
		.amdhsa_system_sgpr_private_segment_wavefront_offset 0
		.amdhsa_system_sgpr_workgroup_id_x 1
		.amdhsa_system_sgpr_workgroup_id_y 0
		.amdhsa_system_sgpr_workgroup_id_z 0
		.amdhsa_system_sgpr_workgroup_info 0
		.amdhsa_system_vgpr_workitem_id 0
		.amdhsa_next_free_vgpr 1
		.amdhsa_next_free_sgpr 0
		.amdhsa_accum_offset 4
		.amdhsa_reserve_vcc 0
		.amdhsa_reserve_flat_scratch 0
		.amdhsa_float_round_mode_32 0
		.amdhsa_float_round_mode_16_64 0
		.amdhsa_float_denorm_mode_32 3
		.amdhsa_float_denorm_mode_16_64 3
		.amdhsa_dx10_clamp 1
		.amdhsa_ieee_mode 1
		.amdhsa_fp16_overflow 0
		.amdhsa_tg_split 0
		.amdhsa_exception_fp_ieee_invalid_op 0
		.amdhsa_exception_fp_denorm_src 0
		.amdhsa_exception_fp_ieee_div_zero 0
		.amdhsa_exception_fp_ieee_overflow 0
		.amdhsa_exception_fp_ieee_underflow 0
		.amdhsa_exception_fp_ieee_inexact 0
		.amdhsa_exception_int_div_zero 0
	.end_amdhsa_kernel
	.section	.text._ZN7rocprim17ROCPRIM_400000_NS6detail17trampoline_kernelINS0_14default_configENS1_35adjacent_difference_config_selectorILb1EdEEZNS1_24adjacent_difference_implIS3_Lb1ELb0EPdS7_N6thrust23THRUST_200600_302600_NS4plusIdEEEE10hipError_tPvRmT2_T3_mT4_P12ihipStream_tbEUlT_E_NS1_11comp_targetILNS1_3genE10ELNS1_11target_archE1201ELNS1_3gpuE5ELNS1_3repE0EEENS1_30default_config_static_selectorELNS0_4arch9wavefront6targetE1EEEvT1_,"axG",@progbits,_ZN7rocprim17ROCPRIM_400000_NS6detail17trampoline_kernelINS0_14default_configENS1_35adjacent_difference_config_selectorILb1EdEEZNS1_24adjacent_difference_implIS3_Lb1ELb0EPdS7_N6thrust23THRUST_200600_302600_NS4plusIdEEEE10hipError_tPvRmT2_T3_mT4_P12ihipStream_tbEUlT_E_NS1_11comp_targetILNS1_3genE10ELNS1_11target_archE1201ELNS1_3gpuE5ELNS1_3repE0EEENS1_30default_config_static_selectorELNS0_4arch9wavefront6targetE1EEEvT1_,comdat
.Lfunc_end459:
	.size	_ZN7rocprim17ROCPRIM_400000_NS6detail17trampoline_kernelINS0_14default_configENS1_35adjacent_difference_config_selectorILb1EdEEZNS1_24adjacent_difference_implIS3_Lb1ELb0EPdS7_N6thrust23THRUST_200600_302600_NS4plusIdEEEE10hipError_tPvRmT2_T3_mT4_P12ihipStream_tbEUlT_E_NS1_11comp_targetILNS1_3genE10ELNS1_11target_archE1201ELNS1_3gpuE5ELNS1_3repE0EEENS1_30default_config_static_selectorELNS0_4arch9wavefront6targetE1EEEvT1_, .Lfunc_end459-_ZN7rocprim17ROCPRIM_400000_NS6detail17trampoline_kernelINS0_14default_configENS1_35adjacent_difference_config_selectorILb1EdEEZNS1_24adjacent_difference_implIS3_Lb1ELb0EPdS7_N6thrust23THRUST_200600_302600_NS4plusIdEEEE10hipError_tPvRmT2_T3_mT4_P12ihipStream_tbEUlT_E_NS1_11comp_targetILNS1_3genE10ELNS1_11target_archE1201ELNS1_3gpuE5ELNS1_3repE0EEENS1_30default_config_static_selectorELNS0_4arch9wavefront6targetE1EEEvT1_
                                        ; -- End function
	.section	.AMDGPU.csdata,"",@progbits
; Kernel info:
; codeLenInByte = 0
; NumSgprs: 4
; NumVgprs: 0
; NumAgprs: 0
; TotalNumVgprs: 0
; ScratchSize: 0
; MemoryBound: 0
; FloatMode: 240
; IeeeMode: 1
; LDSByteSize: 0 bytes/workgroup (compile time only)
; SGPRBlocks: 0
; VGPRBlocks: 0
; NumSGPRsForWavesPerEU: 4
; NumVGPRsForWavesPerEU: 1
; AccumOffset: 4
; Occupancy: 8
; WaveLimiterHint : 0
; COMPUTE_PGM_RSRC2:SCRATCH_EN: 0
; COMPUTE_PGM_RSRC2:USER_SGPR: 6
; COMPUTE_PGM_RSRC2:TRAP_HANDLER: 0
; COMPUTE_PGM_RSRC2:TGID_X_EN: 1
; COMPUTE_PGM_RSRC2:TGID_Y_EN: 0
; COMPUTE_PGM_RSRC2:TGID_Z_EN: 0
; COMPUTE_PGM_RSRC2:TIDIG_COMP_CNT: 0
; COMPUTE_PGM_RSRC3_GFX90A:ACCUM_OFFSET: 0
; COMPUTE_PGM_RSRC3_GFX90A:TG_SPLIT: 0
	.section	.text._ZN7rocprim17ROCPRIM_400000_NS6detail17trampoline_kernelINS0_14default_configENS1_35adjacent_difference_config_selectorILb1EdEEZNS1_24adjacent_difference_implIS3_Lb1ELb0EPdS7_N6thrust23THRUST_200600_302600_NS4plusIdEEEE10hipError_tPvRmT2_T3_mT4_P12ihipStream_tbEUlT_E_NS1_11comp_targetILNS1_3genE5ELNS1_11target_archE942ELNS1_3gpuE9ELNS1_3repE0EEENS1_30default_config_static_selectorELNS0_4arch9wavefront6targetE1EEEvT1_,"axG",@progbits,_ZN7rocprim17ROCPRIM_400000_NS6detail17trampoline_kernelINS0_14default_configENS1_35adjacent_difference_config_selectorILb1EdEEZNS1_24adjacent_difference_implIS3_Lb1ELb0EPdS7_N6thrust23THRUST_200600_302600_NS4plusIdEEEE10hipError_tPvRmT2_T3_mT4_P12ihipStream_tbEUlT_E_NS1_11comp_targetILNS1_3genE5ELNS1_11target_archE942ELNS1_3gpuE9ELNS1_3repE0EEENS1_30default_config_static_selectorELNS0_4arch9wavefront6targetE1EEEvT1_,comdat
	.protected	_ZN7rocprim17ROCPRIM_400000_NS6detail17trampoline_kernelINS0_14default_configENS1_35adjacent_difference_config_selectorILb1EdEEZNS1_24adjacent_difference_implIS3_Lb1ELb0EPdS7_N6thrust23THRUST_200600_302600_NS4plusIdEEEE10hipError_tPvRmT2_T3_mT4_P12ihipStream_tbEUlT_E_NS1_11comp_targetILNS1_3genE5ELNS1_11target_archE942ELNS1_3gpuE9ELNS1_3repE0EEENS1_30default_config_static_selectorELNS0_4arch9wavefront6targetE1EEEvT1_ ; -- Begin function _ZN7rocprim17ROCPRIM_400000_NS6detail17trampoline_kernelINS0_14default_configENS1_35adjacent_difference_config_selectorILb1EdEEZNS1_24adjacent_difference_implIS3_Lb1ELb0EPdS7_N6thrust23THRUST_200600_302600_NS4plusIdEEEE10hipError_tPvRmT2_T3_mT4_P12ihipStream_tbEUlT_E_NS1_11comp_targetILNS1_3genE5ELNS1_11target_archE942ELNS1_3gpuE9ELNS1_3repE0EEENS1_30default_config_static_selectorELNS0_4arch9wavefront6targetE1EEEvT1_
	.globl	_ZN7rocprim17ROCPRIM_400000_NS6detail17trampoline_kernelINS0_14default_configENS1_35adjacent_difference_config_selectorILb1EdEEZNS1_24adjacent_difference_implIS3_Lb1ELb0EPdS7_N6thrust23THRUST_200600_302600_NS4plusIdEEEE10hipError_tPvRmT2_T3_mT4_P12ihipStream_tbEUlT_E_NS1_11comp_targetILNS1_3genE5ELNS1_11target_archE942ELNS1_3gpuE9ELNS1_3repE0EEENS1_30default_config_static_selectorELNS0_4arch9wavefront6targetE1EEEvT1_
	.p2align	8
	.type	_ZN7rocprim17ROCPRIM_400000_NS6detail17trampoline_kernelINS0_14default_configENS1_35adjacent_difference_config_selectorILb1EdEEZNS1_24adjacent_difference_implIS3_Lb1ELb0EPdS7_N6thrust23THRUST_200600_302600_NS4plusIdEEEE10hipError_tPvRmT2_T3_mT4_P12ihipStream_tbEUlT_E_NS1_11comp_targetILNS1_3genE5ELNS1_11target_archE942ELNS1_3gpuE9ELNS1_3repE0EEENS1_30default_config_static_selectorELNS0_4arch9wavefront6targetE1EEEvT1_,@function
_ZN7rocprim17ROCPRIM_400000_NS6detail17trampoline_kernelINS0_14default_configENS1_35adjacent_difference_config_selectorILb1EdEEZNS1_24adjacent_difference_implIS3_Lb1ELb0EPdS7_N6thrust23THRUST_200600_302600_NS4plusIdEEEE10hipError_tPvRmT2_T3_mT4_P12ihipStream_tbEUlT_E_NS1_11comp_targetILNS1_3genE5ELNS1_11target_archE942ELNS1_3gpuE9ELNS1_3repE0EEENS1_30default_config_static_selectorELNS0_4arch9wavefront6targetE1EEEvT1_: ; @_ZN7rocprim17ROCPRIM_400000_NS6detail17trampoline_kernelINS0_14default_configENS1_35adjacent_difference_config_selectorILb1EdEEZNS1_24adjacent_difference_implIS3_Lb1ELb0EPdS7_N6thrust23THRUST_200600_302600_NS4plusIdEEEE10hipError_tPvRmT2_T3_mT4_P12ihipStream_tbEUlT_E_NS1_11comp_targetILNS1_3genE5ELNS1_11target_archE942ELNS1_3gpuE9ELNS1_3repE0EEENS1_30default_config_static_selectorELNS0_4arch9wavefront6targetE1EEEvT1_
; %bb.0:
	.section	.rodata,"a",@progbits
	.p2align	6, 0x0
	.amdhsa_kernel _ZN7rocprim17ROCPRIM_400000_NS6detail17trampoline_kernelINS0_14default_configENS1_35adjacent_difference_config_selectorILb1EdEEZNS1_24adjacent_difference_implIS3_Lb1ELb0EPdS7_N6thrust23THRUST_200600_302600_NS4plusIdEEEE10hipError_tPvRmT2_T3_mT4_P12ihipStream_tbEUlT_E_NS1_11comp_targetILNS1_3genE5ELNS1_11target_archE942ELNS1_3gpuE9ELNS1_3repE0EEENS1_30default_config_static_selectorELNS0_4arch9wavefront6targetE1EEEvT1_
		.amdhsa_group_segment_fixed_size 0
		.amdhsa_private_segment_fixed_size 0
		.amdhsa_kernarg_size 56
		.amdhsa_user_sgpr_count 6
		.amdhsa_user_sgpr_private_segment_buffer 1
		.amdhsa_user_sgpr_dispatch_ptr 0
		.amdhsa_user_sgpr_queue_ptr 0
		.amdhsa_user_sgpr_kernarg_segment_ptr 1
		.amdhsa_user_sgpr_dispatch_id 0
		.amdhsa_user_sgpr_flat_scratch_init 0
		.amdhsa_user_sgpr_kernarg_preload_length 0
		.amdhsa_user_sgpr_kernarg_preload_offset 0
		.amdhsa_user_sgpr_private_segment_size 0
		.amdhsa_uses_dynamic_stack 0
		.amdhsa_system_sgpr_private_segment_wavefront_offset 0
		.amdhsa_system_sgpr_workgroup_id_x 1
		.amdhsa_system_sgpr_workgroup_id_y 0
		.amdhsa_system_sgpr_workgroup_id_z 0
		.amdhsa_system_sgpr_workgroup_info 0
		.amdhsa_system_vgpr_workitem_id 0
		.amdhsa_next_free_vgpr 1
		.amdhsa_next_free_sgpr 0
		.amdhsa_accum_offset 4
		.amdhsa_reserve_vcc 0
		.amdhsa_reserve_flat_scratch 0
		.amdhsa_float_round_mode_32 0
		.amdhsa_float_round_mode_16_64 0
		.amdhsa_float_denorm_mode_32 3
		.amdhsa_float_denorm_mode_16_64 3
		.amdhsa_dx10_clamp 1
		.amdhsa_ieee_mode 1
		.amdhsa_fp16_overflow 0
		.amdhsa_tg_split 0
		.amdhsa_exception_fp_ieee_invalid_op 0
		.amdhsa_exception_fp_denorm_src 0
		.amdhsa_exception_fp_ieee_div_zero 0
		.amdhsa_exception_fp_ieee_overflow 0
		.amdhsa_exception_fp_ieee_underflow 0
		.amdhsa_exception_fp_ieee_inexact 0
		.amdhsa_exception_int_div_zero 0
	.end_amdhsa_kernel
	.section	.text._ZN7rocprim17ROCPRIM_400000_NS6detail17trampoline_kernelINS0_14default_configENS1_35adjacent_difference_config_selectorILb1EdEEZNS1_24adjacent_difference_implIS3_Lb1ELb0EPdS7_N6thrust23THRUST_200600_302600_NS4plusIdEEEE10hipError_tPvRmT2_T3_mT4_P12ihipStream_tbEUlT_E_NS1_11comp_targetILNS1_3genE5ELNS1_11target_archE942ELNS1_3gpuE9ELNS1_3repE0EEENS1_30default_config_static_selectorELNS0_4arch9wavefront6targetE1EEEvT1_,"axG",@progbits,_ZN7rocprim17ROCPRIM_400000_NS6detail17trampoline_kernelINS0_14default_configENS1_35adjacent_difference_config_selectorILb1EdEEZNS1_24adjacent_difference_implIS3_Lb1ELb0EPdS7_N6thrust23THRUST_200600_302600_NS4plusIdEEEE10hipError_tPvRmT2_T3_mT4_P12ihipStream_tbEUlT_E_NS1_11comp_targetILNS1_3genE5ELNS1_11target_archE942ELNS1_3gpuE9ELNS1_3repE0EEENS1_30default_config_static_selectorELNS0_4arch9wavefront6targetE1EEEvT1_,comdat
.Lfunc_end460:
	.size	_ZN7rocprim17ROCPRIM_400000_NS6detail17trampoline_kernelINS0_14default_configENS1_35adjacent_difference_config_selectorILb1EdEEZNS1_24adjacent_difference_implIS3_Lb1ELb0EPdS7_N6thrust23THRUST_200600_302600_NS4plusIdEEEE10hipError_tPvRmT2_T3_mT4_P12ihipStream_tbEUlT_E_NS1_11comp_targetILNS1_3genE5ELNS1_11target_archE942ELNS1_3gpuE9ELNS1_3repE0EEENS1_30default_config_static_selectorELNS0_4arch9wavefront6targetE1EEEvT1_, .Lfunc_end460-_ZN7rocprim17ROCPRIM_400000_NS6detail17trampoline_kernelINS0_14default_configENS1_35adjacent_difference_config_selectorILb1EdEEZNS1_24adjacent_difference_implIS3_Lb1ELb0EPdS7_N6thrust23THRUST_200600_302600_NS4plusIdEEEE10hipError_tPvRmT2_T3_mT4_P12ihipStream_tbEUlT_E_NS1_11comp_targetILNS1_3genE5ELNS1_11target_archE942ELNS1_3gpuE9ELNS1_3repE0EEENS1_30default_config_static_selectorELNS0_4arch9wavefront6targetE1EEEvT1_
                                        ; -- End function
	.section	.AMDGPU.csdata,"",@progbits
; Kernel info:
; codeLenInByte = 0
; NumSgprs: 4
; NumVgprs: 0
; NumAgprs: 0
; TotalNumVgprs: 0
; ScratchSize: 0
; MemoryBound: 0
; FloatMode: 240
; IeeeMode: 1
; LDSByteSize: 0 bytes/workgroup (compile time only)
; SGPRBlocks: 0
; VGPRBlocks: 0
; NumSGPRsForWavesPerEU: 4
; NumVGPRsForWavesPerEU: 1
; AccumOffset: 4
; Occupancy: 8
; WaveLimiterHint : 0
; COMPUTE_PGM_RSRC2:SCRATCH_EN: 0
; COMPUTE_PGM_RSRC2:USER_SGPR: 6
; COMPUTE_PGM_RSRC2:TRAP_HANDLER: 0
; COMPUTE_PGM_RSRC2:TGID_X_EN: 1
; COMPUTE_PGM_RSRC2:TGID_Y_EN: 0
; COMPUTE_PGM_RSRC2:TGID_Z_EN: 0
; COMPUTE_PGM_RSRC2:TIDIG_COMP_CNT: 0
; COMPUTE_PGM_RSRC3_GFX90A:ACCUM_OFFSET: 0
; COMPUTE_PGM_RSRC3_GFX90A:TG_SPLIT: 0
	.section	.text._ZN7rocprim17ROCPRIM_400000_NS6detail17trampoline_kernelINS0_14default_configENS1_35adjacent_difference_config_selectorILb1EdEEZNS1_24adjacent_difference_implIS3_Lb1ELb0EPdS7_N6thrust23THRUST_200600_302600_NS4plusIdEEEE10hipError_tPvRmT2_T3_mT4_P12ihipStream_tbEUlT_E_NS1_11comp_targetILNS1_3genE4ELNS1_11target_archE910ELNS1_3gpuE8ELNS1_3repE0EEENS1_30default_config_static_selectorELNS0_4arch9wavefront6targetE1EEEvT1_,"axG",@progbits,_ZN7rocprim17ROCPRIM_400000_NS6detail17trampoline_kernelINS0_14default_configENS1_35adjacent_difference_config_selectorILb1EdEEZNS1_24adjacent_difference_implIS3_Lb1ELb0EPdS7_N6thrust23THRUST_200600_302600_NS4plusIdEEEE10hipError_tPvRmT2_T3_mT4_P12ihipStream_tbEUlT_E_NS1_11comp_targetILNS1_3genE4ELNS1_11target_archE910ELNS1_3gpuE8ELNS1_3repE0EEENS1_30default_config_static_selectorELNS0_4arch9wavefront6targetE1EEEvT1_,comdat
	.protected	_ZN7rocprim17ROCPRIM_400000_NS6detail17trampoline_kernelINS0_14default_configENS1_35adjacent_difference_config_selectorILb1EdEEZNS1_24adjacent_difference_implIS3_Lb1ELb0EPdS7_N6thrust23THRUST_200600_302600_NS4plusIdEEEE10hipError_tPvRmT2_T3_mT4_P12ihipStream_tbEUlT_E_NS1_11comp_targetILNS1_3genE4ELNS1_11target_archE910ELNS1_3gpuE8ELNS1_3repE0EEENS1_30default_config_static_selectorELNS0_4arch9wavefront6targetE1EEEvT1_ ; -- Begin function _ZN7rocprim17ROCPRIM_400000_NS6detail17trampoline_kernelINS0_14default_configENS1_35adjacent_difference_config_selectorILb1EdEEZNS1_24adjacent_difference_implIS3_Lb1ELb0EPdS7_N6thrust23THRUST_200600_302600_NS4plusIdEEEE10hipError_tPvRmT2_T3_mT4_P12ihipStream_tbEUlT_E_NS1_11comp_targetILNS1_3genE4ELNS1_11target_archE910ELNS1_3gpuE8ELNS1_3repE0EEENS1_30default_config_static_selectorELNS0_4arch9wavefront6targetE1EEEvT1_
	.globl	_ZN7rocprim17ROCPRIM_400000_NS6detail17trampoline_kernelINS0_14default_configENS1_35adjacent_difference_config_selectorILb1EdEEZNS1_24adjacent_difference_implIS3_Lb1ELb0EPdS7_N6thrust23THRUST_200600_302600_NS4plusIdEEEE10hipError_tPvRmT2_T3_mT4_P12ihipStream_tbEUlT_E_NS1_11comp_targetILNS1_3genE4ELNS1_11target_archE910ELNS1_3gpuE8ELNS1_3repE0EEENS1_30default_config_static_selectorELNS0_4arch9wavefront6targetE1EEEvT1_
	.p2align	8
	.type	_ZN7rocprim17ROCPRIM_400000_NS6detail17trampoline_kernelINS0_14default_configENS1_35adjacent_difference_config_selectorILb1EdEEZNS1_24adjacent_difference_implIS3_Lb1ELb0EPdS7_N6thrust23THRUST_200600_302600_NS4plusIdEEEE10hipError_tPvRmT2_T3_mT4_P12ihipStream_tbEUlT_E_NS1_11comp_targetILNS1_3genE4ELNS1_11target_archE910ELNS1_3gpuE8ELNS1_3repE0EEENS1_30default_config_static_selectorELNS0_4arch9wavefront6targetE1EEEvT1_,@function
_ZN7rocprim17ROCPRIM_400000_NS6detail17trampoline_kernelINS0_14default_configENS1_35adjacent_difference_config_selectorILb1EdEEZNS1_24adjacent_difference_implIS3_Lb1ELb0EPdS7_N6thrust23THRUST_200600_302600_NS4plusIdEEEE10hipError_tPvRmT2_T3_mT4_P12ihipStream_tbEUlT_E_NS1_11comp_targetILNS1_3genE4ELNS1_11target_archE910ELNS1_3gpuE8ELNS1_3repE0EEENS1_30default_config_static_selectorELNS0_4arch9wavefront6targetE1EEEvT1_: ; @_ZN7rocprim17ROCPRIM_400000_NS6detail17trampoline_kernelINS0_14default_configENS1_35adjacent_difference_config_selectorILb1EdEEZNS1_24adjacent_difference_implIS3_Lb1ELb0EPdS7_N6thrust23THRUST_200600_302600_NS4plusIdEEEE10hipError_tPvRmT2_T3_mT4_P12ihipStream_tbEUlT_E_NS1_11comp_targetILNS1_3genE4ELNS1_11target_archE910ELNS1_3gpuE8ELNS1_3repE0EEENS1_30default_config_static_selectorELNS0_4arch9wavefront6targetE1EEEvT1_
; %bb.0:
	s_load_dwordx8 s[8:15], s[4:5], 0x0
	s_load_dwordx4 s[16:19], s[4:5], 0x28
	s_mov_b32 s21, 0
	s_mov_b64 s[22:23], -1
	s_waitcnt lgkmcnt(0)
	s_lshl_b64 s[10:11], s[10:11], 3
	s_add_u32 s26, s8, s10
	s_addc_u32 s27, s9, s11
	s_lshl_b32 s4, s6, 10
	s_lshr_b64 s[0:1], s[14:15], 10
	s_and_b32 s20, s14, 0x3ff
	s_cmp_lg_u64 s[20:21], 0
	s_cselect_b64 s[2:3], -1, 0
	v_cndmask_b32_e64 v1, 0, 1, s[2:3]
	v_readfirstlane_b32 s2, v1
	s_add_u32 s2, s0, s2
	s_addc_u32 s3, s1, 0
	s_add_u32 s8, s18, s6
	s_addc_u32 s9, s19, 0
	s_mov_b32 s20, s6
	s_add_u32 s6, s2, -1
	s_addc_u32 s7, s3, -1
	v_pk_mov_b32 v[2:3], s[6:7], s[6:7] op_sel:[0,1]
	v_cmp_ge_u64_e64 s[0:1], s[8:9], v[2:3]
	s_and_b64 vcc, exec, s[0:1]
	s_cbranch_vccz .LBB461_6
; %bb.1:
	s_lshl_b32 s5, s6, 10
	s_sub_i32 s15, s14, s5
	s_mov_b32 s5, s21
	s_lshl_b64 s[22:23], s[4:5], 3
	s_add_u32 s22, s26, s22
	s_addc_u32 s23, s27, s23
	v_cmp_gt_u32_e32 vcc, s15, v0
                                        ; implicit-def: $vgpr2_vgpr3_vgpr4_vgpr5
	s_and_saveexec_b64 s[24:25], vcc
	s_cbranch_execz .LBB461_3
; %bb.2:
	v_lshlrev_b32_e32 v1, 3, v0
	global_load_dwordx2 v[2:3], v1, s[22:23]
.LBB461_3:
	s_or_b64 exec, exec, s[24:25]
	v_or_b32_e32 v1, 0x200, v0
	v_cmp_gt_u32_e32 vcc, s15, v1
	s_and_saveexec_b64 s[24:25], vcc
	s_cbranch_execz .LBB461_5
; %bb.4:
	v_lshlrev_b32_e32 v4, 3, v1
	global_load_dwordx2 v[4:5], v4, s[22:23]
.LBB461_5:
	s_or_b64 exec, exec, s[24:25]
	v_lshrrev_b32_e32 v6, 2, v0
	v_lshrrev_b32_e32 v1, 2, v1
	v_and_b32_e32 v6, 0x78, v6
	v_lshlrev_b32_e32 v7, 3, v0
	v_and_b32_e32 v1, 0xf8, v1
	v_add_u32_e32 v6, v6, v7
	v_add_u32_e32 v1, v1, v7
	s_mov_b64 s[22:23], 0
	s_waitcnt vmcnt(0)
	ds_write_b64 v6, v[2:3]
	ds_write_b64 v1, v[4:5] offset:4096
	s_waitcnt lgkmcnt(0)
	s_barrier
.LBB461_6:
	s_and_b64 vcc, exec, s[22:23]
	v_lshlrev_b32_e32 v1, 3, v0
	s_cbranch_vccz .LBB461_8
; %bb.7:
	s_mov_b32 s5, 0
	s_lshl_b64 s[22:23], s[4:5], 3
	s_add_u32 s22, s26, s22
	s_addc_u32 s23, s27, s23
	v_mov_b32_e32 v2, s23
	v_add_co_u32_e32 v3, vcc, s22, v1
	v_addc_co_u32_e32 v4, vcc, 0, v2, vcc
	v_add_co_u32_e32 v2, vcc, 0x1000, v3
	v_addc_co_u32_e32 v3, vcc, 0, v4, vcc
	global_load_dwordx2 v[4:5], v1, s[22:23]
	global_load_dwordx2 v[6:7], v[2:3], off
	v_lshrrev_b32_e32 v2, 2, v0
	v_or_b32_e32 v3, 0x200, v0
	v_and_b32_e32 v2, 0x78, v2
	v_lshrrev_b32_e32 v3, 2, v3
	v_add_u32_e32 v2, v2, v1
	v_and_b32_e32 v3, 0xf8, v3
	v_add_u32_e32 v3, v3, v1
	s_waitcnt vmcnt(1)
	ds_write_b64 v2, v[4:5]
	s_waitcnt vmcnt(0)
	ds_write_b64 v3, v[6:7] offset:4096
	s_waitcnt lgkmcnt(0)
	s_barrier
.LBB461_8:
	v_lshlrev_b32_e32 v2, 1, v0
	v_lshrrev_b32_e32 v3, 4, v0
	v_add_lshl_u32 v2, v3, v2, 3
	ds_read2_b64 v[2:5], v2 offset1:1
	s_cmp_eq_u64 s[8:9], 0
	s_waitcnt lgkmcnt(0)
	s_barrier
	s_cbranch_scc1 .LBB461_13
; %bb.9:
	s_lshl_b64 s[18:19], s[18:19], 3
	s_add_u32 s5, s16, s18
	s_addc_u32 s15, s17, s19
	s_lshl_b64 s[16:17], s[20:21], 3
	s_add_u32 s5, s5, s16
	s_addc_u32 s15, s15, s17
	s_add_u32 s16, s5, -8
	s_addc_u32 s17, s15, -1
	s_load_dwordx2 s[16:17], s[16:17], 0x0
	s_cmp_eq_u64 s[8:9], s[6:7]
	s_cbranch_scc1 .LBB461_14
; %bb.10:
	v_cmp_ne_u32_e32 vcc, 0, v0
	s_waitcnt lgkmcnt(0)
	v_pk_mov_b32 v[6:7], s[16:17], s[16:17] op_sel:[0,1]
	ds_write_b64 v1, v[4:5]
	s_waitcnt lgkmcnt(0)
	s_barrier
	s_and_saveexec_b64 s[18:19], vcc
	s_cbranch_execz .LBB461_12
; %bb.11:
	v_add_u32_e32 v6, -8, v1
	ds_read_b64 v[6:7], v6
.LBB461_12:
	s_or_b64 exec, exec, s[18:19]
	v_add_f64 v[10:11], v[2:3], v[4:5]
	s_waitcnt lgkmcnt(0)
	v_add_f64 v[6:7], v[2:3], v[6:7]
	s_branch .LBB461_18
.LBB461_13:
                                        ; implicit-def: $vgpr10_vgpr11
                                        ; implicit-def: $vgpr6_vgpr7_vgpr8_vgpr9
	s_branch .LBB461_19
.LBB461_14:
                                        ; implicit-def: $vgpr10_vgpr11
                                        ; implicit-def: $vgpr6_vgpr7_vgpr8_vgpr9
	s_cbranch_execz .LBB461_18
; %bb.15:
	v_cmp_ne_u32_e32 vcc, 0, v0
	s_waitcnt lgkmcnt(0)
	v_pk_mov_b32 v[6:7], s[16:17], s[16:17] op_sel:[0,1]
	ds_write_b64 v1, v[4:5]
	s_waitcnt lgkmcnt(0)
	s_barrier
	s_and_saveexec_b64 s[16:17], vcc
	s_cbranch_execz .LBB461_17
; %bb.16:
	v_add_u32_e32 v6, -8, v1
	ds_read_b64 v[6:7], v6
.LBB461_17:
	s_or_b64 exec, exec, s[16:17]
	s_lshl_b32 s5, s8, 10
	v_lshlrev_b32_e32 v12, 1, v0
	s_sub_i32 s5, s14, s5
	v_or_b32_e32 v10, 1, v12
	v_add_f64 v[8:9], v[2:3], v[4:5]
	v_cmp_gt_u32_e32 vcc, s5, v10
	v_cndmask_b32_e32 v11, v5, v9, vcc
	v_cndmask_b32_e32 v10, v4, v8, vcc
	s_waitcnt lgkmcnt(0)
	v_add_f64 v[6:7], v[2:3], v[6:7]
	v_cmp_gt_u32_e32 vcc, s5, v12
	v_cndmask_b32_e32 v7, v3, v7, vcc
	v_cndmask_b32_e32 v6, v2, v6, vcc
.LBB461_18:
	s_cbranch_execnz .LBB461_27
.LBB461_19:
	s_cmp_eq_u64 s[2:3], 1
	v_add_f64 v[10:11], v[2:3], v[4:5]
	v_cmp_ne_u32_e32 vcc, 0, v0
	s_cbranch_scc1 .LBB461_23
; %bb.20:
	v_pk_mov_b32 v[6:7], v[2:3], v[2:3] op_sel:[0,1]
	ds_write_b64 v1, v[4:5]
	s_waitcnt lgkmcnt(0)
	s_barrier
	s_and_saveexec_b64 s[2:3], vcc
	s_cbranch_execz .LBB461_22
; %bb.21:
	v_add_u32_e32 v6, -8, v1
	ds_read_b64 v[6:7], v6
	s_waitcnt lgkmcnt(0)
	v_add_f64 v[6:7], v[2:3], v[6:7]
.LBB461_22:
	s_or_b64 exec, exec, s[2:3]
	s_cbranch_execz .LBB461_24
	s_branch .LBB461_27
.LBB461_23:
                                        ; implicit-def: $vgpr6_vgpr7_vgpr8_vgpr9
.LBB461_24:
	v_lshlrev_b32_e32 v6, 1, v0
	v_or_b32_e32 v7, 1, v6
	v_cmp_gt_u32_e32 vcc, s14, v7
	v_cndmask_b32_e32 v11, v5, v11, vcc
	v_cndmask_b32_e32 v10, v4, v10, vcc
	v_cmp_ne_u32_e32 vcc, 0, v0
	v_cmp_gt_u32_e64 s[2:3], s14, v6
	s_and_b64 s[8:9], vcc, s[2:3]
	ds_write_b64 v1, v[4:5]
	s_waitcnt lgkmcnt(0)
	s_barrier
	s_and_saveexec_b64 s[2:3], s[8:9]
	s_cbranch_execz .LBB461_26
; %bb.25:
	v_add_u32_e32 v4, -8, v1
	ds_read_b64 v[4:5], v4
	s_waitcnt lgkmcnt(0)
	v_add_f64 v[2:3], v[2:3], v[4:5]
.LBB461_26:
	s_or_b64 exec, exec, s[2:3]
	v_pk_mov_b32 v[6:7], v[2:3], v[2:3] op_sel:[0,1]
.LBB461_27:
	s_add_u32 s7, s12, s10
	s_addc_u32 s8, s13, s11
	s_and_b64 vcc, exec, s[0:1]
	v_lshrrev_b32_e32 v8, 1, v0
	s_waitcnt lgkmcnt(0)
	s_barrier
	s_cbranch_vccz .LBB461_31
; %bb.28:
	v_and_b32_e32 v2, 0xf8, v8
	v_lshl_add_u32 v2, v0, 4, v2
	v_or_b32_e32 v9, 0x200, v0
	s_lshl_b32 s0, s6, 10
	s_mov_b32 s5, 0
	ds_write2_b64 v2, v[6:7], v[10:11] offset1:1
	v_lshrrev_b32_e32 v2, 5, v9
	s_sub_i32 s2, s14, s0
	s_lshl_b64 s[0:1], s[4:5], 3
	v_add_lshl_u32 v2, v2, v0, 3
	s_add_u32 s0, s7, s0
	s_waitcnt lgkmcnt(0)
	s_barrier
	ds_read_b64 v[2:3], v2 offset:4096
	s_addc_u32 s1, s8, s1
	v_mov_b32_e32 v5, s1
	v_add_co_u32_e32 v4, vcc, s0, v1
	v_addc_co_u32_e32 v5, vcc, 0, v5, vcc
	v_cmp_gt_u32_e32 vcc, s2, v0
	s_and_saveexec_b64 s[0:1], vcc
	s_cbranch_execz .LBB461_30
; %bb.29:
	v_lshrrev_b32_e32 v12, 5, v0
	v_add_lshl_u32 v12, v12, v0, 3
	ds_read_b64 v[12:13], v12
	s_waitcnt lgkmcnt(0)
	global_store_dwordx2 v[4:5], v[12:13], off
.LBB461_30:
	s_or_b64 exec, exec, s[0:1]
	v_cmp_gt_u32_e64 s[0:1], s2, v9
	s_branch .LBB461_33
.LBB461_31:
	s_mov_b64 s[0:1], 0
                                        ; implicit-def: $vgpr2_vgpr3
                                        ; implicit-def: $vgpr4_vgpr5
	s_cbranch_execz .LBB461_33
; %bb.32:
	s_waitcnt lgkmcnt(0)
	v_and_b32_e32 v2, 0xf8, v8
	v_lshl_add_u32 v2, v0, 4, v2
	s_mov_b32 s5, 0
	ds_write2_b64 v2, v[6:7], v[10:11] offset1:1
	v_lshrrev_b32_e32 v2, 5, v0
	v_or_b32_e32 v3, 0x200, v0
	s_lshl_b64 s[2:3], s[4:5], 3
	v_add_lshl_u32 v2, v2, v0, 3
	v_lshrrev_b32_e32 v3, 5, v3
	s_add_u32 s2, s7, s2
	s_waitcnt lgkmcnt(0)
	s_barrier
	v_add_lshl_u32 v0, v3, v0, 3
	ds_read_b64 v[6:7], v2
	ds_read_b64 v[2:3], v0 offset:4096
	s_addc_u32 s3, s8, s3
	v_mov_b32_e32 v0, s3
	v_add_co_u32_e32 v4, vcc, s2, v1
	v_addc_co_u32_e32 v5, vcc, 0, v0, vcc
	s_or_b64 s[0:1], s[0:1], exec
	s_waitcnt lgkmcnt(1)
	global_store_dwordx2 v1, v[6:7], s[2:3]
.LBB461_33:
	s_and_saveexec_b64 s[2:3], s[0:1]
	s_cbranch_execnz .LBB461_35
; %bb.34:
	s_endpgm
.LBB461_35:
	v_add_co_u32_e32 v0, vcc, 0x1000, v4
	v_addc_co_u32_e32 v1, vcc, 0, v5, vcc
	s_waitcnt lgkmcnt(0)
	global_store_dwordx2 v[0:1], v[2:3], off
	s_endpgm
	.section	.rodata,"a",@progbits
	.p2align	6, 0x0
	.amdhsa_kernel _ZN7rocprim17ROCPRIM_400000_NS6detail17trampoline_kernelINS0_14default_configENS1_35adjacent_difference_config_selectorILb1EdEEZNS1_24adjacent_difference_implIS3_Lb1ELb0EPdS7_N6thrust23THRUST_200600_302600_NS4plusIdEEEE10hipError_tPvRmT2_T3_mT4_P12ihipStream_tbEUlT_E_NS1_11comp_targetILNS1_3genE4ELNS1_11target_archE910ELNS1_3gpuE8ELNS1_3repE0EEENS1_30default_config_static_selectorELNS0_4arch9wavefront6targetE1EEEvT1_
		.amdhsa_group_segment_fixed_size 8448
		.amdhsa_private_segment_fixed_size 0
		.amdhsa_kernarg_size 56
		.amdhsa_user_sgpr_count 6
		.amdhsa_user_sgpr_private_segment_buffer 1
		.amdhsa_user_sgpr_dispatch_ptr 0
		.amdhsa_user_sgpr_queue_ptr 0
		.amdhsa_user_sgpr_kernarg_segment_ptr 1
		.amdhsa_user_sgpr_dispatch_id 0
		.amdhsa_user_sgpr_flat_scratch_init 0
		.amdhsa_user_sgpr_kernarg_preload_length 0
		.amdhsa_user_sgpr_kernarg_preload_offset 0
		.amdhsa_user_sgpr_private_segment_size 0
		.amdhsa_uses_dynamic_stack 0
		.amdhsa_system_sgpr_private_segment_wavefront_offset 0
		.amdhsa_system_sgpr_workgroup_id_x 1
		.amdhsa_system_sgpr_workgroup_id_y 0
		.amdhsa_system_sgpr_workgroup_id_z 0
		.amdhsa_system_sgpr_workgroup_info 0
		.amdhsa_system_vgpr_workitem_id 0
		.amdhsa_next_free_vgpr 14
		.amdhsa_next_free_sgpr 28
		.amdhsa_accum_offset 16
		.amdhsa_reserve_vcc 1
		.amdhsa_reserve_flat_scratch 0
		.amdhsa_float_round_mode_32 0
		.amdhsa_float_round_mode_16_64 0
		.amdhsa_float_denorm_mode_32 3
		.amdhsa_float_denorm_mode_16_64 3
		.amdhsa_dx10_clamp 1
		.amdhsa_ieee_mode 1
		.amdhsa_fp16_overflow 0
		.amdhsa_tg_split 0
		.amdhsa_exception_fp_ieee_invalid_op 0
		.amdhsa_exception_fp_denorm_src 0
		.amdhsa_exception_fp_ieee_div_zero 0
		.amdhsa_exception_fp_ieee_overflow 0
		.amdhsa_exception_fp_ieee_underflow 0
		.amdhsa_exception_fp_ieee_inexact 0
		.amdhsa_exception_int_div_zero 0
	.end_amdhsa_kernel
	.section	.text._ZN7rocprim17ROCPRIM_400000_NS6detail17trampoline_kernelINS0_14default_configENS1_35adjacent_difference_config_selectorILb1EdEEZNS1_24adjacent_difference_implIS3_Lb1ELb0EPdS7_N6thrust23THRUST_200600_302600_NS4plusIdEEEE10hipError_tPvRmT2_T3_mT4_P12ihipStream_tbEUlT_E_NS1_11comp_targetILNS1_3genE4ELNS1_11target_archE910ELNS1_3gpuE8ELNS1_3repE0EEENS1_30default_config_static_selectorELNS0_4arch9wavefront6targetE1EEEvT1_,"axG",@progbits,_ZN7rocprim17ROCPRIM_400000_NS6detail17trampoline_kernelINS0_14default_configENS1_35adjacent_difference_config_selectorILb1EdEEZNS1_24adjacent_difference_implIS3_Lb1ELb0EPdS7_N6thrust23THRUST_200600_302600_NS4plusIdEEEE10hipError_tPvRmT2_T3_mT4_P12ihipStream_tbEUlT_E_NS1_11comp_targetILNS1_3genE4ELNS1_11target_archE910ELNS1_3gpuE8ELNS1_3repE0EEENS1_30default_config_static_selectorELNS0_4arch9wavefront6targetE1EEEvT1_,comdat
.Lfunc_end461:
	.size	_ZN7rocprim17ROCPRIM_400000_NS6detail17trampoline_kernelINS0_14default_configENS1_35adjacent_difference_config_selectorILb1EdEEZNS1_24adjacent_difference_implIS3_Lb1ELb0EPdS7_N6thrust23THRUST_200600_302600_NS4plusIdEEEE10hipError_tPvRmT2_T3_mT4_P12ihipStream_tbEUlT_E_NS1_11comp_targetILNS1_3genE4ELNS1_11target_archE910ELNS1_3gpuE8ELNS1_3repE0EEENS1_30default_config_static_selectorELNS0_4arch9wavefront6targetE1EEEvT1_, .Lfunc_end461-_ZN7rocprim17ROCPRIM_400000_NS6detail17trampoline_kernelINS0_14default_configENS1_35adjacent_difference_config_selectorILb1EdEEZNS1_24adjacent_difference_implIS3_Lb1ELb0EPdS7_N6thrust23THRUST_200600_302600_NS4plusIdEEEE10hipError_tPvRmT2_T3_mT4_P12ihipStream_tbEUlT_E_NS1_11comp_targetILNS1_3genE4ELNS1_11target_archE910ELNS1_3gpuE8ELNS1_3repE0EEENS1_30default_config_static_selectorELNS0_4arch9wavefront6targetE1EEEvT1_
                                        ; -- End function
	.section	.AMDGPU.csdata,"",@progbits
; Kernel info:
; codeLenInByte = 1264
; NumSgprs: 32
; NumVgprs: 14
; NumAgprs: 0
; TotalNumVgprs: 14
; ScratchSize: 0
; MemoryBound: 0
; FloatMode: 240
; IeeeMode: 1
; LDSByteSize: 8448 bytes/workgroup (compile time only)
; SGPRBlocks: 3
; VGPRBlocks: 1
; NumSGPRsForWavesPerEU: 32
; NumVGPRsForWavesPerEU: 14
; AccumOffset: 16
; Occupancy: 8
; WaveLimiterHint : 1
; COMPUTE_PGM_RSRC2:SCRATCH_EN: 0
; COMPUTE_PGM_RSRC2:USER_SGPR: 6
; COMPUTE_PGM_RSRC2:TRAP_HANDLER: 0
; COMPUTE_PGM_RSRC2:TGID_X_EN: 1
; COMPUTE_PGM_RSRC2:TGID_Y_EN: 0
; COMPUTE_PGM_RSRC2:TGID_Z_EN: 0
; COMPUTE_PGM_RSRC2:TIDIG_COMP_CNT: 0
; COMPUTE_PGM_RSRC3_GFX90A:ACCUM_OFFSET: 3
; COMPUTE_PGM_RSRC3_GFX90A:TG_SPLIT: 0
	.section	.text._ZN7rocprim17ROCPRIM_400000_NS6detail17trampoline_kernelINS0_14default_configENS1_35adjacent_difference_config_selectorILb1EdEEZNS1_24adjacent_difference_implIS3_Lb1ELb0EPdS7_N6thrust23THRUST_200600_302600_NS4plusIdEEEE10hipError_tPvRmT2_T3_mT4_P12ihipStream_tbEUlT_E_NS1_11comp_targetILNS1_3genE3ELNS1_11target_archE908ELNS1_3gpuE7ELNS1_3repE0EEENS1_30default_config_static_selectorELNS0_4arch9wavefront6targetE1EEEvT1_,"axG",@progbits,_ZN7rocprim17ROCPRIM_400000_NS6detail17trampoline_kernelINS0_14default_configENS1_35adjacent_difference_config_selectorILb1EdEEZNS1_24adjacent_difference_implIS3_Lb1ELb0EPdS7_N6thrust23THRUST_200600_302600_NS4plusIdEEEE10hipError_tPvRmT2_T3_mT4_P12ihipStream_tbEUlT_E_NS1_11comp_targetILNS1_3genE3ELNS1_11target_archE908ELNS1_3gpuE7ELNS1_3repE0EEENS1_30default_config_static_selectorELNS0_4arch9wavefront6targetE1EEEvT1_,comdat
	.protected	_ZN7rocprim17ROCPRIM_400000_NS6detail17trampoline_kernelINS0_14default_configENS1_35adjacent_difference_config_selectorILb1EdEEZNS1_24adjacent_difference_implIS3_Lb1ELb0EPdS7_N6thrust23THRUST_200600_302600_NS4plusIdEEEE10hipError_tPvRmT2_T3_mT4_P12ihipStream_tbEUlT_E_NS1_11comp_targetILNS1_3genE3ELNS1_11target_archE908ELNS1_3gpuE7ELNS1_3repE0EEENS1_30default_config_static_selectorELNS0_4arch9wavefront6targetE1EEEvT1_ ; -- Begin function _ZN7rocprim17ROCPRIM_400000_NS6detail17trampoline_kernelINS0_14default_configENS1_35adjacent_difference_config_selectorILb1EdEEZNS1_24adjacent_difference_implIS3_Lb1ELb0EPdS7_N6thrust23THRUST_200600_302600_NS4plusIdEEEE10hipError_tPvRmT2_T3_mT4_P12ihipStream_tbEUlT_E_NS1_11comp_targetILNS1_3genE3ELNS1_11target_archE908ELNS1_3gpuE7ELNS1_3repE0EEENS1_30default_config_static_selectorELNS0_4arch9wavefront6targetE1EEEvT1_
	.globl	_ZN7rocprim17ROCPRIM_400000_NS6detail17trampoline_kernelINS0_14default_configENS1_35adjacent_difference_config_selectorILb1EdEEZNS1_24adjacent_difference_implIS3_Lb1ELb0EPdS7_N6thrust23THRUST_200600_302600_NS4plusIdEEEE10hipError_tPvRmT2_T3_mT4_P12ihipStream_tbEUlT_E_NS1_11comp_targetILNS1_3genE3ELNS1_11target_archE908ELNS1_3gpuE7ELNS1_3repE0EEENS1_30default_config_static_selectorELNS0_4arch9wavefront6targetE1EEEvT1_
	.p2align	8
	.type	_ZN7rocprim17ROCPRIM_400000_NS6detail17trampoline_kernelINS0_14default_configENS1_35adjacent_difference_config_selectorILb1EdEEZNS1_24adjacent_difference_implIS3_Lb1ELb0EPdS7_N6thrust23THRUST_200600_302600_NS4plusIdEEEE10hipError_tPvRmT2_T3_mT4_P12ihipStream_tbEUlT_E_NS1_11comp_targetILNS1_3genE3ELNS1_11target_archE908ELNS1_3gpuE7ELNS1_3repE0EEENS1_30default_config_static_selectorELNS0_4arch9wavefront6targetE1EEEvT1_,@function
_ZN7rocprim17ROCPRIM_400000_NS6detail17trampoline_kernelINS0_14default_configENS1_35adjacent_difference_config_selectorILb1EdEEZNS1_24adjacent_difference_implIS3_Lb1ELb0EPdS7_N6thrust23THRUST_200600_302600_NS4plusIdEEEE10hipError_tPvRmT2_T3_mT4_P12ihipStream_tbEUlT_E_NS1_11comp_targetILNS1_3genE3ELNS1_11target_archE908ELNS1_3gpuE7ELNS1_3repE0EEENS1_30default_config_static_selectorELNS0_4arch9wavefront6targetE1EEEvT1_: ; @_ZN7rocprim17ROCPRIM_400000_NS6detail17trampoline_kernelINS0_14default_configENS1_35adjacent_difference_config_selectorILb1EdEEZNS1_24adjacent_difference_implIS3_Lb1ELb0EPdS7_N6thrust23THRUST_200600_302600_NS4plusIdEEEE10hipError_tPvRmT2_T3_mT4_P12ihipStream_tbEUlT_E_NS1_11comp_targetILNS1_3genE3ELNS1_11target_archE908ELNS1_3gpuE7ELNS1_3repE0EEENS1_30default_config_static_selectorELNS0_4arch9wavefront6targetE1EEEvT1_
; %bb.0:
	.section	.rodata,"a",@progbits
	.p2align	6, 0x0
	.amdhsa_kernel _ZN7rocprim17ROCPRIM_400000_NS6detail17trampoline_kernelINS0_14default_configENS1_35adjacent_difference_config_selectorILb1EdEEZNS1_24adjacent_difference_implIS3_Lb1ELb0EPdS7_N6thrust23THRUST_200600_302600_NS4plusIdEEEE10hipError_tPvRmT2_T3_mT4_P12ihipStream_tbEUlT_E_NS1_11comp_targetILNS1_3genE3ELNS1_11target_archE908ELNS1_3gpuE7ELNS1_3repE0EEENS1_30default_config_static_selectorELNS0_4arch9wavefront6targetE1EEEvT1_
		.amdhsa_group_segment_fixed_size 0
		.amdhsa_private_segment_fixed_size 0
		.amdhsa_kernarg_size 56
		.amdhsa_user_sgpr_count 6
		.amdhsa_user_sgpr_private_segment_buffer 1
		.amdhsa_user_sgpr_dispatch_ptr 0
		.amdhsa_user_sgpr_queue_ptr 0
		.amdhsa_user_sgpr_kernarg_segment_ptr 1
		.amdhsa_user_sgpr_dispatch_id 0
		.amdhsa_user_sgpr_flat_scratch_init 0
		.amdhsa_user_sgpr_kernarg_preload_length 0
		.amdhsa_user_sgpr_kernarg_preload_offset 0
		.amdhsa_user_sgpr_private_segment_size 0
		.amdhsa_uses_dynamic_stack 0
		.amdhsa_system_sgpr_private_segment_wavefront_offset 0
		.amdhsa_system_sgpr_workgroup_id_x 1
		.amdhsa_system_sgpr_workgroup_id_y 0
		.amdhsa_system_sgpr_workgroup_id_z 0
		.amdhsa_system_sgpr_workgroup_info 0
		.amdhsa_system_vgpr_workitem_id 0
		.amdhsa_next_free_vgpr 1
		.amdhsa_next_free_sgpr 0
		.amdhsa_accum_offset 4
		.amdhsa_reserve_vcc 0
		.amdhsa_reserve_flat_scratch 0
		.amdhsa_float_round_mode_32 0
		.amdhsa_float_round_mode_16_64 0
		.amdhsa_float_denorm_mode_32 3
		.amdhsa_float_denorm_mode_16_64 3
		.amdhsa_dx10_clamp 1
		.amdhsa_ieee_mode 1
		.amdhsa_fp16_overflow 0
		.amdhsa_tg_split 0
		.amdhsa_exception_fp_ieee_invalid_op 0
		.amdhsa_exception_fp_denorm_src 0
		.amdhsa_exception_fp_ieee_div_zero 0
		.amdhsa_exception_fp_ieee_overflow 0
		.amdhsa_exception_fp_ieee_underflow 0
		.amdhsa_exception_fp_ieee_inexact 0
		.amdhsa_exception_int_div_zero 0
	.end_amdhsa_kernel
	.section	.text._ZN7rocprim17ROCPRIM_400000_NS6detail17trampoline_kernelINS0_14default_configENS1_35adjacent_difference_config_selectorILb1EdEEZNS1_24adjacent_difference_implIS3_Lb1ELb0EPdS7_N6thrust23THRUST_200600_302600_NS4plusIdEEEE10hipError_tPvRmT2_T3_mT4_P12ihipStream_tbEUlT_E_NS1_11comp_targetILNS1_3genE3ELNS1_11target_archE908ELNS1_3gpuE7ELNS1_3repE0EEENS1_30default_config_static_selectorELNS0_4arch9wavefront6targetE1EEEvT1_,"axG",@progbits,_ZN7rocprim17ROCPRIM_400000_NS6detail17trampoline_kernelINS0_14default_configENS1_35adjacent_difference_config_selectorILb1EdEEZNS1_24adjacent_difference_implIS3_Lb1ELb0EPdS7_N6thrust23THRUST_200600_302600_NS4plusIdEEEE10hipError_tPvRmT2_T3_mT4_P12ihipStream_tbEUlT_E_NS1_11comp_targetILNS1_3genE3ELNS1_11target_archE908ELNS1_3gpuE7ELNS1_3repE0EEENS1_30default_config_static_selectorELNS0_4arch9wavefront6targetE1EEEvT1_,comdat
.Lfunc_end462:
	.size	_ZN7rocprim17ROCPRIM_400000_NS6detail17trampoline_kernelINS0_14default_configENS1_35adjacent_difference_config_selectorILb1EdEEZNS1_24adjacent_difference_implIS3_Lb1ELb0EPdS7_N6thrust23THRUST_200600_302600_NS4plusIdEEEE10hipError_tPvRmT2_T3_mT4_P12ihipStream_tbEUlT_E_NS1_11comp_targetILNS1_3genE3ELNS1_11target_archE908ELNS1_3gpuE7ELNS1_3repE0EEENS1_30default_config_static_selectorELNS0_4arch9wavefront6targetE1EEEvT1_, .Lfunc_end462-_ZN7rocprim17ROCPRIM_400000_NS6detail17trampoline_kernelINS0_14default_configENS1_35adjacent_difference_config_selectorILb1EdEEZNS1_24adjacent_difference_implIS3_Lb1ELb0EPdS7_N6thrust23THRUST_200600_302600_NS4plusIdEEEE10hipError_tPvRmT2_T3_mT4_P12ihipStream_tbEUlT_E_NS1_11comp_targetILNS1_3genE3ELNS1_11target_archE908ELNS1_3gpuE7ELNS1_3repE0EEENS1_30default_config_static_selectorELNS0_4arch9wavefront6targetE1EEEvT1_
                                        ; -- End function
	.section	.AMDGPU.csdata,"",@progbits
; Kernel info:
; codeLenInByte = 0
; NumSgprs: 4
; NumVgprs: 0
; NumAgprs: 0
; TotalNumVgprs: 0
; ScratchSize: 0
; MemoryBound: 0
; FloatMode: 240
; IeeeMode: 1
; LDSByteSize: 0 bytes/workgroup (compile time only)
; SGPRBlocks: 0
; VGPRBlocks: 0
; NumSGPRsForWavesPerEU: 4
; NumVGPRsForWavesPerEU: 1
; AccumOffset: 4
; Occupancy: 8
; WaveLimiterHint : 0
; COMPUTE_PGM_RSRC2:SCRATCH_EN: 0
; COMPUTE_PGM_RSRC2:USER_SGPR: 6
; COMPUTE_PGM_RSRC2:TRAP_HANDLER: 0
; COMPUTE_PGM_RSRC2:TGID_X_EN: 1
; COMPUTE_PGM_RSRC2:TGID_Y_EN: 0
; COMPUTE_PGM_RSRC2:TGID_Z_EN: 0
; COMPUTE_PGM_RSRC2:TIDIG_COMP_CNT: 0
; COMPUTE_PGM_RSRC3_GFX90A:ACCUM_OFFSET: 0
; COMPUTE_PGM_RSRC3_GFX90A:TG_SPLIT: 0
	.section	.text._ZN7rocprim17ROCPRIM_400000_NS6detail17trampoline_kernelINS0_14default_configENS1_35adjacent_difference_config_selectorILb1EdEEZNS1_24adjacent_difference_implIS3_Lb1ELb0EPdS7_N6thrust23THRUST_200600_302600_NS4plusIdEEEE10hipError_tPvRmT2_T3_mT4_P12ihipStream_tbEUlT_E_NS1_11comp_targetILNS1_3genE2ELNS1_11target_archE906ELNS1_3gpuE6ELNS1_3repE0EEENS1_30default_config_static_selectorELNS0_4arch9wavefront6targetE1EEEvT1_,"axG",@progbits,_ZN7rocprim17ROCPRIM_400000_NS6detail17trampoline_kernelINS0_14default_configENS1_35adjacent_difference_config_selectorILb1EdEEZNS1_24adjacent_difference_implIS3_Lb1ELb0EPdS7_N6thrust23THRUST_200600_302600_NS4plusIdEEEE10hipError_tPvRmT2_T3_mT4_P12ihipStream_tbEUlT_E_NS1_11comp_targetILNS1_3genE2ELNS1_11target_archE906ELNS1_3gpuE6ELNS1_3repE0EEENS1_30default_config_static_selectorELNS0_4arch9wavefront6targetE1EEEvT1_,comdat
	.protected	_ZN7rocprim17ROCPRIM_400000_NS6detail17trampoline_kernelINS0_14default_configENS1_35adjacent_difference_config_selectorILb1EdEEZNS1_24adjacent_difference_implIS3_Lb1ELb0EPdS7_N6thrust23THRUST_200600_302600_NS4plusIdEEEE10hipError_tPvRmT2_T3_mT4_P12ihipStream_tbEUlT_E_NS1_11comp_targetILNS1_3genE2ELNS1_11target_archE906ELNS1_3gpuE6ELNS1_3repE0EEENS1_30default_config_static_selectorELNS0_4arch9wavefront6targetE1EEEvT1_ ; -- Begin function _ZN7rocprim17ROCPRIM_400000_NS6detail17trampoline_kernelINS0_14default_configENS1_35adjacent_difference_config_selectorILb1EdEEZNS1_24adjacent_difference_implIS3_Lb1ELb0EPdS7_N6thrust23THRUST_200600_302600_NS4plusIdEEEE10hipError_tPvRmT2_T3_mT4_P12ihipStream_tbEUlT_E_NS1_11comp_targetILNS1_3genE2ELNS1_11target_archE906ELNS1_3gpuE6ELNS1_3repE0EEENS1_30default_config_static_selectorELNS0_4arch9wavefront6targetE1EEEvT1_
	.globl	_ZN7rocprim17ROCPRIM_400000_NS6detail17trampoline_kernelINS0_14default_configENS1_35adjacent_difference_config_selectorILb1EdEEZNS1_24adjacent_difference_implIS3_Lb1ELb0EPdS7_N6thrust23THRUST_200600_302600_NS4plusIdEEEE10hipError_tPvRmT2_T3_mT4_P12ihipStream_tbEUlT_E_NS1_11comp_targetILNS1_3genE2ELNS1_11target_archE906ELNS1_3gpuE6ELNS1_3repE0EEENS1_30default_config_static_selectorELNS0_4arch9wavefront6targetE1EEEvT1_
	.p2align	8
	.type	_ZN7rocprim17ROCPRIM_400000_NS6detail17trampoline_kernelINS0_14default_configENS1_35adjacent_difference_config_selectorILb1EdEEZNS1_24adjacent_difference_implIS3_Lb1ELb0EPdS7_N6thrust23THRUST_200600_302600_NS4plusIdEEEE10hipError_tPvRmT2_T3_mT4_P12ihipStream_tbEUlT_E_NS1_11comp_targetILNS1_3genE2ELNS1_11target_archE906ELNS1_3gpuE6ELNS1_3repE0EEENS1_30default_config_static_selectorELNS0_4arch9wavefront6targetE1EEEvT1_,@function
_ZN7rocprim17ROCPRIM_400000_NS6detail17trampoline_kernelINS0_14default_configENS1_35adjacent_difference_config_selectorILb1EdEEZNS1_24adjacent_difference_implIS3_Lb1ELb0EPdS7_N6thrust23THRUST_200600_302600_NS4plusIdEEEE10hipError_tPvRmT2_T3_mT4_P12ihipStream_tbEUlT_E_NS1_11comp_targetILNS1_3genE2ELNS1_11target_archE906ELNS1_3gpuE6ELNS1_3repE0EEENS1_30default_config_static_selectorELNS0_4arch9wavefront6targetE1EEEvT1_: ; @_ZN7rocprim17ROCPRIM_400000_NS6detail17trampoline_kernelINS0_14default_configENS1_35adjacent_difference_config_selectorILb1EdEEZNS1_24adjacent_difference_implIS3_Lb1ELb0EPdS7_N6thrust23THRUST_200600_302600_NS4plusIdEEEE10hipError_tPvRmT2_T3_mT4_P12ihipStream_tbEUlT_E_NS1_11comp_targetILNS1_3genE2ELNS1_11target_archE906ELNS1_3gpuE6ELNS1_3repE0EEENS1_30default_config_static_selectorELNS0_4arch9wavefront6targetE1EEEvT1_
; %bb.0:
	.section	.rodata,"a",@progbits
	.p2align	6, 0x0
	.amdhsa_kernel _ZN7rocprim17ROCPRIM_400000_NS6detail17trampoline_kernelINS0_14default_configENS1_35adjacent_difference_config_selectorILb1EdEEZNS1_24adjacent_difference_implIS3_Lb1ELb0EPdS7_N6thrust23THRUST_200600_302600_NS4plusIdEEEE10hipError_tPvRmT2_T3_mT4_P12ihipStream_tbEUlT_E_NS1_11comp_targetILNS1_3genE2ELNS1_11target_archE906ELNS1_3gpuE6ELNS1_3repE0EEENS1_30default_config_static_selectorELNS0_4arch9wavefront6targetE1EEEvT1_
		.amdhsa_group_segment_fixed_size 0
		.amdhsa_private_segment_fixed_size 0
		.amdhsa_kernarg_size 56
		.amdhsa_user_sgpr_count 6
		.amdhsa_user_sgpr_private_segment_buffer 1
		.amdhsa_user_sgpr_dispatch_ptr 0
		.amdhsa_user_sgpr_queue_ptr 0
		.amdhsa_user_sgpr_kernarg_segment_ptr 1
		.amdhsa_user_sgpr_dispatch_id 0
		.amdhsa_user_sgpr_flat_scratch_init 0
		.amdhsa_user_sgpr_kernarg_preload_length 0
		.amdhsa_user_sgpr_kernarg_preload_offset 0
		.amdhsa_user_sgpr_private_segment_size 0
		.amdhsa_uses_dynamic_stack 0
		.amdhsa_system_sgpr_private_segment_wavefront_offset 0
		.amdhsa_system_sgpr_workgroup_id_x 1
		.amdhsa_system_sgpr_workgroup_id_y 0
		.amdhsa_system_sgpr_workgroup_id_z 0
		.amdhsa_system_sgpr_workgroup_info 0
		.amdhsa_system_vgpr_workitem_id 0
		.amdhsa_next_free_vgpr 1
		.amdhsa_next_free_sgpr 0
		.amdhsa_accum_offset 4
		.amdhsa_reserve_vcc 0
		.amdhsa_reserve_flat_scratch 0
		.amdhsa_float_round_mode_32 0
		.amdhsa_float_round_mode_16_64 0
		.amdhsa_float_denorm_mode_32 3
		.amdhsa_float_denorm_mode_16_64 3
		.amdhsa_dx10_clamp 1
		.amdhsa_ieee_mode 1
		.amdhsa_fp16_overflow 0
		.amdhsa_tg_split 0
		.amdhsa_exception_fp_ieee_invalid_op 0
		.amdhsa_exception_fp_denorm_src 0
		.amdhsa_exception_fp_ieee_div_zero 0
		.amdhsa_exception_fp_ieee_overflow 0
		.amdhsa_exception_fp_ieee_underflow 0
		.amdhsa_exception_fp_ieee_inexact 0
		.amdhsa_exception_int_div_zero 0
	.end_amdhsa_kernel
	.section	.text._ZN7rocprim17ROCPRIM_400000_NS6detail17trampoline_kernelINS0_14default_configENS1_35adjacent_difference_config_selectorILb1EdEEZNS1_24adjacent_difference_implIS3_Lb1ELb0EPdS7_N6thrust23THRUST_200600_302600_NS4plusIdEEEE10hipError_tPvRmT2_T3_mT4_P12ihipStream_tbEUlT_E_NS1_11comp_targetILNS1_3genE2ELNS1_11target_archE906ELNS1_3gpuE6ELNS1_3repE0EEENS1_30default_config_static_selectorELNS0_4arch9wavefront6targetE1EEEvT1_,"axG",@progbits,_ZN7rocprim17ROCPRIM_400000_NS6detail17trampoline_kernelINS0_14default_configENS1_35adjacent_difference_config_selectorILb1EdEEZNS1_24adjacent_difference_implIS3_Lb1ELb0EPdS7_N6thrust23THRUST_200600_302600_NS4plusIdEEEE10hipError_tPvRmT2_T3_mT4_P12ihipStream_tbEUlT_E_NS1_11comp_targetILNS1_3genE2ELNS1_11target_archE906ELNS1_3gpuE6ELNS1_3repE0EEENS1_30default_config_static_selectorELNS0_4arch9wavefront6targetE1EEEvT1_,comdat
.Lfunc_end463:
	.size	_ZN7rocprim17ROCPRIM_400000_NS6detail17trampoline_kernelINS0_14default_configENS1_35adjacent_difference_config_selectorILb1EdEEZNS1_24adjacent_difference_implIS3_Lb1ELb0EPdS7_N6thrust23THRUST_200600_302600_NS4plusIdEEEE10hipError_tPvRmT2_T3_mT4_P12ihipStream_tbEUlT_E_NS1_11comp_targetILNS1_3genE2ELNS1_11target_archE906ELNS1_3gpuE6ELNS1_3repE0EEENS1_30default_config_static_selectorELNS0_4arch9wavefront6targetE1EEEvT1_, .Lfunc_end463-_ZN7rocprim17ROCPRIM_400000_NS6detail17trampoline_kernelINS0_14default_configENS1_35adjacent_difference_config_selectorILb1EdEEZNS1_24adjacent_difference_implIS3_Lb1ELb0EPdS7_N6thrust23THRUST_200600_302600_NS4plusIdEEEE10hipError_tPvRmT2_T3_mT4_P12ihipStream_tbEUlT_E_NS1_11comp_targetILNS1_3genE2ELNS1_11target_archE906ELNS1_3gpuE6ELNS1_3repE0EEENS1_30default_config_static_selectorELNS0_4arch9wavefront6targetE1EEEvT1_
                                        ; -- End function
	.section	.AMDGPU.csdata,"",@progbits
; Kernel info:
; codeLenInByte = 0
; NumSgprs: 4
; NumVgprs: 0
; NumAgprs: 0
; TotalNumVgprs: 0
; ScratchSize: 0
; MemoryBound: 0
; FloatMode: 240
; IeeeMode: 1
; LDSByteSize: 0 bytes/workgroup (compile time only)
; SGPRBlocks: 0
; VGPRBlocks: 0
; NumSGPRsForWavesPerEU: 4
; NumVGPRsForWavesPerEU: 1
; AccumOffset: 4
; Occupancy: 8
; WaveLimiterHint : 0
; COMPUTE_PGM_RSRC2:SCRATCH_EN: 0
; COMPUTE_PGM_RSRC2:USER_SGPR: 6
; COMPUTE_PGM_RSRC2:TRAP_HANDLER: 0
; COMPUTE_PGM_RSRC2:TGID_X_EN: 1
; COMPUTE_PGM_RSRC2:TGID_Y_EN: 0
; COMPUTE_PGM_RSRC2:TGID_Z_EN: 0
; COMPUTE_PGM_RSRC2:TIDIG_COMP_CNT: 0
; COMPUTE_PGM_RSRC3_GFX90A:ACCUM_OFFSET: 0
; COMPUTE_PGM_RSRC3_GFX90A:TG_SPLIT: 0
	.section	.text._ZN7rocprim17ROCPRIM_400000_NS6detail17trampoline_kernelINS0_14default_configENS1_35adjacent_difference_config_selectorILb1EdEEZNS1_24adjacent_difference_implIS3_Lb1ELb0EPdS7_N6thrust23THRUST_200600_302600_NS4plusIdEEEE10hipError_tPvRmT2_T3_mT4_P12ihipStream_tbEUlT_E_NS1_11comp_targetILNS1_3genE9ELNS1_11target_archE1100ELNS1_3gpuE3ELNS1_3repE0EEENS1_30default_config_static_selectorELNS0_4arch9wavefront6targetE1EEEvT1_,"axG",@progbits,_ZN7rocprim17ROCPRIM_400000_NS6detail17trampoline_kernelINS0_14default_configENS1_35adjacent_difference_config_selectorILb1EdEEZNS1_24adjacent_difference_implIS3_Lb1ELb0EPdS7_N6thrust23THRUST_200600_302600_NS4plusIdEEEE10hipError_tPvRmT2_T3_mT4_P12ihipStream_tbEUlT_E_NS1_11comp_targetILNS1_3genE9ELNS1_11target_archE1100ELNS1_3gpuE3ELNS1_3repE0EEENS1_30default_config_static_selectorELNS0_4arch9wavefront6targetE1EEEvT1_,comdat
	.protected	_ZN7rocprim17ROCPRIM_400000_NS6detail17trampoline_kernelINS0_14default_configENS1_35adjacent_difference_config_selectorILb1EdEEZNS1_24adjacent_difference_implIS3_Lb1ELb0EPdS7_N6thrust23THRUST_200600_302600_NS4plusIdEEEE10hipError_tPvRmT2_T3_mT4_P12ihipStream_tbEUlT_E_NS1_11comp_targetILNS1_3genE9ELNS1_11target_archE1100ELNS1_3gpuE3ELNS1_3repE0EEENS1_30default_config_static_selectorELNS0_4arch9wavefront6targetE1EEEvT1_ ; -- Begin function _ZN7rocprim17ROCPRIM_400000_NS6detail17trampoline_kernelINS0_14default_configENS1_35adjacent_difference_config_selectorILb1EdEEZNS1_24adjacent_difference_implIS3_Lb1ELb0EPdS7_N6thrust23THRUST_200600_302600_NS4plusIdEEEE10hipError_tPvRmT2_T3_mT4_P12ihipStream_tbEUlT_E_NS1_11comp_targetILNS1_3genE9ELNS1_11target_archE1100ELNS1_3gpuE3ELNS1_3repE0EEENS1_30default_config_static_selectorELNS0_4arch9wavefront6targetE1EEEvT1_
	.globl	_ZN7rocprim17ROCPRIM_400000_NS6detail17trampoline_kernelINS0_14default_configENS1_35adjacent_difference_config_selectorILb1EdEEZNS1_24adjacent_difference_implIS3_Lb1ELb0EPdS7_N6thrust23THRUST_200600_302600_NS4plusIdEEEE10hipError_tPvRmT2_T3_mT4_P12ihipStream_tbEUlT_E_NS1_11comp_targetILNS1_3genE9ELNS1_11target_archE1100ELNS1_3gpuE3ELNS1_3repE0EEENS1_30default_config_static_selectorELNS0_4arch9wavefront6targetE1EEEvT1_
	.p2align	8
	.type	_ZN7rocprim17ROCPRIM_400000_NS6detail17trampoline_kernelINS0_14default_configENS1_35adjacent_difference_config_selectorILb1EdEEZNS1_24adjacent_difference_implIS3_Lb1ELb0EPdS7_N6thrust23THRUST_200600_302600_NS4plusIdEEEE10hipError_tPvRmT2_T3_mT4_P12ihipStream_tbEUlT_E_NS1_11comp_targetILNS1_3genE9ELNS1_11target_archE1100ELNS1_3gpuE3ELNS1_3repE0EEENS1_30default_config_static_selectorELNS0_4arch9wavefront6targetE1EEEvT1_,@function
_ZN7rocprim17ROCPRIM_400000_NS6detail17trampoline_kernelINS0_14default_configENS1_35adjacent_difference_config_selectorILb1EdEEZNS1_24adjacent_difference_implIS3_Lb1ELb0EPdS7_N6thrust23THRUST_200600_302600_NS4plusIdEEEE10hipError_tPvRmT2_T3_mT4_P12ihipStream_tbEUlT_E_NS1_11comp_targetILNS1_3genE9ELNS1_11target_archE1100ELNS1_3gpuE3ELNS1_3repE0EEENS1_30default_config_static_selectorELNS0_4arch9wavefront6targetE1EEEvT1_: ; @_ZN7rocprim17ROCPRIM_400000_NS6detail17trampoline_kernelINS0_14default_configENS1_35adjacent_difference_config_selectorILb1EdEEZNS1_24adjacent_difference_implIS3_Lb1ELb0EPdS7_N6thrust23THRUST_200600_302600_NS4plusIdEEEE10hipError_tPvRmT2_T3_mT4_P12ihipStream_tbEUlT_E_NS1_11comp_targetILNS1_3genE9ELNS1_11target_archE1100ELNS1_3gpuE3ELNS1_3repE0EEENS1_30default_config_static_selectorELNS0_4arch9wavefront6targetE1EEEvT1_
; %bb.0:
	.section	.rodata,"a",@progbits
	.p2align	6, 0x0
	.amdhsa_kernel _ZN7rocprim17ROCPRIM_400000_NS6detail17trampoline_kernelINS0_14default_configENS1_35adjacent_difference_config_selectorILb1EdEEZNS1_24adjacent_difference_implIS3_Lb1ELb0EPdS7_N6thrust23THRUST_200600_302600_NS4plusIdEEEE10hipError_tPvRmT2_T3_mT4_P12ihipStream_tbEUlT_E_NS1_11comp_targetILNS1_3genE9ELNS1_11target_archE1100ELNS1_3gpuE3ELNS1_3repE0EEENS1_30default_config_static_selectorELNS0_4arch9wavefront6targetE1EEEvT1_
		.amdhsa_group_segment_fixed_size 0
		.amdhsa_private_segment_fixed_size 0
		.amdhsa_kernarg_size 56
		.amdhsa_user_sgpr_count 6
		.amdhsa_user_sgpr_private_segment_buffer 1
		.amdhsa_user_sgpr_dispatch_ptr 0
		.amdhsa_user_sgpr_queue_ptr 0
		.amdhsa_user_sgpr_kernarg_segment_ptr 1
		.amdhsa_user_sgpr_dispatch_id 0
		.amdhsa_user_sgpr_flat_scratch_init 0
		.amdhsa_user_sgpr_kernarg_preload_length 0
		.amdhsa_user_sgpr_kernarg_preload_offset 0
		.amdhsa_user_sgpr_private_segment_size 0
		.amdhsa_uses_dynamic_stack 0
		.amdhsa_system_sgpr_private_segment_wavefront_offset 0
		.amdhsa_system_sgpr_workgroup_id_x 1
		.amdhsa_system_sgpr_workgroup_id_y 0
		.amdhsa_system_sgpr_workgroup_id_z 0
		.amdhsa_system_sgpr_workgroup_info 0
		.amdhsa_system_vgpr_workitem_id 0
		.amdhsa_next_free_vgpr 1
		.amdhsa_next_free_sgpr 0
		.amdhsa_accum_offset 4
		.amdhsa_reserve_vcc 0
		.amdhsa_reserve_flat_scratch 0
		.amdhsa_float_round_mode_32 0
		.amdhsa_float_round_mode_16_64 0
		.amdhsa_float_denorm_mode_32 3
		.amdhsa_float_denorm_mode_16_64 3
		.amdhsa_dx10_clamp 1
		.amdhsa_ieee_mode 1
		.amdhsa_fp16_overflow 0
		.amdhsa_tg_split 0
		.amdhsa_exception_fp_ieee_invalid_op 0
		.amdhsa_exception_fp_denorm_src 0
		.amdhsa_exception_fp_ieee_div_zero 0
		.amdhsa_exception_fp_ieee_overflow 0
		.amdhsa_exception_fp_ieee_underflow 0
		.amdhsa_exception_fp_ieee_inexact 0
		.amdhsa_exception_int_div_zero 0
	.end_amdhsa_kernel
	.section	.text._ZN7rocprim17ROCPRIM_400000_NS6detail17trampoline_kernelINS0_14default_configENS1_35adjacent_difference_config_selectorILb1EdEEZNS1_24adjacent_difference_implIS3_Lb1ELb0EPdS7_N6thrust23THRUST_200600_302600_NS4plusIdEEEE10hipError_tPvRmT2_T3_mT4_P12ihipStream_tbEUlT_E_NS1_11comp_targetILNS1_3genE9ELNS1_11target_archE1100ELNS1_3gpuE3ELNS1_3repE0EEENS1_30default_config_static_selectorELNS0_4arch9wavefront6targetE1EEEvT1_,"axG",@progbits,_ZN7rocprim17ROCPRIM_400000_NS6detail17trampoline_kernelINS0_14default_configENS1_35adjacent_difference_config_selectorILb1EdEEZNS1_24adjacent_difference_implIS3_Lb1ELb0EPdS7_N6thrust23THRUST_200600_302600_NS4plusIdEEEE10hipError_tPvRmT2_T3_mT4_P12ihipStream_tbEUlT_E_NS1_11comp_targetILNS1_3genE9ELNS1_11target_archE1100ELNS1_3gpuE3ELNS1_3repE0EEENS1_30default_config_static_selectorELNS0_4arch9wavefront6targetE1EEEvT1_,comdat
.Lfunc_end464:
	.size	_ZN7rocprim17ROCPRIM_400000_NS6detail17trampoline_kernelINS0_14default_configENS1_35adjacent_difference_config_selectorILb1EdEEZNS1_24adjacent_difference_implIS3_Lb1ELb0EPdS7_N6thrust23THRUST_200600_302600_NS4plusIdEEEE10hipError_tPvRmT2_T3_mT4_P12ihipStream_tbEUlT_E_NS1_11comp_targetILNS1_3genE9ELNS1_11target_archE1100ELNS1_3gpuE3ELNS1_3repE0EEENS1_30default_config_static_selectorELNS0_4arch9wavefront6targetE1EEEvT1_, .Lfunc_end464-_ZN7rocprim17ROCPRIM_400000_NS6detail17trampoline_kernelINS0_14default_configENS1_35adjacent_difference_config_selectorILb1EdEEZNS1_24adjacent_difference_implIS3_Lb1ELb0EPdS7_N6thrust23THRUST_200600_302600_NS4plusIdEEEE10hipError_tPvRmT2_T3_mT4_P12ihipStream_tbEUlT_E_NS1_11comp_targetILNS1_3genE9ELNS1_11target_archE1100ELNS1_3gpuE3ELNS1_3repE0EEENS1_30default_config_static_selectorELNS0_4arch9wavefront6targetE1EEEvT1_
                                        ; -- End function
	.section	.AMDGPU.csdata,"",@progbits
; Kernel info:
; codeLenInByte = 0
; NumSgprs: 4
; NumVgprs: 0
; NumAgprs: 0
; TotalNumVgprs: 0
; ScratchSize: 0
; MemoryBound: 0
; FloatMode: 240
; IeeeMode: 1
; LDSByteSize: 0 bytes/workgroup (compile time only)
; SGPRBlocks: 0
; VGPRBlocks: 0
; NumSGPRsForWavesPerEU: 4
; NumVGPRsForWavesPerEU: 1
; AccumOffset: 4
; Occupancy: 8
; WaveLimiterHint : 0
; COMPUTE_PGM_RSRC2:SCRATCH_EN: 0
; COMPUTE_PGM_RSRC2:USER_SGPR: 6
; COMPUTE_PGM_RSRC2:TRAP_HANDLER: 0
; COMPUTE_PGM_RSRC2:TGID_X_EN: 1
; COMPUTE_PGM_RSRC2:TGID_Y_EN: 0
; COMPUTE_PGM_RSRC2:TGID_Z_EN: 0
; COMPUTE_PGM_RSRC2:TIDIG_COMP_CNT: 0
; COMPUTE_PGM_RSRC3_GFX90A:ACCUM_OFFSET: 0
; COMPUTE_PGM_RSRC3_GFX90A:TG_SPLIT: 0
	.section	.text._ZN7rocprim17ROCPRIM_400000_NS6detail17trampoline_kernelINS0_14default_configENS1_35adjacent_difference_config_selectorILb1EdEEZNS1_24adjacent_difference_implIS3_Lb1ELb0EPdS7_N6thrust23THRUST_200600_302600_NS4plusIdEEEE10hipError_tPvRmT2_T3_mT4_P12ihipStream_tbEUlT_E_NS1_11comp_targetILNS1_3genE8ELNS1_11target_archE1030ELNS1_3gpuE2ELNS1_3repE0EEENS1_30default_config_static_selectorELNS0_4arch9wavefront6targetE1EEEvT1_,"axG",@progbits,_ZN7rocprim17ROCPRIM_400000_NS6detail17trampoline_kernelINS0_14default_configENS1_35adjacent_difference_config_selectorILb1EdEEZNS1_24adjacent_difference_implIS3_Lb1ELb0EPdS7_N6thrust23THRUST_200600_302600_NS4plusIdEEEE10hipError_tPvRmT2_T3_mT4_P12ihipStream_tbEUlT_E_NS1_11comp_targetILNS1_3genE8ELNS1_11target_archE1030ELNS1_3gpuE2ELNS1_3repE0EEENS1_30default_config_static_selectorELNS0_4arch9wavefront6targetE1EEEvT1_,comdat
	.protected	_ZN7rocprim17ROCPRIM_400000_NS6detail17trampoline_kernelINS0_14default_configENS1_35adjacent_difference_config_selectorILb1EdEEZNS1_24adjacent_difference_implIS3_Lb1ELb0EPdS7_N6thrust23THRUST_200600_302600_NS4plusIdEEEE10hipError_tPvRmT2_T3_mT4_P12ihipStream_tbEUlT_E_NS1_11comp_targetILNS1_3genE8ELNS1_11target_archE1030ELNS1_3gpuE2ELNS1_3repE0EEENS1_30default_config_static_selectorELNS0_4arch9wavefront6targetE1EEEvT1_ ; -- Begin function _ZN7rocprim17ROCPRIM_400000_NS6detail17trampoline_kernelINS0_14default_configENS1_35adjacent_difference_config_selectorILb1EdEEZNS1_24adjacent_difference_implIS3_Lb1ELb0EPdS7_N6thrust23THRUST_200600_302600_NS4plusIdEEEE10hipError_tPvRmT2_T3_mT4_P12ihipStream_tbEUlT_E_NS1_11comp_targetILNS1_3genE8ELNS1_11target_archE1030ELNS1_3gpuE2ELNS1_3repE0EEENS1_30default_config_static_selectorELNS0_4arch9wavefront6targetE1EEEvT1_
	.globl	_ZN7rocprim17ROCPRIM_400000_NS6detail17trampoline_kernelINS0_14default_configENS1_35adjacent_difference_config_selectorILb1EdEEZNS1_24adjacent_difference_implIS3_Lb1ELb0EPdS7_N6thrust23THRUST_200600_302600_NS4plusIdEEEE10hipError_tPvRmT2_T3_mT4_P12ihipStream_tbEUlT_E_NS1_11comp_targetILNS1_3genE8ELNS1_11target_archE1030ELNS1_3gpuE2ELNS1_3repE0EEENS1_30default_config_static_selectorELNS0_4arch9wavefront6targetE1EEEvT1_
	.p2align	8
	.type	_ZN7rocprim17ROCPRIM_400000_NS6detail17trampoline_kernelINS0_14default_configENS1_35adjacent_difference_config_selectorILb1EdEEZNS1_24adjacent_difference_implIS3_Lb1ELb0EPdS7_N6thrust23THRUST_200600_302600_NS4plusIdEEEE10hipError_tPvRmT2_T3_mT4_P12ihipStream_tbEUlT_E_NS1_11comp_targetILNS1_3genE8ELNS1_11target_archE1030ELNS1_3gpuE2ELNS1_3repE0EEENS1_30default_config_static_selectorELNS0_4arch9wavefront6targetE1EEEvT1_,@function
_ZN7rocprim17ROCPRIM_400000_NS6detail17trampoline_kernelINS0_14default_configENS1_35adjacent_difference_config_selectorILb1EdEEZNS1_24adjacent_difference_implIS3_Lb1ELb0EPdS7_N6thrust23THRUST_200600_302600_NS4plusIdEEEE10hipError_tPvRmT2_T3_mT4_P12ihipStream_tbEUlT_E_NS1_11comp_targetILNS1_3genE8ELNS1_11target_archE1030ELNS1_3gpuE2ELNS1_3repE0EEENS1_30default_config_static_selectorELNS0_4arch9wavefront6targetE1EEEvT1_: ; @_ZN7rocprim17ROCPRIM_400000_NS6detail17trampoline_kernelINS0_14default_configENS1_35adjacent_difference_config_selectorILb1EdEEZNS1_24adjacent_difference_implIS3_Lb1ELb0EPdS7_N6thrust23THRUST_200600_302600_NS4plusIdEEEE10hipError_tPvRmT2_T3_mT4_P12ihipStream_tbEUlT_E_NS1_11comp_targetILNS1_3genE8ELNS1_11target_archE1030ELNS1_3gpuE2ELNS1_3repE0EEENS1_30default_config_static_selectorELNS0_4arch9wavefront6targetE1EEEvT1_
; %bb.0:
	.section	.rodata,"a",@progbits
	.p2align	6, 0x0
	.amdhsa_kernel _ZN7rocprim17ROCPRIM_400000_NS6detail17trampoline_kernelINS0_14default_configENS1_35adjacent_difference_config_selectorILb1EdEEZNS1_24adjacent_difference_implIS3_Lb1ELb0EPdS7_N6thrust23THRUST_200600_302600_NS4plusIdEEEE10hipError_tPvRmT2_T3_mT4_P12ihipStream_tbEUlT_E_NS1_11comp_targetILNS1_3genE8ELNS1_11target_archE1030ELNS1_3gpuE2ELNS1_3repE0EEENS1_30default_config_static_selectorELNS0_4arch9wavefront6targetE1EEEvT1_
		.amdhsa_group_segment_fixed_size 0
		.amdhsa_private_segment_fixed_size 0
		.amdhsa_kernarg_size 56
		.amdhsa_user_sgpr_count 6
		.amdhsa_user_sgpr_private_segment_buffer 1
		.amdhsa_user_sgpr_dispatch_ptr 0
		.amdhsa_user_sgpr_queue_ptr 0
		.amdhsa_user_sgpr_kernarg_segment_ptr 1
		.amdhsa_user_sgpr_dispatch_id 0
		.amdhsa_user_sgpr_flat_scratch_init 0
		.amdhsa_user_sgpr_kernarg_preload_length 0
		.amdhsa_user_sgpr_kernarg_preload_offset 0
		.amdhsa_user_sgpr_private_segment_size 0
		.amdhsa_uses_dynamic_stack 0
		.amdhsa_system_sgpr_private_segment_wavefront_offset 0
		.amdhsa_system_sgpr_workgroup_id_x 1
		.amdhsa_system_sgpr_workgroup_id_y 0
		.amdhsa_system_sgpr_workgroup_id_z 0
		.amdhsa_system_sgpr_workgroup_info 0
		.amdhsa_system_vgpr_workitem_id 0
		.amdhsa_next_free_vgpr 1
		.amdhsa_next_free_sgpr 0
		.amdhsa_accum_offset 4
		.amdhsa_reserve_vcc 0
		.amdhsa_reserve_flat_scratch 0
		.amdhsa_float_round_mode_32 0
		.amdhsa_float_round_mode_16_64 0
		.amdhsa_float_denorm_mode_32 3
		.amdhsa_float_denorm_mode_16_64 3
		.amdhsa_dx10_clamp 1
		.amdhsa_ieee_mode 1
		.amdhsa_fp16_overflow 0
		.amdhsa_tg_split 0
		.amdhsa_exception_fp_ieee_invalid_op 0
		.amdhsa_exception_fp_denorm_src 0
		.amdhsa_exception_fp_ieee_div_zero 0
		.amdhsa_exception_fp_ieee_overflow 0
		.amdhsa_exception_fp_ieee_underflow 0
		.amdhsa_exception_fp_ieee_inexact 0
		.amdhsa_exception_int_div_zero 0
	.end_amdhsa_kernel
	.section	.text._ZN7rocprim17ROCPRIM_400000_NS6detail17trampoline_kernelINS0_14default_configENS1_35adjacent_difference_config_selectorILb1EdEEZNS1_24adjacent_difference_implIS3_Lb1ELb0EPdS7_N6thrust23THRUST_200600_302600_NS4plusIdEEEE10hipError_tPvRmT2_T3_mT4_P12ihipStream_tbEUlT_E_NS1_11comp_targetILNS1_3genE8ELNS1_11target_archE1030ELNS1_3gpuE2ELNS1_3repE0EEENS1_30default_config_static_selectorELNS0_4arch9wavefront6targetE1EEEvT1_,"axG",@progbits,_ZN7rocprim17ROCPRIM_400000_NS6detail17trampoline_kernelINS0_14default_configENS1_35adjacent_difference_config_selectorILb1EdEEZNS1_24adjacent_difference_implIS3_Lb1ELb0EPdS7_N6thrust23THRUST_200600_302600_NS4plusIdEEEE10hipError_tPvRmT2_T3_mT4_P12ihipStream_tbEUlT_E_NS1_11comp_targetILNS1_3genE8ELNS1_11target_archE1030ELNS1_3gpuE2ELNS1_3repE0EEENS1_30default_config_static_selectorELNS0_4arch9wavefront6targetE1EEEvT1_,comdat
.Lfunc_end465:
	.size	_ZN7rocprim17ROCPRIM_400000_NS6detail17trampoline_kernelINS0_14default_configENS1_35adjacent_difference_config_selectorILb1EdEEZNS1_24adjacent_difference_implIS3_Lb1ELb0EPdS7_N6thrust23THRUST_200600_302600_NS4plusIdEEEE10hipError_tPvRmT2_T3_mT4_P12ihipStream_tbEUlT_E_NS1_11comp_targetILNS1_3genE8ELNS1_11target_archE1030ELNS1_3gpuE2ELNS1_3repE0EEENS1_30default_config_static_selectorELNS0_4arch9wavefront6targetE1EEEvT1_, .Lfunc_end465-_ZN7rocprim17ROCPRIM_400000_NS6detail17trampoline_kernelINS0_14default_configENS1_35adjacent_difference_config_selectorILb1EdEEZNS1_24adjacent_difference_implIS3_Lb1ELb0EPdS7_N6thrust23THRUST_200600_302600_NS4plusIdEEEE10hipError_tPvRmT2_T3_mT4_P12ihipStream_tbEUlT_E_NS1_11comp_targetILNS1_3genE8ELNS1_11target_archE1030ELNS1_3gpuE2ELNS1_3repE0EEENS1_30default_config_static_selectorELNS0_4arch9wavefront6targetE1EEEvT1_
                                        ; -- End function
	.section	.AMDGPU.csdata,"",@progbits
; Kernel info:
; codeLenInByte = 0
; NumSgprs: 4
; NumVgprs: 0
; NumAgprs: 0
; TotalNumVgprs: 0
; ScratchSize: 0
; MemoryBound: 0
; FloatMode: 240
; IeeeMode: 1
; LDSByteSize: 0 bytes/workgroup (compile time only)
; SGPRBlocks: 0
; VGPRBlocks: 0
; NumSGPRsForWavesPerEU: 4
; NumVGPRsForWavesPerEU: 1
; AccumOffset: 4
; Occupancy: 8
; WaveLimiterHint : 0
; COMPUTE_PGM_RSRC2:SCRATCH_EN: 0
; COMPUTE_PGM_RSRC2:USER_SGPR: 6
; COMPUTE_PGM_RSRC2:TRAP_HANDLER: 0
; COMPUTE_PGM_RSRC2:TGID_X_EN: 1
; COMPUTE_PGM_RSRC2:TGID_Y_EN: 0
; COMPUTE_PGM_RSRC2:TGID_Z_EN: 0
; COMPUTE_PGM_RSRC2:TIDIG_COMP_CNT: 0
; COMPUTE_PGM_RSRC3_GFX90A:ACCUM_OFFSET: 0
; COMPUTE_PGM_RSRC3_GFX90A:TG_SPLIT: 0
	.section	.text._ZN7rocprim17ROCPRIM_400000_NS6detail17trampoline_kernelINS0_14default_configENS1_35adjacent_difference_config_selectorILb0EaEEZNS1_24adjacent_difference_implIS3_Lb0ELb0EPKaPaN6thrust23THRUST_200600_302600_NS4plusIaEEEE10hipError_tPvRmT2_T3_mT4_P12ihipStream_tbEUlT_E_NS1_11comp_targetILNS1_3genE0ELNS1_11target_archE4294967295ELNS1_3gpuE0ELNS1_3repE0EEENS1_30default_config_static_selectorELNS0_4arch9wavefront6targetE1EEEvT1_,"axG",@progbits,_ZN7rocprim17ROCPRIM_400000_NS6detail17trampoline_kernelINS0_14default_configENS1_35adjacent_difference_config_selectorILb0EaEEZNS1_24adjacent_difference_implIS3_Lb0ELb0EPKaPaN6thrust23THRUST_200600_302600_NS4plusIaEEEE10hipError_tPvRmT2_T3_mT4_P12ihipStream_tbEUlT_E_NS1_11comp_targetILNS1_3genE0ELNS1_11target_archE4294967295ELNS1_3gpuE0ELNS1_3repE0EEENS1_30default_config_static_selectorELNS0_4arch9wavefront6targetE1EEEvT1_,comdat
	.protected	_ZN7rocprim17ROCPRIM_400000_NS6detail17trampoline_kernelINS0_14default_configENS1_35adjacent_difference_config_selectorILb0EaEEZNS1_24adjacent_difference_implIS3_Lb0ELb0EPKaPaN6thrust23THRUST_200600_302600_NS4plusIaEEEE10hipError_tPvRmT2_T3_mT4_P12ihipStream_tbEUlT_E_NS1_11comp_targetILNS1_3genE0ELNS1_11target_archE4294967295ELNS1_3gpuE0ELNS1_3repE0EEENS1_30default_config_static_selectorELNS0_4arch9wavefront6targetE1EEEvT1_ ; -- Begin function _ZN7rocprim17ROCPRIM_400000_NS6detail17trampoline_kernelINS0_14default_configENS1_35adjacent_difference_config_selectorILb0EaEEZNS1_24adjacent_difference_implIS3_Lb0ELb0EPKaPaN6thrust23THRUST_200600_302600_NS4plusIaEEEE10hipError_tPvRmT2_T3_mT4_P12ihipStream_tbEUlT_E_NS1_11comp_targetILNS1_3genE0ELNS1_11target_archE4294967295ELNS1_3gpuE0ELNS1_3repE0EEENS1_30default_config_static_selectorELNS0_4arch9wavefront6targetE1EEEvT1_
	.globl	_ZN7rocprim17ROCPRIM_400000_NS6detail17trampoline_kernelINS0_14default_configENS1_35adjacent_difference_config_selectorILb0EaEEZNS1_24adjacent_difference_implIS3_Lb0ELb0EPKaPaN6thrust23THRUST_200600_302600_NS4plusIaEEEE10hipError_tPvRmT2_T3_mT4_P12ihipStream_tbEUlT_E_NS1_11comp_targetILNS1_3genE0ELNS1_11target_archE4294967295ELNS1_3gpuE0ELNS1_3repE0EEENS1_30default_config_static_selectorELNS0_4arch9wavefront6targetE1EEEvT1_
	.p2align	8
	.type	_ZN7rocprim17ROCPRIM_400000_NS6detail17trampoline_kernelINS0_14default_configENS1_35adjacent_difference_config_selectorILb0EaEEZNS1_24adjacent_difference_implIS3_Lb0ELb0EPKaPaN6thrust23THRUST_200600_302600_NS4plusIaEEEE10hipError_tPvRmT2_T3_mT4_P12ihipStream_tbEUlT_E_NS1_11comp_targetILNS1_3genE0ELNS1_11target_archE4294967295ELNS1_3gpuE0ELNS1_3repE0EEENS1_30default_config_static_selectorELNS0_4arch9wavefront6targetE1EEEvT1_,@function
_ZN7rocprim17ROCPRIM_400000_NS6detail17trampoline_kernelINS0_14default_configENS1_35adjacent_difference_config_selectorILb0EaEEZNS1_24adjacent_difference_implIS3_Lb0ELb0EPKaPaN6thrust23THRUST_200600_302600_NS4plusIaEEEE10hipError_tPvRmT2_T3_mT4_P12ihipStream_tbEUlT_E_NS1_11comp_targetILNS1_3genE0ELNS1_11target_archE4294967295ELNS1_3gpuE0ELNS1_3repE0EEENS1_30default_config_static_selectorELNS0_4arch9wavefront6targetE1EEEvT1_: ; @_ZN7rocprim17ROCPRIM_400000_NS6detail17trampoline_kernelINS0_14default_configENS1_35adjacent_difference_config_selectorILb0EaEEZNS1_24adjacent_difference_implIS3_Lb0ELb0EPKaPaN6thrust23THRUST_200600_302600_NS4plusIaEEEE10hipError_tPvRmT2_T3_mT4_P12ihipStream_tbEUlT_E_NS1_11comp_targetILNS1_3genE0ELNS1_11target_archE4294967295ELNS1_3gpuE0ELNS1_3repE0EEENS1_30default_config_static_selectorELNS0_4arch9wavefront6targetE1EEEvT1_
; %bb.0:
	.section	.rodata,"a",@progbits
	.p2align	6, 0x0
	.amdhsa_kernel _ZN7rocprim17ROCPRIM_400000_NS6detail17trampoline_kernelINS0_14default_configENS1_35adjacent_difference_config_selectorILb0EaEEZNS1_24adjacent_difference_implIS3_Lb0ELb0EPKaPaN6thrust23THRUST_200600_302600_NS4plusIaEEEE10hipError_tPvRmT2_T3_mT4_P12ihipStream_tbEUlT_E_NS1_11comp_targetILNS1_3genE0ELNS1_11target_archE4294967295ELNS1_3gpuE0ELNS1_3repE0EEENS1_30default_config_static_selectorELNS0_4arch9wavefront6targetE1EEEvT1_
		.amdhsa_group_segment_fixed_size 0
		.amdhsa_private_segment_fixed_size 0
		.amdhsa_kernarg_size 56
		.amdhsa_user_sgpr_count 6
		.amdhsa_user_sgpr_private_segment_buffer 1
		.amdhsa_user_sgpr_dispatch_ptr 0
		.amdhsa_user_sgpr_queue_ptr 0
		.amdhsa_user_sgpr_kernarg_segment_ptr 1
		.amdhsa_user_sgpr_dispatch_id 0
		.amdhsa_user_sgpr_flat_scratch_init 0
		.amdhsa_user_sgpr_kernarg_preload_length 0
		.amdhsa_user_sgpr_kernarg_preload_offset 0
		.amdhsa_user_sgpr_private_segment_size 0
		.amdhsa_uses_dynamic_stack 0
		.amdhsa_system_sgpr_private_segment_wavefront_offset 0
		.amdhsa_system_sgpr_workgroup_id_x 1
		.amdhsa_system_sgpr_workgroup_id_y 0
		.amdhsa_system_sgpr_workgroup_id_z 0
		.amdhsa_system_sgpr_workgroup_info 0
		.amdhsa_system_vgpr_workitem_id 0
		.amdhsa_next_free_vgpr 1
		.amdhsa_next_free_sgpr 0
		.amdhsa_accum_offset 4
		.amdhsa_reserve_vcc 0
		.amdhsa_reserve_flat_scratch 0
		.amdhsa_float_round_mode_32 0
		.amdhsa_float_round_mode_16_64 0
		.amdhsa_float_denorm_mode_32 3
		.amdhsa_float_denorm_mode_16_64 3
		.amdhsa_dx10_clamp 1
		.amdhsa_ieee_mode 1
		.amdhsa_fp16_overflow 0
		.amdhsa_tg_split 0
		.amdhsa_exception_fp_ieee_invalid_op 0
		.amdhsa_exception_fp_denorm_src 0
		.amdhsa_exception_fp_ieee_div_zero 0
		.amdhsa_exception_fp_ieee_overflow 0
		.amdhsa_exception_fp_ieee_underflow 0
		.amdhsa_exception_fp_ieee_inexact 0
		.amdhsa_exception_int_div_zero 0
	.end_amdhsa_kernel
	.section	.text._ZN7rocprim17ROCPRIM_400000_NS6detail17trampoline_kernelINS0_14default_configENS1_35adjacent_difference_config_selectorILb0EaEEZNS1_24adjacent_difference_implIS3_Lb0ELb0EPKaPaN6thrust23THRUST_200600_302600_NS4plusIaEEEE10hipError_tPvRmT2_T3_mT4_P12ihipStream_tbEUlT_E_NS1_11comp_targetILNS1_3genE0ELNS1_11target_archE4294967295ELNS1_3gpuE0ELNS1_3repE0EEENS1_30default_config_static_selectorELNS0_4arch9wavefront6targetE1EEEvT1_,"axG",@progbits,_ZN7rocprim17ROCPRIM_400000_NS6detail17trampoline_kernelINS0_14default_configENS1_35adjacent_difference_config_selectorILb0EaEEZNS1_24adjacent_difference_implIS3_Lb0ELb0EPKaPaN6thrust23THRUST_200600_302600_NS4plusIaEEEE10hipError_tPvRmT2_T3_mT4_P12ihipStream_tbEUlT_E_NS1_11comp_targetILNS1_3genE0ELNS1_11target_archE4294967295ELNS1_3gpuE0ELNS1_3repE0EEENS1_30default_config_static_selectorELNS0_4arch9wavefront6targetE1EEEvT1_,comdat
.Lfunc_end466:
	.size	_ZN7rocprim17ROCPRIM_400000_NS6detail17trampoline_kernelINS0_14default_configENS1_35adjacent_difference_config_selectorILb0EaEEZNS1_24adjacent_difference_implIS3_Lb0ELb0EPKaPaN6thrust23THRUST_200600_302600_NS4plusIaEEEE10hipError_tPvRmT2_T3_mT4_P12ihipStream_tbEUlT_E_NS1_11comp_targetILNS1_3genE0ELNS1_11target_archE4294967295ELNS1_3gpuE0ELNS1_3repE0EEENS1_30default_config_static_selectorELNS0_4arch9wavefront6targetE1EEEvT1_, .Lfunc_end466-_ZN7rocprim17ROCPRIM_400000_NS6detail17trampoline_kernelINS0_14default_configENS1_35adjacent_difference_config_selectorILb0EaEEZNS1_24adjacent_difference_implIS3_Lb0ELb0EPKaPaN6thrust23THRUST_200600_302600_NS4plusIaEEEE10hipError_tPvRmT2_T3_mT4_P12ihipStream_tbEUlT_E_NS1_11comp_targetILNS1_3genE0ELNS1_11target_archE4294967295ELNS1_3gpuE0ELNS1_3repE0EEENS1_30default_config_static_selectorELNS0_4arch9wavefront6targetE1EEEvT1_
                                        ; -- End function
	.section	.AMDGPU.csdata,"",@progbits
; Kernel info:
; codeLenInByte = 0
; NumSgprs: 4
; NumVgprs: 0
; NumAgprs: 0
; TotalNumVgprs: 0
; ScratchSize: 0
; MemoryBound: 0
; FloatMode: 240
; IeeeMode: 1
; LDSByteSize: 0 bytes/workgroup (compile time only)
; SGPRBlocks: 0
; VGPRBlocks: 0
; NumSGPRsForWavesPerEU: 4
; NumVGPRsForWavesPerEU: 1
; AccumOffset: 4
; Occupancy: 8
; WaveLimiterHint : 0
; COMPUTE_PGM_RSRC2:SCRATCH_EN: 0
; COMPUTE_PGM_RSRC2:USER_SGPR: 6
; COMPUTE_PGM_RSRC2:TRAP_HANDLER: 0
; COMPUTE_PGM_RSRC2:TGID_X_EN: 1
; COMPUTE_PGM_RSRC2:TGID_Y_EN: 0
; COMPUTE_PGM_RSRC2:TGID_Z_EN: 0
; COMPUTE_PGM_RSRC2:TIDIG_COMP_CNT: 0
; COMPUTE_PGM_RSRC3_GFX90A:ACCUM_OFFSET: 0
; COMPUTE_PGM_RSRC3_GFX90A:TG_SPLIT: 0
	.section	.text._ZN7rocprim17ROCPRIM_400000_NS6detail17trampoline_kernelINS0_14default_configENS1_35adjacent_difference_config_selectorILb0EaEEZNS1_24adjacent_difference_implIS3_Lb0ELb0EPKaPaN6thrust23THRUST_200600_302600_NS4plusIaEEEE10hipError_tPvRmT2_T3_mT4_P12ihipStream_tbEUlT_E_NS1_11comp_targetILNS1_3genE10ELNS1_11target_archE1201ELNS1_3gpuE5ELNS1_3repE0EEENS1_30default_config_static_selectorELNS0_4arch9wavefront6targetE1EEEvT1_,"axG",@progbits,_ZN7rocprim17ROCPRIM_400000_NS6detail17trampoline_kernelINS0_14default_configENS1_35adjacent_difference_config_selectorILb0EaEEZNS1_24adjacent_difference_implIS3_Lb0ELb0EPKaPaN6thrust23THRUST_200600_302600_NS4plusIaEEEE10hipError_tPvRmT2_T3_mT4_P12ihipStream_tbEUlT_E_NS1_11comp_targetILNS1_3genE10ELNS1_11target_archE1201ELNS1_3gpuE5ELNS1_3repE0EEENS1_30default_config_static_selectorELNS0_4arch9wavefront6targetE1EEEvT1_,comdat
	.protected	_ZN7rocprim17ROCPRIM_400000_NS6detail17trampoline_kernelINS0_14default_configENS1_35adjacent_difference_config_selectorILb0EaEEZNS1_24adjacent_difference_implIS3_Lb0ELb0EPKaPaN6thrust23THRUST_200600_302600_NS4plusIaEEEE10hipError_tPvRmT2_T3_mT4_P12ihipStream_tbEUlT_E_NS1_11comp_targetILNS1_3genE10ELNS1_11target_archE1201ELNS1_3gpuE5ELNS1_3repE0EEENS1_30default_config_static_selectorELNS0_4arch9wavefront6targetE1EEEvT1_ ; -- Begin function _ZN7rocprim17ROCPRIM_400000_NS6detail17trampoline_kernelINS0_14default_configENS1_35adjacent_difference_config_selectorILb0EaEEZNS1_24adjacent_difference_implIS3_Lb0ELb0EPKaPaN6thrust23THRUST_200600_302600_NS4plusIaEEEE10hipError_tPvRmT2_T3_mT4_P12ihipStream_tbEUlT_E_NS1_11comp_targetILNS1_3genE10ELNS1_11target_archE1201ELNS1_3gpuE5ELNS1_3repE0EEENS1_30default_config_static_selectorELNS0_4arch9wavefront6targetE1EEEvT1_
	.globl	_ZN7rocprim17ROCPRIM_400000_NS6detail17trampoline_kernelINS0_14default_configENS1_35adjacent_difference_config_selectorILb0EaEEZNS1_24adjacent_difference_implIS3_Lb0ELb0EPKaPaN6thrust23THRUST_200600_302600_NS4plusIaEEEE10hipError_tPvRmT2_T3_mT4_P12ihipStream_tbEUlT_E_NS1_11comp_targetILNS1_3genE10ELNS1_11target_archE1201ELNS1_3gpuE5ELNS1_3repE0EEENS1_30default_config_static_selectorELNS0_4arch9wavefront6targetE1EEEvT1_
	.p2align	8
	.type	_ZN7rocprim17ROCPRIM_400000_NS6detail17trampoline_kernelINS0_14default_configENS1_35adjacent_difference_config_selectorILb0EaEEZNS1_24adjacent_difference_implIS3_Lb0ELb0EPKaPaN6thrust23THRUST_200600_302600_NS4plusIaEEEE10hipError_tPvRmT2_T3_mT4_P12ihipStream_tbEUlT_E_NS1_11comp_targetILNS1_3genE10ELNS1_11target_archE1201ELNS1_3gpuE5ELNS1_3repE0EEENS1_30default_config_static_selectorELNS0_4arch9wavefront6targetE1EEEvT1_,@function
_ZN7rocprim17ROCPRIM_400000_NS6detail17trampoline_kernelINS0_14default_configENS1_35adjacent_difference_config_selectorILb0EaEEZNS1_24adjacent_difference_implIS3_Lb0ELb0EPKaPaN6thrust23THRUST_200600_302600_NS4plusIaEEEE10hipError_tPvRmT2_T3_mT4_P12ihipStream_tbEUlT_E_NS1_11comp_targetILNS1_3genE10ELNS1_11target_archE1201ELNS1_3gpuE5ELNS1_3repE0EEENS1_30default_config_static_selectorELNS0_4arch9wavefront6targetE1EEEvT1_: ; @_ZN7rocprim17ROCPRIM_400000_NS6detail17trampoline_kernelINS0_14default_configENS1_35adjacent_difference_config_selectorILb0EaEEZNS1_24adjacent_difference_implIS3_Lb0ELb0EPKaPaN6thrust23THRUST_200600_302600_NS4plusIaEEEE10hipError_tPvRmT2_T3_mT4_P12ihipStream_tbEUlT_E_NS1_11comp_targetILNS1_3genE10ELNS1_11target_archE1201ELNS1_3gpuE5ELNS1_3repE0EEENS1_30default_config_static_selectorELNS0_4arch9wavefront6targetE1EEEvT1_
; %bb.0:
	.section	.rodata,"a",@progbits
	.p2align	6, 0x0
	.amdhsa_kernel _ZN7rocprim17ROCPRIM_400000_NS6detail17trampoline_kernelINS0_14default_configENS1_35adjacent_difference_config_selectorILb0EaEEZNS1_24adjacent_difference_implIS3_Lb0ELb0EPKaPaN6thrust23THRUST_200600_302600_NS4plusIaEEEE10hipError_tPvRmT2_T3_mT4_P12ihipStream_tbEUlT_E_NS1_11comp_targetILNS1_3genE10ELNS1_11target_archE1201ELNS1_3gpuE5ELNS1_3repE0EEENS1_30default_config_static_selectorELNS0_4arch9wavefront6targetE1EEEvT1_
		.amdhsa_group_segment_fixed_size 0
		.amdhsa_private_segment_fixed_size 0
		.amdhsa_kernarg_size 56
		.amdhsa_user_sgpr_count 6
		.amdhsa_user_sgpr_private_segment_buffer 1
		.amdhsa_user_sgpr_dispatch_ptr 0
		.amdhsa_user_sgpr_queue_ptr 0
		.amdhsa_user_sgpr_kernarg_segment_ptr 1
		.amdhsa_user_sgpr_dispatch_id 0
		.amdhsa_user_sgpr_flat_scratch_init 0
		.amdhsa_user_sgpr_kernarg_preload_length 0
		.amdhsa_user_sgpr_kernarg_preload_offset 0
		.amdhsa_user_sgpr_private_segment_size 0
		.amdhsa_uses_dynamic_stack 0
		.amdhsa_system_sgpr_private_segment_wavefront_offset 0
		.amdhsa_system_sgpr_workgroup_id_x 1
		.amdhsa_system_sgpr_workgroup_id_y 0
		.amdhsa_system_sgpr_workgroup_id_z 0
		.amdhsa_system_sgpr_workgroup_info 0
		.amdhsa_system_vgpr_workitem_id 0
		.amdhsa_next_free_vgpr 1
		.amdhsa_next_free_sgpr 0
		.amdhsa_accum_offset 4
		.amdhsa_reserve_vcc 0
		.amdhsa_reserve_flat_scratch 0
		.amdhsa_float_round_mode_32 0
		.amdhsa_float_round_mode_16_64 0
		.amdhsa_float_denorm_mode_32 3
		.amdhsa_float_denorm_mode_16_64 3
		.amdhsa_dx10_clamp 1
		.amdhsa_ieee_mode 1
		.amdhsa_fp16_overflow 0
		.amdhsa_tg_split 0
		.amdhsa_exception_fp_ieee_invalid_op 0
		.amdhsa_exception_fp_denorm_src 0
		.amdhsa_exception_fp_ieee_div_zero 0
		.amdhsa_exception_fp_ieee_overflow 0
		.amdhsa_exception_fp_ieee_underflow 0
		.amdhsa_exception_fp_ieee_inexact 0
		.amdhsa_exception_int_div_zero 0
	.end_amdhsa_kernel
	.section	.text._ZN7rocprim17ROCPRIM_400000_NS6detail17trampoline_kernelINS0_14default_configENS1_35adjacent_difference_config_selectorILb0EaEEZNS1_24adjacent_difference_implIS3_Lb0ELb0EPKaPaN6thrust23THRUST_200600_302600_NS4plusIaEEEE10hipError_tPvRmT2_T3_mT4_P12ihipStream_tbEUlT_E_NS1_11comp_targetILNS1_3genE10ELNS1_11target_archE1201ELNS1_3gpuE5ELNS1_3repE0EEENS1_30default_config_static_selectorELNS0_4arch9wavefront6targetE1EEEvT1_,"axG",@progbits,_ZN7rocprim17ROCPRIM_400000_NS6detail17trampoline_kernelINS0_14default_configENS1_35adjacent_difference_config_selectorILb0EaEEZNS1_24adjacent_difference_implIS3_Lb0ELb0EPKaPaN6thrust23THRUST_200600_302600_NS4plusIaEEEE10hipError_tPvRmT2_T3_mT4_P12ihipStream_tbEUlT_E_NS1_11comp_targetILNS1_3genE10ELNS1_11target_archE1201ELNS1_3gpuE5ELNS1_3repE0EEENS1_30default_config_static_selectorELNS0_4arch9wavefront6targetE1EEEvT1_,comdat
.Lfunc_end467:
	.size	_ZN7rocprim17ROCPRIM_400000_NS6detail17trampoline_kernelINS0_14default_configENS1_35adjacent_difference_config_selectorILb0EaEEZNS1_24adjacent_difference_implIS3_Lb0ELb0EPKaPaN6thrust23THRUST_200600_302600_NS4plusIaEEEE10hipError_tPvRmT2_T3_mT4_P12ihipStream_tbEUlT_E_NS1_11comp_targetILNS1_3genE10ELNS1_11target_archE1201ELNS1_3gpuE5ELNS1_3repE0EEENS1_30default_config_static_selectorELNS0_4arch9wavefront6targetE1EEEvT1_, .Lfunc_end467-_ZN7rocprim17ROCPRIM_400000_NS6detail17trampoline_kernelINS0_14default_configENS1_35adjacent_difference_config_selectorILb0EaEEZNS1_24adjacent_difference_implIS3_Lb0ELb0EPKaPaN6thrust23THRUST_200600_302600_NS4plusIaEEEE10hipError_tPvRmT2_T3_mT4_P12ihipStream_tbEUlT_E_NS1_11comp_targetILNS1_3genE10ELNS1_11target_archE1201ELNS1_3gpuE5ELNS1_3repE0EEENS1_30default_config_static_selectorELNS0_4arch9wavefront6targetE1EEEvT1_
                                        ; -- End function
	.section	.AMDGPU.csdata,"",@progbits
; Kernel info:
; codeLenInByte = 0
; NumSgprs: 4
; NumVgprs: 0
; NumAgprs: 0
; TotalNumVgprs: 0
; ScratchSize: 0
; MemoryBound: 0
; FloatMode: 240
; IeeeMode: 1
; LDSByteSize: 0 bytes/workgroup (compile time only)
; SGPRBlocks: 0
; VGPRBlocks: 0
; NumSGPRsForWavesPerEU: 4
; NumVGPRsForWavesPerEU: 1
; AccumOffset: 4
; Occupancy: 8
; WaveLimiterHint : 0
; COMPUTE_PGM_RSRC2:SCRATCH_EN: 0
; COMPUTE_PGM_RSRC2:USER_SGPR: 6
; COMPUTE_PGM_RSRC2:TRAP_HANDLER: 0
; COMPUTE_PGM_RSRC2:TGID_X_EN: 1
; COMPUTE_PGM_RSRC2:TGID_Y_EN: 0
; COMPUTE_PGM_RSRC2:TGID_Z_EN: 0
; COMPUTE_PGM_RSRC2:TIDIG_COMP_CNT: 0
; COMPUTE_PGM_RSRC3_GFX90A:ACCUM_OFFSET: 0
; COMPUTE_PGM_RSRC3_GFX90A:TG_SPLIT: 0
	.section	.text._ZN7rocprim17ROCPRIM_400000_NS6detail17trampoline_kernelINS0_14default_configENS1_35adjacent_difference_config_selectorILb0EaEEZNS1_24adjacent_difference_implIS3_Lb0ELb0EPKaPaN6thrust23THRUST_200600_302600_NS4plusIaEEEE10hipError_tPvRmT2_T3_mT4_P12ihipStream_tbEUlT_E_NS1_11comp_targetILNS1_3genE5ELNS1_11target_archE942ELNS1_3gpuE9ELNS1_3repE0EEENS1_30default_config_static_selectorELNS0_4arch9wavefront6targetE1EEEvT1_,"axG",@progbits,_ZN7rocprim17ROCPRIM_400000_NS6detail17trampoline_kernelINS0_14default_configENS1_35adjacent_difference_config_selectorILb0EaEEZNS1_24adjacent_difference_implIS3_Lb0ELb0EPKaPaN6thrust23THRUST_200600_302600_NS4plusIaEEEE10hipError_tPvRmT2_T3_mT4_P12ihipStream_tbEUlT_E_NS1_11comp_targetILNS1_3genE5ELNS1_11target_archE942ELNS1_3gpuE9ELNS1_3repE0EEENS1_30default_config_static_selectorELNS0_4arch9wavefront6targetE1EEEvT1_,comdat
	.protected	_ZN7rocprim17ROCPRIM_400000_NS6detail17trampoline_kernelINS0_14default_configENS1_35adjacent_difference_config_selectorILb0EaEEZNS1_24adjacent_difference_implIS3_Lb0ELb0EPKaPaN6thrust23THRUST_200600_302600_NS4plusIaEEEE10hipError_tPvRmT2_T3_mT4_P12ihipStream_tbEUlT_E_NS1_11comp_targetILNS1_3genE5ELNS1_11target_archE942ELNS1_3gpuE9ELNS1_3repE0EEENS1_30default_config_static_selectorELNS0_4arch9wavefront6targetE1EEEvT1_ ; -- Begin function _ZN7rocprim17ROCPRIM_400000_NS6detail17trampoline_kernelINS0_14default_configENS1_35adjacent_difference_config_selectorILb0EaEEZNS1_24adjacent_difference_implIS3_Lb0ELb0EPKaPaN6thrust23THRUST_200600_302600_NS4plusIaEEEE10hipError_tPvRmT2_T3_mT4_P12ihipStream_tbEUlT_E_NS1_11comp_targetILNS1_3genE5ELNS1_11target_archE942ELNS1_3gpuE9ELNS1_3repE0EEENS1_30default_config_static_selectorELNS0_4arch9wavefront6targetE1EEEvT1_
	.globl	_ZN7rocprim17ROCPRIM_400000_NS6detail17trampoline_kernelINS0_14default_configENS1_35adjacent_difference_config_selectorILb0EaEEZNS1_24adjacent_difference_implIS3_Lb0ELb0EPKaPaN6thrust23THRUST_200600_302600_NS4plusIaEEEE10hipError_tPvRmT2_T3_mT4_P12ihipStream_tbEUlT_E_NS1_11comp_targetILNS1_3genE5ELNS1_11target_archE942ELNS1_3gpuE9ELNS1_3repE0EEENS1_30default_config_static_selectorELNS0_4arch9wavefront6targetE1EEEvT1_
	.p2align	8
	.type	_ZN7rocprim17ROCPRIM_400000_NS6detail17trampoline_kernelINS0_14default_configENS1_35adjacent_difference_config_selectorILb0EaEEZNS1_24adjacent_difference_implIS3_Lb0ELb0EPKaPaN6thrust23THRUST_200600_302600_NS4plusIaEEEE10hipError_tPvRmT2_T3_mT4_P12ihipStream_tbEUlT_E_NS1_11comp_targetILNS1_3genE5ELNS1_11target_archE942ELNS1_3gpuE9ELNS1_3repE0EEENS1_30default_config_static_selectorELNS0_4arch9wavefront6targetE1EEEvT1_,@function
_ZN7rocprim17ROCPRIM_400000_NS6detail17trampoline_kernelINS0_14default_configENS1_35adjacent_difference_config_selectorILb0EaEEZNS1_24adjacent_difference_implIS3_Lb0ELb0EPKaPaN6thrust23THRUST_200600_302600_NS4plusIaEEEE10hipError_tPvRmT2_T3_mT4_P12ihipStream_tbEUlT_E_NS1_11comp_targetILNS1_3genE5ELNS1_11target_archE942ELNS1_3gpuE9ELNS1_3repE0EEENS1_30default_config_static_selectorELNS0_4arch9wavefront6targetE1EEEvT1_: ; @_ZN7rocprim17ROCPRIM_400000_NS6detail17trampoline_kernelINS0_14default_configENS1_35adjacent_difference_config_selectorILb0EaEEZNS1_24adjacent_difference_implIS3_Lb0ELb0EPKaPaN6thrust23THRUST_200600_302600_NS4plusIaEEEE10hipError_tPvRmT2_T3_mT4_P12ihipStream_tbEUlT_E_NS1_11comp_targetILNS1_3genE5ELNS1_11target_archE942ELNS1_3gpuE9ELNS1_3repE0EEENS1_30default_config_static_selectorELNS0_4arch9wavefront6targetE1EEEvT1_
; %bb.0:
	.section	.rodata,"a",@progbits
	.p2align	6, 0x0
	.amdhsa_kernel _ZN7rocprim17ROCPRIM_400000_NS6detail17trampoline_kernelINS0_14default_configENS1_35adjacent_difference_config_selectorILb0EaEEZNS1_24adjacent_difference_implIS3_Lb0ELb0EPKaPaN6thrust23THRUST_200600_302600_NS4plusIaEEEE10hipError_tPvRmT2_T3_mT4_P12ihipStream_tbEUlT_E_NS1_11comp_targetILNS1_3genE5ELNS1_11target_archE942ELNS1_3gpuE9ELNS1_3repE0EEENS1_30default_config_static_selectorELNS0_4arch9wavefront6targetE1EEEvT1_
		.amdhsa_group_segment_fixed_size 0
		.amdhsa_private_segment_fixed_size 0
		.amdhsa_kernarg_size 56
		.amdhsa_user_sgpr_count 6
		.amdhsa_user_sgpr_private_segment_buffer 1
		.amdhsa_user_sgpr_dispatch_ptr 0
		.amdhsa_user_sgpr_queue_ptr 0
		.amdhsa_user_sgpr_kernarg_segment_ptr 1
		.amdhsa_user_sgpr_dispatch_id 0
		.amdhsa_user_sgpr_flat_scratch_init 0
		.amdhsa_user_sgpr_kernarg_preload_length 0
		.amdhsa_user_sgpr_kernarg_preload_offset 0
		.amdhsa_user_sgpr_private_segment_size 0
		.amdhsa_uses_dynamic_stack 0
		.amdhsa_system_sgpr_private_segment_wavefront_offset 0
		.amdhsa_system_sgpr_workgroup_id_x 1
		.amdhsa_system_sgpr_workgroup_id_y 0
		.amdhsa_system_sgpr_workgroup_id_z 0
		.amdhsa_system_sgpr_workgroup_info 0
		.amdhsa_system_vgpr_workitem_id 0
		.amdhsa_next_free_vgpr 1
		.amdhsa_next_free_sgpr 0
		.amdhsa_accum_offset 4
		.amdhsa_reserve_vcc 0
		.amdhsa_reserve_flat_scratch 0
		.amdhsa_float_round_mode_32 0
		.amdhsa_float_round_mode_16_64 0
		.amdhsa_float_denorm_mode_32 3
		.amdhsa_float_denorm_mode_16_64 3
		.amdhsa_dx10_clamp 1
		.amdhsa_ieee_mode 1
		.amdhsa_fp16_overflow 0
		.amdhsa_tg_split 0
		.amdhsa_exception_fp_ieee_invalid_op 0
		.amdhsa_exception_fp_denorm_src 0
		.amdhsa_exception_fp_ieee_div_zero 0
		.amdhsa_exception_fp_ieee_overflow 0
		.amdhsa_exception_fp_ieee_underflow 0
		.amdhsa_exception_fp_ieee_inexact 0
		.amdhsa_exception_int_div_zero 0
	.end_amdhsa_kernel
	.section	.text._ZN7rocprim17ROCPRIM_400000_NS6detail17trampoline_kernelINS0_14default_configENS1_35adjacent_difference_config_selectorILb0EaEEZNS1_24adjacent_difference_implIS3_Lb0ELb0EPKaPaN6thrust23THRUST_200600_302600_NS4plusIaEEEE10hipError_tPvRmT2_T3_mT4_P12ihipStream_tbEUlT_E_NS1_11comp_targetILNS1_3genE5ELNS1_11target_archE942ELNS1_3gpuE9ELNS1_3repE0EEENS1_30default_config_static_selectorELNS0_4arch9wavefront6targetE1EEEvT1_,"axG",@progbits,_ZN7rocprim17ROCPRIM_400000_NS6detail17trampoline_kernelINS0_14default_configENS1_35adjacent_difference_config_selectorILb0EaEEZNS1_24adjacent_difference_implIS3_Lb0ELb0EPKaPaN6thrust23THRUST_200600_302600_NS4plusIaEEEE10hipError_tPvRmT2_T3_mT4_P12ihipStream_tbEUlT_E_NS1_11comp_targetILNS1_3genE5ELNS1_11target_archE942ELNS1_3gpuE9ELNS1_3repE0EEENS1_30default_config_static_selectorELNS0_4arch9wavefront6targetE1EEEvT1_,comdat
.Lfunc_end468:
	.size	_ZN7rocprim17ROCPRIM_400000_NS6detail17trampoline_kernelINS0_14default_configENS1_35adjacent_difference_config_selectorILb0EaEEZNS1_24adjacent_difference_implIS3_Lb0ELb0EPKaPaN6thrust23THRUST_200600_302600_NS4plusIaEEEE10hipError_tPvRmT2_T3_mT4_P12ihipStream_tbEUlT_E_NS1_11comp_targetILNS1_3genE5ELNS1_11target_archE942ELNS1_3gpuE9ELNS1_3repE0EEENS1_30default_config_static_selectorELNS0_4arch9wavefront6targetE1EEEvT1_, .Lfunc_end468-_ZN7rocprim17ROCPRIM_400000_NS6detail17trampoline_kernelINS0_14default_configENS1_35adjacent_difference_config_selectorILb0EaEEZNS1_24adjacent_difference_implIS3_Lb0ELb0EPKaPaN6thrust23THRUST_200600_302600_NS4plusIaEEEE10hipError_tPvRmT2_T3_mT4_P12ihipStream_tbEUlT_E_NS1_11comp_targetILNS1_3genE5ELNS1_11target_archE942ELNS1_3gpuE9ELNS1_3repE0EEENS1_30default_config_static_selectorELNS0_4arch9wavefront6targetE1EEEvT1_
                                        ; -- End function
	.section	.AMDGPU.csdata,"",@progbits
; Kernel info:
; codeLenInByte = 0
; NumSgprs: 4
; NumVgprs: 0
; NumAgprs: 0
; TotalNumVgprs: 0
; ScratchSize: 0
; MemoryBound: 0
; FloatMode: 240
; IeeeMode: 1
; LDSByteSize: 0 bytes/workgroup (compile time only)
; SGPRBlocks: 0
; VGPRBlocks: 0
; NumSGPRsForWavesPerEU: 4
; NumVGPRsForWavesPerEU: 1
; AccumOffset: 4
; Occupancy: 8
; WaveLimiterHint : 0
; COMPUTE_PGM_RSRC2:SCRATCH_EN: 0
; COMPUTE_PGM_RSRC2:USER_SGPR: 6
; COMPUTE_PGM_RSRC2:TRAP_HANDLER: 0
; COMPUTE_PGM_RSRC2:TGID_X_EN: 1
; COMPUTE_PGM_RSRC2:TGID_Y_EN: 0
; COMPUTE_PGM_RSRC2:TGID_Z_EN: 0
; COMPUTE_PGM_RSRC2:TIDIG_COMP_CNT: 0
; COMPUTE_PGM_RSRC3_GFX90A:ACCUM_OFFSET: 0
; COMPUTE_PGM_RSRC3_GFX90A:TG_SPLIT: 0
	.section	.text._ZN7rocprim17ROCPRIM_400000_NS6detail17trampoline_kernelINS0_14default_configENS1_35adjacent_difference_config_selectorILb0EaEEZNS1_24adjacent_difference_implIS3_Lb0ELb0EPKaPaN6thrust23THRUST_200600_302600_NS4plusIaEEEE10hipError_tPvRmT2_T3_mT4_P12ihipStream_tbEUlT_E_NS1_11comp_targetILNS1_3genE4ELNS1_11target_archE910ELNS1_3gpuE8ELNS1_3repE0EEENS1_30default_config_static_selectorELNS0_4arch9wavefront6targetE1EEEvT1_,"axG",@progbits,_ZN7rocprim17ROCPRIM_400000_NS6detail17trampoline_kernelINS0_14default_configENS1_35adjacent_difference_config_selectorILb0EaEEZNS1_24adjacent_difference_implIS3_Lb0ELb0EPKaPaN6thrust23THRUST_200600_302600_NS4plusIaEEEE10hipError_tPvRmT2_T3_mT4_P12ihipStream_tbEUlT_E_NS1_11comp_targetILNS1_3genE4ELNS1_11target_archE910ELNS1_3gpuE8ELNS1_3repE0EEENS1_30default_config_static_selectorELNS0_4arch9wavefront6targetE1EEEvT1_,comdat
	.protected	_ZN7rocprim17ROCPRIM_400000_NS6detail17trampoline_kernelINS0_14default_configENS1_35adjacent_difference_config_selectorILb0EaEEZNS1_24adjacent_difference_implIS3_Lb0ELb0EPKaPaN6thrust23THRUST_200600_302600_NS4plusIaEEEE10hipError_tPvRmT2_T3_mT4_P12ihipStream_tbEUlT_E_NS1_11comp_targetILNS1_3genE4ELNS1_11target_archE910ELNS1_3gpuE8ELNS1_3repE0EEENS1_30default_config_static_selectorELNS0_4arch9wavefront6targetE1EEEvT1_ ; -- Begin function _ZN7rocprim17ROCPRIM_400000_NS6detail17trampoline_kernelINS0_14default_configENS1_35adjacent_difference_config_selectorILb0EaEEZNS1_24adjacent_difference_implIS3_Lb0ELb0EPKaPaN6thrust23THRUST_200600_302600_NS4plusIaEEEE10hipError_tPvRmT2_T3_mT4_P12ihipStream_tbEUlT_E_NS1_11comp_targetILNS1_3genE4ELNS1_11target_archE910ELNS1_3gpuE8ELNS1_3repE0EEENS1_30default_config_static_selectorELNS0_4arch9wavefront6targetE1EEEvT1_
	.globl	_ZN7rocprim17ROCPRIM_400000_NS6detail17trampoline_kernelINS0_14default_configENS1_35adjacent_difference_config_selectorILb0EaEEZNS1_24adjacent_difference_implIS3_Lb0ELb0EPKaPaN6thrust23THRUST_200600_302600_NS4plusIaEEEE10hipError_tPvRmT2_T3_mT4_P12ihipStream_tbEUlT_E_NS1_11comp_targetILNS1_3genE4ELNS1_11target_archE910ELNS1_3gpuE8ELNS1_3repE0EEENS1_30default_config_static_selectorELNS0_4arch9wavefront6targetE1EEEvT1_
	.p2align	8
	.type	_ZN7rocprim17ROCPRIM_400000_NS6detail17trampoline_kernelINS0_14default_configENS1_35adjacent_difference_config_selectorILb0EaEEZNS1_24adjacent_difference_implIS3_Lb0ELb0EPKaPaN6thrust23THRUST_200600_302600_NS4plusIaEEEE10hipError_tPvRmT2_T3_mT4_P12ihipStream_tbEUlT_E_NS1_11comp_targetILNS1_3genE4ELNS1_11target_archE910ELNS1_3gpuE8ELNS1_3repE0EEENS1_30default_config_static_selectorELNS0_4arch9wavefront6targetE1EEEvT1_,@function
_ZN7rocprim17ROCPRIM_400000_NS6detail17trampoline_kernelINS0_14default_configENS1_35adjacent_difference_config_selectorILb0EaEEZNS1_24adjacent_difference_implIS3_Lb0ELb0EPKaPaN6thrust23THRUST_200600_302600_NS4plusIaEEEE10hipError_tPvRmT2_T3_mT4_P12ihipStream_tbEUlT_E_NS1_11comp_targetILNS1_3genE4ELNS1_11target_archE910ELNS1_3gpuE8ELNS1_3repE0EEENS1_30default_config_static_selectorELNS0_4arch9wavefront6targetE1EEEvT1_: ; @_ZN7rocprim17ROCPRIM_400000_NS6detail17trampoline_kernelINS0_14default_configENS1_35adjacent_difference_config_selectorILb0EaEEZNS1_24adjacent_difference_implIS3_Lb0ELb0EPKaPaN6thrust23THRUST_200600_302600_NS4plusIaEEEE10hipError_tPvRmT2_T3_mT4_P12ihipStream_tbEUlT_E_NS1_11comp_targetILNS1_3genE4ELNS1_11target_archE910ELNS1_3gpuE8ELNS1_3repE0EEENS1_30default_config_static_selectorELNS0_4arch9wavefront6targetE1EEEvT1_
; %bb.0:
	s_load_dwordx8 s[40:47], s[4:5], 0x0
	s_mov_b32 s2, 0xb9435940
	s_load_dwordx2 s[0:1], s[4:5], 0x30
	s_movk_i32 s7, 0x4c0
	s_mul_i32 s33, s6, 0x4c0
	s_waitcnt lgkmcnt(0)
	s_add_u32 s8, s40, s42
	s_addc_u32 s9, s41, s43
	s_add_u32 s2, 0x294, s2
	s_addc_u32 s4, 0, 0
	v_add_co_u32_e64 v1, s[2:3], s2, -2.0
	s_cmp_lg_u64 s[2:3], 0
	s_addc_u32 s2, s4, 0x35e50c
	v_readfirstlane_b32 s4, v1
	s_mul_hi_u32 s5, s4, 0xfffffb40
	s_mul_i32 s3, s2, 0xfffffb40
	s_sub_i32 s5, s5, s4
	s_add_i32 s5, s5, s3
	s_mul_i32 s11, s4, 0xfffffb40
	s_mul_hi_u32 s3, s4, s5
	s_mul_i32 s10, s4, s5
	s_mul_hi_u32 s4, s4, s11
	s_add_u32 s4, s4, s10
	s_addc_u32 s3, 0, s3
	s_mul_hi_u32 s12, s2, s11
	s_mul_i32 s11, s2, s11
	s_add_u32 s4, s4, s11
	s_mul_hi_u32 s10, s2, s5
	s_addc_u32 s3, s3, s12
	s_addc_u32 s4, s10, 0
	s_mul_i32 s5, s2, s5
	s_add_u32 s3, s3, s5
	s_addc_u32 s4, 0, s4
	v_add_co_u32_e32 v1, vcc, s3, v1
	s_cmp_lg_u64 vcc, 0
	s_addc_u32 s2, s2, s4
	v_readfirstlane_b32 s5, v1
	s_mul_i32 s4, s46, s2
	s_mul_hi_u32 s10, s46, s5
	s_mul_hi_u32 s3, s46, s2
	s_add_u32 s4, s10, s4
	s_addc_u32 s3, 0, s3
	s_mul_hi_u32 s11, s47, s5
	s_mul_i32 s5, s47, s5
	s_add_u32 s4, s4, s5
	s_mul_hi_u32 s10, s47, s2
	s_addc_u32 s3, s3, s11
	s_addc_u32 s4, s10, 0
	s_mul_i32 s2, s47, s2
	s_add_u32 s2, s3, s2
	s_addc_u32 s3, 0, s4
	s_add_u32 s4, s2, 1
	s_addc_u32 s5, s3, 0
	s_add_u32 s10, s2, 2
	s_mul_i32 s12, s3, 0x4c0
	s_mul_hi_u32 s13, s2, 0x4c0
	s_addc_u32 s11, s3, 0
	s_add_i32 s13, s13, s12
	s_mul_i32 s12, s2, 0x4c0
	v_mov_b32_e32 v1, s12
	v_sub_co_u32_e32 v1, vcc, s46, v1
	s_cmp_lg_u64 vcc, 0
	s_subb_u32 s12, s47, s13
	v_subrev_co_u32_e32 v2, vcc, s7, v1
	s_cmp_lg_u64 vcc, 0
	s_subb_u32 s7, s12, 0
	v_readfirstlane_b32 s13, v2
	s_cmpk_gt_u32 s13, 0x4bf
	s_cselect_b32 s13, -1, 0
	s_cmp_eq_u32 s7, 0
	s_cselect_b32 s7, s13, -1
	s_cmp_lg_u32 s7, 0
	v_readfirstlane_b32 s7, v1
	s_cselect_b32 s4, s10, s4
	s_cselect_b32 s5, s11, s5
	s_cmpk_gt_u32 s7, 0x4bf
	s_cselect_b32 s7, -1, 0
	s_cmp_eq_u32 s12, 0
	s_cselect_b32 s7, s7, -1
	s_cmp_lg_u32 s7, 0
	s_cselect_b32 s5, s5, s3
	s_cselect_b32 s4, s4, s2
	s_mul_i32 s2, s5, 0x4c0
	s_mul_hi_u32 s3, s4, 0x4c0
	s_add_i32 s3, s3, s2
	s_mul_i32 s2, s4, 0x4c0
	s_sub_u32 s2, s46, s2
	s_subb_u32 s3, s47, s3
	s_cmp_lg_u64 s[2:3], 0
	s_cselect_b64 s[2:3], -1, 0
	v_cndmask_b32_e64 v1, 0, 1, s[2:3]
	v_readfirstlane_b32 s2, v1
	s_add_u32 s2, s4, s2
	s_addc_u32 s3, s5, 0
	s_add_u32 s4, s0, s6
	s_addc_u32 s5, s1, 0
	s_add_u32 s6, s2, -1
	s_addc_u32 s7, s3, -1
	v_pk_mov_b32 v[2:3], s[6:7], s[6:7] op_sel:[0,1]
	v_cmp_ge_u64_e64 s[0:1], s[4:5], v[2:3]
	s_mov_b64 s[10:11], -1
	s_and_b64 vcc, exec, s[0:1]
	s_mul_i32 s47, s6, 0xfffffb40
	s_cbranch_vccz .LBB469_40
; %bb.1:
	s_add_i32 s14, s47, s46
	s_add_u32 s10, s8, s33
	s_addc_u32 s11, s9, 0
	v_cmp_gt_u32_e32 vcc, s14, v0
                                        ; implicit-def: $vgpr1
	s_and_saveexec_b64 s[12:13], vcc
	s_cbranch_execz .LBB469_3
; %bb.2:
	global_load_ubyte v1, v0, s[10:11]
.LBB469_3:
	s_or_b64 exec, exec, s[12:13]
	v_or_b32_e32 v2, 64, v0
	v_cmp_gt_u32_e32 vcc, s14, v2
                                        ; implicit-def: $vgpr2
	s_and_saveexec_b64 s[12:13], vcc
	s_cbranch_execz .LBB469_5
; %bb.4:
	global_load_ubyte v2, v0, s[10:11] offset:64
.LBB469_5:
	s_or_b64 exec, exec, s[12:13]
	v_or_b32_e32 v3, 0x80, v0
	v_cmp_gt_u32_e32 vcc, s14, v3
                                        ; implicit-def: $vgpr3
	s_and_saveexec_b64 s[12:13], vcc
	s_cbranch_execz .LBB469_7
; %bb.6:
	global_load_ubyte v3, v0, s[10:11] offset:128
.LBB469_7:
	s_or_b64 exec, exec, s[12:13]
	v_or_b32_e32 v4, 0xc0, v0
	v_cmp_gt_u32_e32 vcc, s14, v4
                                        ; implicit-def: $vgpr4
	s_and_saveexec_b64 s[12:13], vcc
	s_cbranch_execz .LBB469_9
; %bb.8:
	global_load_ubyte v4, v0, s[10:11] offset:192
.LBB469_9:
	s_or_b64 exec, exec, s[12:13]
	v_or_b32_e32 v5, 0x100, v0
	v_cmp_gt_u32_e32 vcc, s14, v5
                                        ; implicit-def: $vgpr5
	s_and_saveexec_b64 s[12:13], vcc
	s_cbranch_execz .LBB469_11
; %bb.10:
	global_load_ubyte v5, v0, s[10:11] offset:256
.LBB469_11:
	s_or_b64 exec, exec, s[12:13]
	v_or_b32_e32 v6, 0x140, v0
	v_cmp_gt_u32_e32 vcc, s14, v6
                                        ; implicit-def: $vgpr6
	s_and_saveexec_b64 s[12:13], vcc
	s_cbranch_execz .LBB469_13
; %bb.12:
	global_load_ubyte v6, v0, s[10:11] offset:320
.LBB469_13:
	s_or_b64 exec, exec, s[12:13]
	v_or_b32_e32 v7, 0x180, v0
	v_cmp_gt_u32_e32 vcc, s14, v7
                                        ; implicit-def: $vgpr7
	s_and_saveexec_b64 s[12:13], vcc
	s_cbranch_execz .LBB469_15
; %bb.14:
	global_load_ubyte v7, v0, s[10:11] offset:384
.LBB469_15:
	s_or_b64 exec, exec, s[12:13]
	v_or_b32_e32 v8, 0x1c0, v0
	v_cmp_gt_u32_e32 vcc, s14, v8
                                        ; implicit-def: $vgpr8
	s_and_saveexec_b64 s[12:13], vcc
	s_cbranch_execz .LBB469_17
; %bb.16:
	global_load_ubyte v8, v0, s[10:11] offset:448
.LBB469_17:
	s_or_b64 exec, exec, s[12:13]
	v_or_b32_e32 v9, 0x200, v0
	v_cmp_gt_u32_e32 vcc, s14, v9
                                        ; implicit-def: $vgpr9
	s_and_saveexec_b64 s[12:13], vcc
	s_cbranch_execz .LBB469_19
; %bb.18:
	global_load_ubyte v9, v0, s[10:11] offset:512
.LBB469_19:
	s_or_b64 exec, exec, s[12:13]
	v_or_b32_e32 v10, 0x240, v0
	v_cmp_gt_u32_e32 vcc, s14, v10
                                        ; implicit-def: $vgpr10
	s_and_saveexec_b64 s[12:13], vcc
	s_cbranch_execz .LBB469_21
; %bb.20:
	global_load_ubyte v10, v0, s[10:11] offset:576
.LBB469_21:
	s_or_b64 exec, exec, s[12:13]
	v_or_b32_e32 v11, 0x280, v0
	v_cmp_gt_u32_e32 vcc, s14, v11
                                        ; implicit-def: $vgpr11
	s_and_saveexec_b64 s[12:13], vcc
	s_cbranch_execz .LBB469_23
; %bb.22:
	global_load_ubyte v11, v0, s[10:11] offset:640
.LBB469_23:
	s_or_b64 exec, exec, s[12:13]
	v_or_b32_e32 v12, 0x2c0, v0
	v_cmp_gt_u32_e32 vcc, s14, v12
                                        ; implicit-def: $vgpr12
	s_and_saveexec_b64 s[12:13], vcc
	s_cbranch_execz .LBB469_25
; %bb.24:
	global_load_ubyte v12, v0, s[10:11] offset:704
.LBB469_25:
	s_or_b64 exec, exec, s[12:13]
	v_or_b32_e32 v13, 0x300, v0
	v_cmp_gt_u32_e32 vcc, s14, v13
                                        ; implicit-def: $vgpr13
	s_and_saveexec_b64 s[12:13], vcc
	s_cbranch_execz .LBB469_27
; %bb.26:
	global_load_ubyte v13, v0, s[10:11] offset:768
.LBB469_27:
	s_or_b64 exec, exec, s[12:13]
	v_or_b32_e32 v14, 0x340, v0
	v_cmp_gt_u32_e32 vcc, s14, v14
                                        ; implicit-def: $vgpr14
	s_and_saveexec_b64 s[12:13], vcc
	s_cbranch_execz .LBB469_29
; %bb.28:
	global_load_ubyte v14, v0, s[10:11] offset:832
.LBB469_29:
	s_or_b64 exec, exec, s[12:13]
	v_or_b32_e32 v15, 0x380, v0
	v_cmp_gt_u32_e32 vcc, s14, v15
                                        ; implicit-def: $vgpr15
	s_and_saveexec_b64 s[12:13], vcc
	s_cbranch_execz .LBB469_31
; %bb.30:
	global_load_ubyte v15, v0, s[10:11] offset:896
.LBB469_31:
	s_or_b64 exec, exec, s[12:13]
	v_or_b32_e32 v16, 0x3c0, v0
	v_cmp_gt_u32_e32 vcc, s14, v16
                                        ; implicit-def: $vgpr16
	s_and_saveexec_b64 s[12:13], vcc
	s_cbranch_execz .LBB469_33
; %bb.32:
	global_load_ubyte v16, v0, s[10:11] offset:960
.LBB469_33:
	s_or_b64 exec, exec, s[12:13]
	v_or_b32_e32 v17, 0x400, v0
	v_cmp_gt_u32_e32 vcc, s14, v17
                                        ; implicit-def: $vgpr17
	s_and_saveexec_b64 s[12:13], vcc
	s_cbranch_execz .LBB469_35
; %bb.34:
	global_load_ubyte v17, v0, s[10:11] offset:1024
.LBB469_35:
	s_or_b64 exec, exec, s[12:13]
	v_or_b32_e32 v18, 0x440, v0
	v_cmp_gt_u32_e32 vcc, s14, v18
                                        ; implicit-def: $vgpr18
	s_and_saveexec_b64 s[12:13], vcc
	s_cbranch_execz .LBB469_37
; %bb.36:
	global_load_ubyte v18, v0, s[10:11] offset:1088
.LBB469_37:
	s_or_b64 exec, exec, s[12:13]
	v_or_b32_e32 v19, 0x480, v0
	v_cmp_gt_u32_e32 vcc, s14, v19
                                        ; implicit-def: $vgpr19
	s_and_saveexec_b64 s[12:13], vcc
	s_cbranch_execz .LBB469_39
; %bb.38:
	global_load_ubyte v19, v0, s[10:11] offset:1152
.LBB469_39:
	s_or_b64 exec, exec, s[12:13]
	s_mov_b64 s[10:11], 0
	s_waitcnt vmcnt(0)
	ds_write_b8 v0, v1
	ds_write_b8 v0, v2 offset:64
	ds_write_b8 v0, v3 offset:128
	;; [unrolled: 1-line block ×18, first 2 shown]
	s_waitcnt lgkmcnt(0)
	; wave barrier
.LBB469_40:
	s_and_b64 vcc, exec, s[10:11]
	s_cbranch_vccz .LBB469_42
; %bb.41:
	s_add_u32 s10, s8, s33
	s_addc_u32 s11, s9, 0
	global_load_ubyte v1, v0, s[10:11]
	global_load_ubyte v2, v0, s[10:11] offset:64
	global_load_ubyte v3, v0, s[10:11] offset:128
	;; [unrolled: 1-line block ×18, first 2 shown]
	s_waitcnt vmcnt(18)
	ds_write_b8 v0, v1
	s_waitcnt vmcnt(17)
	ds_write_b8 v0, v2 offset:64
	s_waitcnt vmcnt(16)
	ds_write_b8 v0, v3 offset:128
	;; [unrolled: 2-line block ×18, first 2 shown]
	s_waitcnt lgkmcnt(0)
	; wave barrier
.LBB469_42:
	v_mul_u32_u24_e32 v1, 19, v0
	s_waitcnt lgkmcnt(0)
	ds_read_b128 v[2:5], v1
	ds_read_u8 v6, v1 offset:16
	ds_read_u8 v7, v1 offset:17
	;; [unrolled: 1-line block ×3, first 2 shown]
	s_cmp_eq_u64 s[4:5], 0
	s_waitcnt lgkmcnt(3)
	v_lshrrev_b32_e32 v9, 8, v2
	v_lshrrev_b32_e32 v10, 16, v2
	;; [unrolled: 1-line block ×12, first 2 shown]
	s_waitcnt lgkmcnt(0)
	; wave barrier
	s_waitcnt lgkmcnt(0)
	s_cbranch_scc1 .LBB469_47
; %bb.43:
	v_mov_b32_e32 v1, s33
	global_load_ubyte v38, v1, s[8:9] offset:-1
	s_cmp_eq_u64 s[4:5], s[6:7]
	s_cbranch_scc1 .LBB469_48
; %bb.44:
	v_cmp_ne_u32_e32 vcc, 0, v0
	s_waitcnt vmcnt(0)
	v_mov_b32_e32 v1, v38
	ds_write_b8 v0, v8
	s_waitcnt lgkmcnt(0)
	; wave barrier
	s_waitcnt lgkmcnt(0)
	s_and_saveexec_b64 s[6:7], vcc
	s_cbranch_execz .LBB469_46
; %bb.45:
	v_add_u32_e32 v1, -1, v0
	ds_read_u8 v1, v1
.LBB469_46:
	s_or_b64 exec, exec, s[6:7]
	s_waitcnt lgkmcnt(0)
	v_add_u16_e32 v1, v1, v2
	s_mov_b64 s[6:7], 0
	s_branch .LBB469_49
.LBB469_47:
                                        ; implicit-def: $vgpr1
                                        ; implicit-def: $vgpr39
                                        ; implicit-def: $vgpr37
                                        ; implicit-def: $vgpr36
                                        ; implicit-def: $vgpr35
                                        ; implicit-def: $vgpr34
                                        ; implicit-def: $vgpr33
                                        ; implicit-def: $vgpr32
                                        ; implicit-def: $vgpr31
                                        ; implicit-def: $vgpr30
                                        ; implicit-def: $vgpr28
                                        ; implicit-def: $vgpr27
                                        ; implicit-def: $vgpr26
                                        ; implicit-def: $vgpr25
                                        ; implicit-def: $vgpr24
                                        ; implicit-def: $vgpr23
                                        ; implicit-def: $vgpr22
                                        ; implicit-def: $vgpr21
                                        ; implicit-def: $vgpr29
	s_branch .LBB469_54
.LBB469_48:
	s_mov_b64 s[6:7], -1
                                        ; implicit-def: $vgpr1
.LBB469_49:
	s_and_b64 vcc, exec, s[6:7]
	v_mov_b32_e32 v39, v2
	v_mov_b32_e32 v37, v9
	;; [unrolled: 1-line block ×18, first 2 shown]
	s_cbranch_vccz .LBB469_53
; %bb.50:
	v_mul_u32_u24_e32 v1, 19, v0
	v_cmp_ne_u32_e32 vcc, 0, v0
	ds_write_b8 v0, v8
	s_waitcnt lgkmcnt(0)
	; wave barrier
	s_waitcnt lgkmcnt(0)
	s_and_saveexec_b64 s[6:7], vcc
	s_cbranch_execz .LBB469_52
; %bb.51:
	v_add_u32_e32 v21, -1, v0
	s_waitcnt vmcnt(0)
	ds_read_u8 v38, v21
.LBB469_52:
	s_or_b64 exec, exec, s[6:7]
	s_mulk_i32 s4, 0xfb40
	s_add_i32 s4, s4, s46
	v_add_u32_e32 v21, 18, v1
	v_cmp_gt_u32_e32 vcc, s4, v21
	v_add_u32_e32 v21, 17, v1
	v_cndmask_b32_e32 v29, 0, v7, vcc
	v_cmp_gt_u32_e32 vcc, s4, v21
	v_add_u32_e32 v22, 16, v1
	v_cndmask_b32_e32 v21, 0, v6, vcc
	;; [unrolled: 3-line block ×17, first 2 shown]
	v_cmp_gt_u32_e32 vcc, s4, v39
	v_cndmask_b32_e32 v39, 0, v2, vcc
	v_cmp_gt_u32_e32 vcc, s4, v1
	s_waitcnt vmcnt(0) lgkmcnt(0)
	v_cndmask_b32_e32 v1, 0, v38, vcc
	v_add_u16_e32 v1, v1, v2
.LBB469_53:
	s_cbranch_execnz .LBB469_64
.LBB469_54:
	s_cmp_eq_u64 s[2:3], 1
	v_cmp_ne_u32_e32 vcc, 0, v0
	s_cbranch_scc1 .LBB469_58
; %bb.55:
	v_mov_b32_e32 v1, v2
	ds_write_b8 v0, v8
	s_waitcnt lgkmcnt(0)
	; wave barrier
	s_waitcnt lgkmcnt(0)
	s_and_saveexec_b64 s[2:3], vcc
	s_cbranch_execz .LBB469_57
; %bb.56:
	v_add_u32_e32 v1, -1, v0
	ds_read_u8 v1, v1
	s_waitcnt lgkmcnt(0)
	v_add_u16_e32 v1, v1, v2
.LBB469_57:
	s_or_b64 exec, exec, s[2:3]
	s_mov_b64 s[2:3], 0
	s_branch .LBB469_59
.LBB469_58:
	s_mov_b64 s[2:3], -1
                                        ; implicit-def: $vgpr1
.LBB469_59:
	s_andn2_b64 vcc, exec, s[2:3]
	v_mov_b32_e32 v37, v9
	v_mov_b32_e32 v36, v10
	;; [unrolled: 1-line block ×17, first 2 shown]
	s_cbranch_vccnz .LBB469_63
; %bb.60:
	v_mad_u32_u24 v21, v0, 19, 18
	v_cmp_gt_u32_e32 vcc, s46, v21
	v_mad_u32_u24 v21, v0, 19, 17
	v_cmp_gt_u32_e64 s[2:3], s46, v21
	v_mad_u32_u24 v21, v0, 19, 16
	v_cmp_gt_u32_e64 s[4:5], s46, v21
	;; [unrolled: 2-line block ×14, first 2 shown]
	v_mad_u32_u24 v21, v0, 19, 3
	v_mul_u32_u24_e32 v1, 19, v0
	v_cmp_gt_u32_e64 s[30:31], s46, v21
	v_mad_u32_u24 v21, v0, 19, 2
	v_cmp_gt_u32_e64 s[34:35], s46, v21
	v_mad_u32_u24 v21, v0, 19, 1
	v_cmp_ne_u32_e64 s[38:39], 0, v0
	v_cmp_gt_u32_e64 s[40:41], s46, v1
	v_cmp_gt_u32_e64 s[36:37], s46, v21
	s_and_b64 s[40:41], s[38:39], s[40:41]
	v_mov_b32_e32 v1, v2
	ds_write_b8 v0, v8
	s_waitcnt lgkmcnt(0)
	; wave barrier
	s_waitcnt lgkmcnt(0)
	s_and_saveexec_b64 s[38:39], s[40:41]
	s_cbranch_execz .LBB469_62
; %bb.61:
	v_add_u32_e32 v1, -1, v0
	ds_read_u8 v1, v1
	s_waitcnt lgkmcnt(0)
	v_add_u16_e32 v1, v1, v2
.LBB469_62:
	s_or_b64 exec, exec, s[38:39]
	v_cndmask_b32_e32 v29, 0, v7, vcc
	v_cndmask_b32_e64 v21, 0, v6, s[2:3]
	v_cndmask_b32_e64 v22, 0, v20, s[4:5]
	;; [unrolled: 1-line block ×17, first 2 shown]
.LBB469_63:
	v_mov_b32_e32 v39, v2
.LBB469_64:
	s_add_u32 s4, s44, s42
	v_add_u16_e32 v8, v29, v8
	v_add_u16_e32 v2, v39, v9
	;; [unrolled: 1-line block ×13, first 2 shown]
	s_addc_u32 s5, s45, s43
	v_add_u16_e32 v12, v31, v4
	v_add_u16_e32 v14, v26, v5
	v_add_u16_e32 v15, v24, v19
	v_add_u16_e32 v4, v22, v6
	v_add_u16_e32 v5, v21, v7
	s_and_b64 vcc, exec, s[0:1]
	v_mul_u32_u24_e32 v6, 19, v0
	v_lshlrev_b16_e32 v21, 8, v17
	v_lshlrev_b16_e32 v22, 8, v18
	;; [unrolled: 1-line block ×8, first 2 shown]
	s_waitcnt lgkmcnt(0)
	; wave barrier
	s_cbranch_vccz .LBB469_102
; %bb.65:
	v_or_b32_sdwa v2, v14, v21 dst_sel:DWORD dst_unused:UNUSED_PAD src0_sel:BYTE_0 src1_sel:DWORD
	v_or_b32_sdwa v3, v15, v22 dst_sel:WORD_1 dst_unused:UNUSED_PAD src0_sel:BYTE_0 src1_sel:DWORD
	v_or_b32_sdwa v27, v2, v3 dst_sel:DWORD dst_unused:UNUSED_PAD src0_sel:WORD_0 src1_sel:DWORD
	v_or_b32_sdwa v2, v12, v19 dst_sel:DWORD dst_unused:UNUSED_PAD src0_sel:BYTE_0 src1_sel:DWORD
	v_or_b32_sdwa v3, v13, v20 dst_sel:WORD_1 dst_unused:UNUSED_PAD src0_sel:BYTE_0 src1_sel:DWORD
	v_or_b32_sdwa v26, v2, v3 dst_sel:DWORD dst_unused:UNUSED_PAD src0_sel:WORD_0 src1_sel:DWORD
	;; [unrolled: 3-line block ×4, first 2 shown]
	ds_write_b128 v6, v[24:27]
	ds_write_b8 v6, v4 offset:16
	ds_write_b8 v6, v5 offset:17
	;; [unrolled: 1-line block ×3, first 2 shown]
	s_waitcnt lgkmcnt(0)
	; wave barrier
	s_waitcnt lgkmcnt(0)
	ds_read_u8 v40, v0 offset:64
	ds_read_u8 v39, v0 offset:128
	s_waitcnt vmcnt(0)
	ds_read_u8 v38, v0 offset:192
	ds_read_u8 v37, v0 offset:256
	;; [unrolled: 1-line block ×16, first 2 shown]
	s_add_i32 s47, s47, s46
	s_add_u32 s0, s4, s33
	s_addc_u32 s1, s5, 0
	v_mov_b32_e32 v3, s1
	v_add_co_u32_e32 v2, vcc, s0, v0
	v_addc_co_u32_e32 v3, vcc, 0, v3, vcc
	v_cmp_gt_u32_e32 vcc, s47, v0
	s_and_saveexec_b64 s[0:1], vcc
	s_cbranch_execz .LBB469_67
; %bb.66:
	ds_read_u8 v41, v0
	s_waitcnt lgkmcnt(0)
	global_store_byte v[2:3], v41, off
.LBB469_67:
	s_or_b64 exec, exec, s[0:1]
	v_or_b32_e32 v41, 64, v0
	v_cmp_gt_u32_e32 vcc, s47, v41
	s_and_saveexec_b64 s[0:1], vcc
	s_cbranch_execz .LBB469_69
; %bb.68:
	s_waitcnt lgkmcnt(14)
	global_store_byte v[2:3], v40, off offset:64
.LBB469_69:
	s_or_b64 exec, exec, s[0:1]
	s_waitcnt lgkmcnt(14)
	v_or_b32_e32 v40, 0x80, v0
	v_cmp_gt_u32_e32 vcc, s47, v40
	s_and_saveexec_b64 s[0:1], vcc
	s_cbranch_execz .LBB469_71
; %bb.70:
	global_store_byte v[2:3], v39, off offset:128
.LBB469_71:
	s_or_b64 exec, exec, s[0:1]
	v_or_b32_e32 v39, 0xc0, v0
	v_cmp_gt_u32_e32 vcc, s47, v39
	s_and_saveexec_b64 s[0:1], vcc
	s_cbranch_execz .LBB469_73
; %bb.72:
	global_store_byte v[2:3], v38, off offset:192
.LBB469_73:
	s_or_b64 exec, exec, s[0:1]
	;; [unrolled: 8-line block ×3, first 2 shown]
	v_or_b32_e32 v37, 0x140, v0
	v_cmp_gt_u32_e32 vcc, s47, v37
	s_and_saveexec_b64 s[0:1], vcc
	s_cbranch_execz .LBB469_77
; %bb.76:
	s_waitcnt lgkmcnt(13)
	global_store_byte v[2:3], v36, off offset:320
.LBB469_77:
	s_or_b64 exec, exec, s[0:1]
	s_waitcnt lgkmcnt(13)
	v_or_b32_e32 v36, 0x180, v0
	v_cmp_gt_u32_e32 vcc, s47, v36
	s_and_saveexec_b64 s[0:1], vcc
	s_cbranch_execz .LBB469_79
; %bb.78:
	s_waitcnt lgkmcnt(12)
	global_store_byte v[2:3], v35, off offset:384
.LBB469_79:
	s_or_b64 exec, exec, s[0:1]
	s_waitcnt lgkmcnt(12)
	;; [unrolled: 10-line block ×13, first 2 shown]
	v_or_b32_e32 v24, 0x480, v0
	v_cmp_gt_u32_e64 s[0:1], s47, v24
	s_branch .LBB469_104
.LBB469_102:
	s_mov_b64 s[0:1], 0
                                        ; implicit-def: $vgpr23
                                        ; implicit-def: $vgpr2_vgpr3
	s_cbranch_execz .LBB469_104
; %bb.103:
	v_or_b32_sdwa v2, v14, v21 dst_sel:DWORD dst_unused:UNUSED_PAD src0_sel:BYTE_0 src1_sel:DWORD
	v_or_b32_sdwa v3, v15, v22 dst_sel:WORD_1 dst_unused:UNUSED_PAD src0_sel:BYTE_0 src1_sel:DWORD
	v_or_b32_sdwa v15, v2, v3 dst_sel:DWORD dst_unused:UNUSED_PAD src0_sel:WORD_0 src1_sel:DWORD
	v_or_b32_sdwa v2, v12, v19 dst_sel:DWORD dst_unused:UNUSED_PAD src0_sel:BYTE_0 src1_sel:DWORD
	v_or_b32_sdwa v3, v13, v20 dst_sel:WORD_1 dst_unused:UNUSED_PAD src0_sel:BYTE_0 src1_sel:DWORD
	v_or_b32_sdwa v14, v2, v3 dst_sel:DWORD dst_unused:UNUSED_PAD src0_sel:WORD_0 src1_sel:DWORD
	;; [unrolled: 3-line block ×4, first 2 shown]
	s_add_u32 s2, s4, s33
	ds_write_b128 v6, v[12:15]
	ds_write_b8 v6, v4 offset:16
	ds_write_b8 v6, v5 offset:17
	;; [unrolled: 1-line block ×3, first 2 shown]
	s_waitcnt lgkmcnt(0)
	; wave barrier
	s_waitcnt lgkmcnt(0)
	ds_read_u8 v1, v0
	ds_read_u8 v4, v0 offset:64
	ds_read_u8 v5, v0 offset:128
	;; [unrolled: 1-line block ×18, first 2 shown]
	s_addc_u32 s3, s5, 0
	v_mov_b32_e32 v3, s3
	v_add_co_u32_e32 v2, vcc, s2, v0
	v_addc_co_u32_e32 v3, vcc, 0, v3, vcc
	s_or_b64 s[0:1], s[0:1], exec
	s_waitcnt lgkmcnt(14)
	global_store_byte v0, v1, s[2:3]
	global_store_byte v0, v4, s[2:3] offset:64
	global_store_byte v0, v5, s[2:3] offset:128
	;; [unrolled: 1-line block ×4, first 2 shown]
	s_waitcnt lgkmcnt(13)
	global_store_byte v0, v8, s[2:3] offset:320
	s_waitcnt lgkmcnt(12)
	global_store_byte v0, v9, s[2:3] offset:384
	;; [unrolled: 2-line block ×13, first 2 shown]
.LBB469_104:
	s_and_saveexec_b64 s[2:3], s[0:1]
	s_cbranch_execnz .LBB469_106
; %bb.105:
	s_endpgm
.LBB469_106:
	s_waitcnt lgkmcnt(0)
	global_store_byte v[2:3], v23, off offset:1152
	s_endpgm
	.section	.rodata,"a",@progbits
	.p2align	6, 0x0
	.amdhsa_kernel _ZN7rocprim17ROCPRIM_400000_NS6detail17trampoline_kernelINS0_14default_configENS1_35adjacent_difference_config_selectorILb0EaEEZNS1_24adjacent_difference_implIS3_Lb0ELb0EPKaPaN6thrust23THRUST_200600_302600_NS4plusIaEEEE10hipError_tPvRmT2_T3_mT4_P12ihipStream_tbEUlT_E_NS1_11comp_targetILNS1_3genE4ELNS1_11target_archE910ELNS1_3gpuE8ELNS1_3repE0EEENS1_30default_config_static_selectorELNS0_4arch9wavefront6targetE1EEEvT1_
		.amdhsa_group_segment_fixed_size 1216
		.amdhsa_private_segment_fixed_size 0
		.amdhsa_kernarg_size 56
		.amdhsa_user_sgpr_count 6
		.amdhsa_user_sgpr_private_segment_buffer 1
		.amdhsa_user_sgpr_dispatch_ptr 0
		.amdhsa_user_sgpr_queue_ptr 0
		.amdhsa_user_sgpr_kernarg_segment_ptr 1
		.amdhsa_user_sgpr_dispatch_id 0
		.amdhsa_user_sgpr_flat_scratch_init 0
		.amdhsa_user_sgpr_kernarg_preload_length 0
		.amdhsa_user_sgpr_kernarg_preload_offset 0
		.amdhsa_user_sgpr_private_segment_size 0
		.amdhsa_uses_dynamic_stack 0
		.amdhsa_system_sgpr_private_segment_wavefront_offset 0
		.amdhsa_system_sgpr_workgroup_id_x 1
		.amdhsa_system_sgpr_workgroup_id_y 0
		.amdhsa_system_sgpr_workgroup_id_z 0
		.amdhsa_system_sgpr_workgroup_info 0
		.amdhsa_system_vgpr_workitem_id 0
		.amdhsa_next_free_vgpr 42
		.amdhsa_next_free_sgpr 48
		.amdhsa_accum_offset 44
		.amdhsa_reserve_vcc 1
		.amdhsa_reserve_flat_scratch 0
		.amdhsa_float_round_mode_32 0
		.amdhsa_float_round_mode_16_64 0
		.amdhsa_float_denorm_mode_32 3
		.amdhsa_float_denorm_mode_16_64 3
		.amdhsa_dx10_clamp 1
		.amdhsa_ieee_mode 1
		.amdhsa_fp16_overflow 0
		.amdhsa_tg_split 0
		.amdhsa_exception_fp_ieee_invalid_op 0
		.amdhsa_exception_fp_denorm_src 0
		.amdhsa_exception_fp_ieee_div_zero 0
		.amdhsa_exception_fp_ieee_overflow 0
		.amdhsa_exception_fp_ieee_underflow 0
		.amdhsa_exception_fp_ieee_inexact 0
		.amdhsa_exception_int_div_zero 0
	.end_amdhsa_kernel
	.section	.text._ZN7rocprim17ROCPRIM_400000_NS6detail17trampoline_kernelINS0_14default_configENS1_35adjacent_difference_config_selectorILb0EaEEZNS1_24adjacent_difference_implIS3_Lb0ELb0EPKaPaN6thrust23THRUST_200600_302600_NS4plusIaEEEE10hipError_tPvRmT2_T3_mT4_P12ihipStream_tbEUlT_E_NS1_11comp_targetILNS1_3genE4ELNS1_11target_archE910ELNS1_3gpuE8ELNS1_3repE0EEENS1_30default_config_static_selectorELNS0_4arch9wavefront6targetE1EEEvT1_,"axG",@progbits,_ZN7rocprim17ROCPRIM_400000_NS6detail17trampoline_kernelINS0_14default_configENS1_35adjacent_difference_config_selectorILb0EaEEZNS1_24adjacent_difference_implIS3_Lb0ELb0EPKaPaN6thrust23THRUST_200600_302600_NS4plusIaEEEE10hipError_tPvRmT2_T3_mT4_P12ihipStream_tbEUlT_E_NS1_11comp_targetILNS1_3genE4ELNS1_11target_archE910ELNS1_3gpuE8ELNS1_3repE0EEENS1_30default_config_static_selectorELNS0_4arch9wavefront6targetE1EEEvT1_,comdat
.Lfunc_end469:
	.size	_ZN7rocprim17ROCPRIM_400000_NS6detail17trampoline_kernelINS0_14default_configENS1_35adjacent_difference_config_selectorILb0EaEEZNS1_24adjacent_difference_implIS3_Lb0ELb0EPKaPaN6thrust23THRUST_200600_302600_NS4plusIaEEEE10hipError_tPvRmT2_T3_mT4_P12ihipStream_tbEUlT_E_NS1_11comp_targetILNS1_3genE4ELNS1_11target_archE910ELNS1_3gpuE8ELNS1_3repE0EEENS1_30default_config_static_selectorELNS0_4arch9wavefront6targetE1EEEvT1_, .Lfunc_end469-_ZN7rocprim17ROCPRIM_400000_NS6detail17trampoline_kernelINS0_14default_configENS1_35adjacent_difference_config_selectorILb0EaEEZNS1_24adjacent_difference_implIS3_Lb0ELb0EPKaPaN6thrust23THRUST_200600_302600_NS4plusIaEEEE10hipError_tPvRmT2_T3_mT4_P12ihipStream_tbEUlT_E_NS1_11comp_targetILNS1_3genE4ELNS1_11target_archE910ELNS1_3gpuE8ELNS1_3repE0EEENS1_30default_config_static_selectorELNS0_4arch9wavefront6targetE1EEEvT1_
                                        ; -- End function
	.section	.AMDGPU.csdata,"",@progbits
; Kernel info:
; codeLenInByte = 4596
; NumSgprs: 52
; NumVgprs: 42
; NumAgprs: 0
; TotalNumVgprs: 42
; ScratchSize: 0
; MemoryBound: 0
; FloatMode: 240
; IeeeMode: 1
; LDSByteSize: 1216 bytes/workgroup (compile time only)
; SGPRBlocks: 6
; VGPRBlocks: 5
; NumSGPRsForWavesPerEU: 52
; NumVGPRsForWavesPerEU: 42
; AccumOffset: 44
; Occupancy: 8
; WaveLimiterHint : 0
; COMPUTE_PGM_RSRC2:SCRATCH_EN: 0
; COMPUTE_PGM_RSRC2:USER_SGPR: 6
; COMPUTE_PGM_RSRC2:TRAP_HANDLER: 0
; COMPUTE_PGM_RSRC2:TGID_X_EN: 1
; COMPUTE_PGM_RSRC2:TGID_Y_EN: 0
; COMPUTE_PGM_RSRC2:TGID_Z_EN: 0
; COMPUTE_PGM_RSRC2:TIDIG_COMP_CNT: 0
; COMPUTE_PGM_RSRC3_GFX90A:ACCUM_OFFSET: 10
; COMPUTE_PGM_RSRC3_GFX90A:TG_SPLIT: 0
	.section	.text._ZN7rocprim17ROCPRIM_400000_NS6detail17trampoline_kernelINS0_14default_configENS1_35adjacent_difference_config_selectorILb0EaEEZNS1_24adjacent_difference_implIS3_Lb0ELb0EPKaPaN6thrust23THRUST_200600_302600_NS4plusIaEEEE10hipError_tPvRmT2_T3_mT4_P12ihipStream_tbEUlT_E_NS1_11comp_targetILNS1_3genE3ELNS1_11target_archE908ELNS1_3gpuE7ELNS1_3repE0EEENS1_30default_config_static_selectorELNS0_4arch9wavefront6targetE1EEEvT1_,"axG",@progbits,_ZN7rocprim17ROCPRIM_400000_NS6detail17trampoline_kernelINS0_14default_configENS1_35adjacent_difference_config_selectorILb0EaEEZNS1_24adjacent_difference_implIS3_Lb0ELb0EPKaPaN6thrust23THRUST_200600_302600_NS4plusIaEEEE10hipError_tPvRmT2_T3_mT4_P12ihipStream_tbEUlT_E_NS1_11comp_targetILNS1_3genE3ELNS1_11target_archE908ELNS1_3gpuE7ELNS1_3repE0EEENS1_30default_config_static_selectorELNS0_4arch9wavefront6targetE1EEEvT1_,comdat
	.protected	_ZN7rocprim17ROCPRIM_400000_NS6detail17trampoline_kernelINS0_14default_configENS1_35adjacent_difference_config_selectorILb0EaEEZNS1_24adjacent_difference_implIS3_Lb0ELb0EPKaPaN6thrust23THRUST_200600_302600_NS4plusIaEEEE10hipError_tPvRmT2_T3_mT4_P12ihipStream_tbEUlT_E_NS1_11comp_targetILNS1_3genE3ELNS1_11target_archE908ELNS1_3gpuE7ELNS1_3repE0EEENS1_30default_config_static_selectorELNS0_4arch9wavefront6targetE1EEEvT1_ ; -- Begin function _ZN7rocprim17ROCPRIM_400000_NS6detail17trampoline_kernelINS0_14default_configENS1_35adjacent_difference_config_selectorILb0EaEEZNS1_24adjacent_difference_implIS3_Lb0ELb0EPKaPaN6thrust23THRUST_200600_302600_NS4plusIaEEEE10hipError_tPvRmT2_T3_mT4_P12ihipStream_tbEUlT_E_NS1_11comp_targetILNS1_3genE3ELNS1_11target_archE908ELNS1_3gpuE7ELNS1_3repE0EEENS1_30default_config_static_selectorELNS0_4arch9wavefront6targetE1EEEvT1_
	.globl	_ZN7rocprim17ROCPRIM_400000_NS6detail17trampoline_kernelINS0_14default_configENS1_35adjacent_difference_config_selectorILb0EaEEZNS1_24adjacent_difference_implIS3_Lb0ELb0EPKaPaN6thrust23THRUST_200600_302600_NS4plusIaEEEE10hipError_tPvRmT2_T3_mT4_P12ihipStream_tbEUlT_E_NS1_11comp_targetILNS1_3genE3ELNS1_11target_archE908ELNS1_3gpuE7ELNS1_3repE0EEENS1_30default_config_static_selectorELNS0_4arch9wavefront6targetE1EEEvT1_
	.p2align	8
	.type	_ZN7rocprim17ROCPRIM_400000_NS6detail17trampoline_kernelINS0_14default_configENS1_35adjacent_difference_config_selectorILb0EaEEZNS1_24adjacent_difference_implIS3_Lb0ELb0EPKaPaN6thrust23THRUST_200600_302600_NS4plusIaEEEE10hipError_tPvRmT2_T3_mT4_P12ihipStream_tbEUlT_E_NS1_11comp_targetILNS1_3genE3ELNS1_11target_archE908ELNS1_3gpuE7ELNS1_3repE0EEENS1_30default_config_static_selectorELNS0_4arch9wavefront6targetE1EEEvT1_,@function
_ZN7rocprim17ROCPRIM_400000_NS6detail17trampoline_kernelINS0_14default_configENS1_35adjacent_difference_config_selectorILb0EaEEZNS1_24adjacent_difference_implIS3_Lb0ELb0EPKaPaN6thrust23THRUST_200600_302600_NS4plusIaEEEE10hipError_tPvRmT2_T3_mT4_P12ihipStream_tbEUlT_E_NS1_11comp_targetILNS1_3genE3ELNS1_11target_archE908ELNS1_3gpuE7ELNS1_3repE0EEENS1_30default_config_static_selectorELNS0_4arch9wavefront6targetE1EEEvT1_: ; @_ZN7rocprim17ROCPRIM_400000_NS6detail17trampoline_kernelINS0_14default_configENS1_35adjacent_difference_config_selectorILb0EaEEZNS1_24adjacent_difference_implIS3_Lb0ELb0EPKaPaN6thrust23THRUST_200600_302600_NS4plusIaEEEE10hipError_tPvRmT2_T3_mT4_P12ihipStream_tbEUlT_E_NS1_11comp_targetILNS1_3genE3ELNS1_11target_archE908ELNS1_3gpuE7ELNS1_3repE0EEENS1_30default_config_static_selectorELNS0_4arch9wavefront6targetE1EEEvT1_
; %bb.0:
	.section	.rodata,"a",@progbits
	.p2align	6, 0x0
	.amdhsa_kernel _ZN7rocprim17ROCPRIM_400000_NS6detail17trampoline_kernelINS0_14default_configENS1_35adjacent_difference_config_selectorILb0EaEEZNS1_24adjacent_difference_implIS3_Lb0ELb0EPKaPaN6thrust23THRUST_200600_302600_NS4plusIaEEEE10hipError_tPvRmT2_T3_mT4_P12ihipStream_tbEUlT_E_NS1_11comp_targetILNS1_3genE3ELNS1_11target_archE908ELNS1_3gpuE7ELNS1_3repE0EEENS1_30default_config_static_selectorELNS0_4arch9wavefront6targetE1EEEvT1_
		.amdhsa_group_segment_fixed_size 0
		.amdhsa_private_segment_fixed_size 0
		.amdhsa_kernarg_size 56
		.amdhsa_user_sgpr_count 6
		.amdhsa_user_sgpr_private_segment_buffer 1
		.amdhsa_user_sgpr_dispatch_ptr 0
		.amdhsa_user_sgpr_queue_ptr 0
		.amdhsa_user_sgpr_kernarg_segment_ptr 1
		.amdhsa_user_sgpr_dispatch_id 0
		.amdhsa_user_sgpr_flat_scratch_init 0
		.amdhsa_user_sgpr_kernarg_preload_length 0
		.amdhsa_user_sgpr_kernarg_preload_offset 0
		.amdhsa_user_sgpr_private_segment_size 0
		.amdhsa_uses_dynamic_stack 0
		.amdhsa_system_sgpr_private_segment_wavefront_offset 0
		.amdhsa_system_sgpr_workgroup_id_x 1
		.amdhsa_system_sgpr_workgroup_id_y 0
		.amdhsa_system_sgpr_workgroup_id_z 0
		.amdhsa_system_sgpr_workgroup_info 0
		.amdhsa_system_vgpr_workitem_id 0
		.amdhsa_next_free_vgpr 1
		.amdhsa_next_free_sgpr 0
		.amdhsa_accum_offset 4
		.amdhsa_reserve_vcc 0
		.amdhsa_reserve_flat_scratch 0
		.amdhsa_float_round_mode_32 0
		.amdhsa_float_round_mode_16_64 0
		.amdhsa_float_denorm_mode_32 3
		.amdhsa_float_denorm_mode_16_64 3
		.amdhsa_dx10_clamp 1
		.amdhsa_ieee_mode 1
		.amdhsa_fp16_overflow 0
		.amdhsa_tg_split 0
		.amdhsa_exception_fp_ieee_invalid_op 0
		.amdhsa_exception_fp_denorm_src 0
		.amdhsa_exception_fp_ieee_div_zero 0
		.amdhsa_exception_fp_ieee_overflow 0
		.amdhsa_exception_fp_ieee_underflow 0
		.amdhsa_exception_fp_ieee_inexact 0
		.amdhsa_exception_int_div_zero 0
	.end_amdhsa_kernel
	.section	.text._ZN7rocprim17ROCPRIM_400000_NS6detail17trampoline_kernelINS0_14default_configENS1_35adjacent_difference_config_selectorILb0EaEEZNS1_24adjacent_difference_implIS3_Lb0ELb0EPKaPaN6thrust23THRUST_200600_302600_NS4plusIaEEEE10hipError_tPvRmT2_T3_mT4_P12ihipStream_tbEUlT_E_NS1_11comp_targetILNS1_3genE3ELNS1_11target_archE908ELNS1_3gpuE7ELNS1_3repE0EEENS1_30default_config_static_selectorELNS0_4arch9wavefront6targetE1EEEvT1_,"axG",@progbits,_ZN7rocprim17ROCPRIM_400000_NS6detail17trampoline_kernelINS0_14default_configENS1_35adjacent_difference_config_selectorILb0EaEEZNS1_24adjacent_difference_implIS3_Lb0ELb0EPKaPaN6thrust23THRUST_200600_302600_NS4plusIaEEEE10hipError_tPvRmT2_T3_mT4_P12ihipStream_tbEUlT_E_NS1_11comp_targetILNS1_3genE3ELNS1_11target_archE908ELNS1_3gpuE7ELNS1_3repE0EEENS1_30default_config_static_selectorELNS0_4arch9wavefront6targetE1EEEvT1_,comdat
.Lfunc_end470:
	.size	_ZN7rocprim17ROCPRIM_400000_NS6detail17trampoline_kernelINS0_14default_configENS1_35adjacent_difference_config_selectorILb0EaEEZNS1_24adjacent_difference_implIS3_Lb0ELb0EPKaPaN6thrust23THRUST_200600_302600_NS4plusIaEEEE10hipError_tPvRmT2_T3_mT4_P12ihipStream_tbEUlT_E_NS1_11comp_targetILNS1_3genE3ELNS1_11target_archE908ELNS1_3gpuE7ELNS1_3repE0EEENS1_30default_config_static_selectorELNS0_4arch9wavefront6targetE1EEEvT1_, .Lfunc_end470-_ZN7rocprim17ROCPRIM_400000_NS6detail17trampoline_kernelINS0_14default_configENS1_35adjacent_difference_config_selectorILb0EaEEZNS1_24adjacent_difference_implIS3_Lb0ELb0EPKaPaN6thrust23THRUST_200600_302600_NS4plusIaEEEE10hipError_tPvRmT2_T3_mT4_P12ihipStream_tbEUlT_E_NS1_11comp_targetILNS1_3genE3ELNS1_11target_archE908ELNS1_3gpuE7ELNS1_3repE0EEENS1_30default_config_static_selectorELNS0_4arch9wavefront6targetE1EEEvT1_
                                        ; -- End function
	.section	.AMDGPU.csdata,"",@progbits
; Kernel info:
; codeLenInByte = 0
; NumSgprs: 4
; NumVgprs: 0
; NumAgprs: 0
; TotalNumVgprs: 0
; ScratchSize: 0
; MemoryBound: 0
; FloatMode: 240
; IeeeMode: 1
; LDSByteSize: 0 bytes/workgroup (compile time only)
; SGPRBlocks: 0
; VGPRBlocks: 0
; NumSGPRsForWavesPerEU: 4
; NumVGPRsForWavesPerEU: 1
; AccumOffset: 4
; Occupancy: 8
; WaveLimiterHint : 0
; COMPUTE_PGM_RSRC2:SCRATCH_EN: 0
; COMPUTE_PGM_RSRC2:USER_SGPR: 6
; COMPUTE_PGM_RSRC2:TRAP_HANDLER: 0
; COMPUTE_PGM_RSRC2:TGID_X_EN: 1
; COMPUTE_PGM_RSRC2:TGID_Y_EN: 0
; COMPUTE_PGM_RSRC2:TGID_Z_EN: 0
; COMPUTE_PGM_RSRC2:TIDIG_COMP_CNT: 0
; COMPUTE_PGM_RSRC3_GFX90A:ACCUM_OFFSET: 0
; COMPUTE_PGM_RSRC3_GFX90A:TG_SPLIT: 0
	.section	.text._ZN7rocprim17ROCPRIM_400000_NS6detail17trampoline_kernelINS0_14default_configENS1_35adjacent_difference_config_selectorILb0EaEEZNS1_24adjacent_difference_implIS3_Lb0ELb0EPKaPaN6thrust23THRUST_200600_302600_NS4plusIaEEEE10hipError_tPvRmT2_T3_mT4_P12ihipStream_tbEUlT_E_NS1_11comp_targetILNS1_3genE2ELNS1_11target_archE906ELNS1_3gpuE6ELNS1_3repE0EEENS1_30default_config_static_selectorELNS0_4arch9wavefront6targetE1EEEvT1_,"axG",@progbits,_ZN7rocprim17ROCPRIM_400000_NS6detail17trampoline_kernelINS0_14default_configENS1_35adjacent_difference_config_selectorILb0EaEEZNS1_24adjacent_difference_implIS3_Lb0ELb0EPKaPaN6thrust23THRUST_200600_302600_NS4plusIaEEEE10hipError_tPvRmT2_T3_mT4_P12ihipStream_tbEUlT_E_NS1_11comp_targetILNS1_3genE2ELNS1_11target_archE906ELNS1_3gpuE6ELNS1_3repE0EEENS1_30default_config_static_selectorELNS0_4arch9wavefront6targetE1EEEvT1_,comdat
	.protected	_ZN7rocprim17ROCPRIM_400000_NS6detail17trampoline_kernelINS0_14default_configENS1_35adjacent_difference_config_selectorILb0EaEEZNS1_24adjacent_difference_implIS3_Lb0ELb0EPKaPaN6thrust23THRUST_200600_302600_NS4plusIaEEEE10hipError_tPvRmT2_T3_mT4_P12ihipStream_tbEUlT_E_NS1_11comp_targetILNS1_3genE2ELNS1_11target_archE906ELNS1_3gpuE6ELNS1_3repE0EEENS1_30default_config_static_selectorELNS0_4arch9wavefront6targetE1EEEvT1_ ; -- Begin function _ZN7rocprim17ROCPRIM_400000_NS6detail17trampoline_kernelINS0_14default_configENS1_35adjacent_difference_config_selectorILb0EaEEZNS1_24adjacent_difference_implIS3_Lb0ELb0EPKaPaN6thrust23THRUST_200600_302600_NS4plusIaEEEE10hipError_tPvRmT2_T3_mT4_P12ihipStream_tbEUlT_E_NS1_11comp_targetILNS1_3genE2ELNS1_11target_archE906ELNS1_3gpuE6ELNS1_3repE0EEENS1_30default_config_static_selectorELNS0_4arch9wavefront6targetE1EEEvT1_
	.globl	_ZN7rocprim17ROCPRIM_400000_NS6detail17trampoline_kernelINS0_14default_configENS1_35adjacent_difference_config_selectorILb0EaEEZNS1_24adjacent_difference_implIS3_Lb0ELb0EPKaPaN6thrust23THRUST_200600_302600_NS4plusIaEEEE10hipError_tPvRmT2_T3_mT4_P12ihipStream_tbEUlT_E_NS1_11comp_targetILNS1_3genE2ELNS1_11target_archE906ELNS1_3gpuE6ELNS1_3repE0EEENS1_30default_config_static_selectorELNS0_4arch9wavefront6targetE1EEEvT1_
	.p2align	8
	.type	_ZN7rocprim17ROCPRIM_400000_NS6detail17trampoline_kernelINS0_14default_configENS1_35adjacent_difference_config_selectorILb0EaEEZNS1_24adjacent_difference_implIS3_Lb0ELb0EPKaPaN6thrust23THRUST_200600_302600_NS4plusIaEEEE10hipError_tPvRmT2_T3_mT4_P12ihipStream_tbEUlT_E_NS1_11comp_targetILNS1_3genE2ELNS1_11target_archE906ELNS1_3gpuE6ELNS1_3repE0EEENS1_30default_config_static_selectorELNS0_4arch9wavefront6targetE1EEEvT1_,@function
_ZN7rocprim17ROCPRIM_400000_NS6detail17trampoline_kernelINS0_14default_configENS1_35adjacent_difference_config_selectorILb0EaEEZNS1_24adjacent_difference_implIS3_Lb0ELb0EPKaPaN6thrust23THRUST_200600_302600_NS4plusIaEEEE10hipError_tPvRmT2_T3_mT4_P12ihipStream_tbEUlT_E_NS1_11comp_targetILNS1_3genE2ELNS1_11target_archE906ELNS1_3gpuE6ELNS1_3repE0EEENS1_30default_config_static_selectorELNS0_4arch9wavefront6targetE1EEEvT1_: ; @_ZN7rocprim17ROCPRIM_400000_NS6detail17trampoline_kernelINS0_14default_configENS1_35adjacent_difference_config_selectorILb0EaEEZNS1_24adjacent_difference_implIS3_Lb0ELb0EPKaPaN6thrust23THRUST_200600_302600_NS4plusIaEEEE10hipError_tPvRmT2_T3_mT4_P12ihipStream_tbEUlT_E_NS1_11comp_targetILNS1_3genE2ELNS1_11target_archE906ELNS1_3gpuE6ELNS1_3repE0EEENS1_30default_config_static_selectorELNS0_4arch9wavefront6targetE1EEEvT1_
; %bb.0:
	.section	.rodata,"a",@progbits
	.p2align	6, 0x0
	.amdhsa_kernel _ZN7rocprim17ROCPRIM_400000_NS6detail17trampoline_kernelINS0_14default_configENS1_35adjacent_difference_config_selectorILb0EaEEZNS1_24adjacent_difference_implIS3_Lb0ELb0EPKaPaN6thrust23THRUST_200600_302600_NS4plusIaEEEE10hipError_tPvRmT2_T3_mT4_P12ihipStream_tbEUlT_E_NS1_11comp_targetILNS1_3genE2ELNS1_11target_archE906ELNS1_3gpuE6ELNS1_3repE0EEENS1_30default_config_static_selectorELNS0_4arch9wavefront6targetE1EEEvT1_
		.amdhsa_group_segment_fixed_size 0
		.amdhsa_private_segment_fixed_size 0
		.amdhsa_kernarg_size 56
		.amdhsa_user_sgpr_count 6
		.amdhsa_user_sgpr_private_segment_buffer 1
		.amdhsa_user_sgpr_dispatch_ptr 0
		.amdhsa_user_sgpr_queue_ptr 0
		.amdhsa_user_sgpr_kernarg_segment_ptr 1
		.amdhsa_user_sgpr_dispatch_id 0
		.amdhsa_user_sgpr_flat_scratch_init 0
		.amdhsa_user_sgpr_kernarg_preload_length 0
		.amdhsa_user_sgpr_kernarg_preload_offset 0
		.amdhsa_user_sgpr_private_segment_size 0
		.amdhsa_uses_dynamic_stack 0
		.amdhsa_system_sgpr_private_segment_wavefront_offset 0
		.amdhsa_system_sgpr_workgroup_id_x 1
		.amdhsa_system_sgpr_workgroup_id_y 0
		.amdhsa_system_sgpr_workgroup_id_z 0
		.amdhsa_system_sgpr_workgroup_info 0
		.amdhsa_system_vgpr_workitem_id 0
		.amdhsa_next_free_vgpr 1
		.amdhsa_next_free_sgpr 0
		.amdhsa_accum_offset 4
		.amdhsa_reserve_vcc 0
		.amdhsa_reserve_flat_scratch 0
		.amdhsa_float_round_mode_32 0
		.amdhsa_float_round_mode_16_64 0
		.amdhsa_float_denorm_mode_32 3
		.amdhsa_float_denorm_mode_16_64 3
		.amdhsa_dx10_clamp 1
		.amdhsa_ieee_mode 1
		.amdhsa_fp16_overflow 0
		.amdhsa_tg_split 0
		.amdhsa_exception_fp_ieee_invalid_op 0
		.amdhsa_exception_fp_denorm_src 0
		.amdhsa_exception_fp_ieee_div_zero 0
		.amdhsa_exception_fp_ieee_overflow 0
		.amdhsa_exception_fp_ieee_underflow 0
		.amdhsa_exception_fp_ieee_inexact 0
		.amdhsa_exception_int_div_zero 0
	.end_amdhsa_kernel
	.section	.text._ZN7rocprim17ROCPRIM_400000_NS6detail17trampoline_kernelINS0_14default_configENS1_35adjacent_difference_config_selectorILb0EaEEZNS1_24adjacent_difference_implIS3_Lb0ELb0EPKaPaN6thrust23THRUST_200600_302600_NS4plusIaEEEE10hipError_tPvRmT2_T3_mT4_P12ihipStream_tbEUlT_E_NS1_11comp_targetILNS1_3genE2ELNS1_11target_archE906ELNS1_3gpuE6ELNS1_3repE0EEENS1_30default_config_static_selectorELNS0_4arch9wavefront6targetE1EEEvT1_,"axG",@progbits,_ZN7rocprim17ROCPRIM_400000_NS6detail17trampoline_kernelINS0_14default_configENS1_35adjacent_difference_config_selectorILb0EaEEZNS1_24adjacent_difference_implIS3_Lb0ELb0EPKaPaN6thrust23THRUST_200600_302600_NS4plusIaEEEE10hipError_tPvRmT2_T3_mT4_P12ihipStream_tbEUlT_E_NS1_11comp_targetILNS1_3genE2ELNS1_11target_archE906ELNS1_3gpuE6ELNS1_3repE0EEENS1_30default_config_static_selectorELNS0_4arch9wavefront6targetE1EEEvT1_,comdat
.Lfunc_end471:
	.size	_ZN7rocprim17ROCPRIM_400000_NS6detail17trampoline_kernelINS0_14default_configENS1_35adjacent_difference_config_selectorILb0EaEEZNS1_24adjacent_difference_implIS3_Lb0ELb0EPKaPaN6thrust23THRUST_200600_302600_NS4plusIaEEEE10hipError_tPvRmT2_T3_mT4_P12ihipStream_tbEUlT_E_NS1_11comp_targetILNS1_3genE2ELNS1_11target_archE906ELNS1_3gpuE6ELNS1_3repE0EEENS1_30default_config_static_selectorELNS0_4arch9wavefront6targetE1EEEvT1_, .Lfunc_end471-_ZN7rocprim17ROCPRIM_400000_NS6detail17trampoline_kernelINS0_14default_configENS1_35adjacent_difference_config_selectorILb0EaEEZNS1_24adjacent_difference_implIS3_Lb0ELb0EPKaPaN6thrust23THRUST_200600_302600_NS4plusIaEEEE10hipError_tPvRmT2_T3_mT4_P12ihipStream_tbEUlT_E_NS1_11comp_targetILNS1_3genE2ELNS1_11target_archE906ELNS1_3gpuE6ELNS1_3repE0EEENS1_30default_config_static_selectorELNS0_4arch9wavefront6targetE1EEEvT1_
                                        ; -- End function
	.section	.AMDGPU.csdata,"",@progbits
; Kernel info:
; codeLenInByte = 0
; NumSgprs: 4
; NumVgprs: 0
; NumAgprs: 0
; TotalNumVgprs: 0
; ScratchSize: 0
; MemoryBound: 0
; FloatMode: 240
; IeeeMode: 1
; LDSByteSize: 0 bytes/workgroup (compile time only)
; SGPRBlocks: 0
; VGPRBlocks: 0
; NumSGPRsForWavesPerEU: 4
; NumVGPRsForWavesPerEU: 1
; AccumOffset: 4
; Occupancy: 8
; WaveLimiterHint : 0
; COMPUTE_PGM_RSRC2:SCRATCH_EN: 0
; COMPUTE_PGM_RSRC2:USER_SGPR: 6
; COMPUTE_PGM_RSRC2:TRAP_HANDLER: 0
; COMPUTE_PGM_RSRC2:TGID_X_EN: 1
; COMPUTE_PGM_RSRC2:TGID_Y_EN: 0
; COMPUTE_PGM_RSRC2:TGID_Z_EN: 0
; COMPUTE_PGM_RSRC2:TIDIG_COMP_CNT: 0
; COMPUTE_PGM_RSRC3_GFX90A:ACCUM_OFFSET: 0
; COMPUTE_PGM_RSRC3_GFX90A:TG_SPLIT: 0
	.section	.text._ZN7rocprim17ROCPRIM_400000_NS6detail17trampoline_kernelINS0_14default_configENS1_35adjacent_difference_config_selectorILb0EaEEZNS1_24adjacent_difference_implIS3_Lb0ELb0EPKaPaN6thrust23THRUST_200600_302600_NS4plusIaEEEE10hipError_tPvRmT2_T3_mT4_P12ihipStream_tbEUlT_E_NS1_11comp_targetILNS1_3genE9ELNS1_11target_archE1100ELNS1_3gpuE3ELNS1_3repE0EEENS1_30default_config_static_selectorELNS0_4arch9wavefront6targetE1EEEvT1_,"axG",@progbits,_ZN7rocprim17ROCPRIM_400000_NS6detail17trampoline_kernelINS0_14default_configENS1_35adjacent_difference_config_selectorILb0EaEEZNS1_24adjacent_difference_implIS3_Lb0ELb0EPKaPaN6thrust23THRUST_200600_302600_NS4plusIaEEEE10hipError_tPvRmT2_T3_mT4_P12ihipStream_tbEUlT_E_NS1_11comp_targetILNS1_3genE9ELNS1_11target_archE1100ELNS1_3gpuE3ELNS1_3repE0EEENS1_30default_config_static_selectorELNS0_4arch9wavefront6targetE1EEEvT1_,comdat
	.protected	_ZN7rocprim17ROCPRIM_400000_NS6detail17trampoline_kernelINS0_14default_configENS1_35adjacent_difference_config_selectorILb0EaEEZNS1_24adjacent_difference_implIS3_Lb0ELb0EPKaPaN6thrust23THRUST_200600_302600_NS4plusIaEEEE10hipError_tPvRmT2_T3_mT4_P12ihipStream_tbEUlT_E_NS1_11comp_targetILNS1_3genE9ELNS1_11target_archE1100ELNS1_3gpuE3ELNS1_3repE0EEENS1_30default_config_static_selectorELNS0_4arch9wavefront6targetE1EEEvT1_ ; -- Begin function _ZN7rocprim17ROCPRIM_400000_NS6detail17trampoline_kernelINS0_14default_configENS1_35adjacent_difference_config_selectorILb0EaEEZNS1_24adjacent_difference_implIS3_Lb0ELb0EPKaPaN6thrust23THRUST_200600_302600_NS4plusIaEEEE10hipError_tPvRmT2_T3_mT4_P12ihipStream_tbEUlT_E_NS1_11comp_targetILNS1_3genE9ELNS1_11target_archE1100ELNS1_3gpuE3ELNS1_3repE0EEENS1_30default_config_static_selectorELNS0_4arch9wavefront6targetE1EEEvT1_
	.globl	_ZN7rocprim17ROCPRIM_400000_NS6detail17trampoline_kernelINS0_14default_configENS1_35adjacent_difference_config_selectorILb0EaEEZNS1_24adjacent_difference_implIS3_Lb0ELb0EPKaPaN6thrust23THRUST_200600_302600_NS4plusIaEEEE10hipError_tPvRmT2_T3_mT4_P12ihipStream_tbEUlT_E_NS1_11comp_targetILNS1_3genE9ELNS1_11target_archE1100ELNS1_3gpuE3ELNS1_3repE0EEENS1_30default_config_static_selectorELNS0_4arch9wavefront6targetE1EEEvT1_
	.p2align	8
	.type	_ZN7rocprim17ROCPRIM_400000_NS6detail17trampoline_kernelINS0_14default_configENS1_35adjacent_difference_config_selectorILb0EaEEZNS1_24adjacent_difference_implIS3_Lb0ELb0EPKaPaN6thrust23THRUST_200600_302600_NS4plusIaEEEE10hipError_tPvRmT2_T3_mT4_P12ihipStream_tbEUlT_E_NS1_11comp_targetILNS1_3genE9ELNS1_11target_archE1100ELNS1_3gpuE3ELNS1_3repE0EEENS1_30default_config_static_selectorELNS0_4arch9wavefront6targetE1EEEvT1_,@function
_ZN7rocprim17ROCPRIM_400000_NS6detail17trampoline_kernelINS0_14default_configENS1_35adjacent_difference_config_selectorILb0EaEEZNS1_24adjacent_difference_implIS3_Lb0ELb0EPKaPaN6thrust23THRUST_200600_302600_NS4plusIaEEEE10hipError_tPvRmT2_T3_mT4_P12ihipStream_tbEUlT_E_NS1_11comp_targetILNS1_3genE9ELNS1_11target_archE1100ELNS1_3gpuE3ELNS1_3repE0EEENS1_30default_config_static_selectorELNS0_4arch9wavefront6targetE1EEEvT1_: ; @_ZN7rocprim17ROCPRIM_400000_NS6detail17trampoline_kernelINS0_14default_configENS1_35adjacent_difference_config_selectorILb0EaEEZNS1_24adjacent_difference_implIS3_Lb0ELb0EPKaPaN6thrust23THRUST_200600_302600_NS4plusIaEEEE10hipError_tPvRmT2_T3_mT4_P12ihipStream_tbEUlT_E_NS1_11comp_targetILNS1_3genE9ELNS1_11target_archE1100ELNS1_3gpuE3ELNS1_3repE0EEENS1_30default_config_static_selectorELNS0_4arch9wavefront6targetE1EEEvT1_
; %bb.0:
	.section	.rodata,"a",@progbits
	.p2align	6, 0x0
	.amdhsa_kernel _ZN7rocprim17ROCPRIM_400000_NS6detail17trampoline_kernelINS0_14default_configENS1_35adjacent_difference_config_selectorILb0EaEEZNS1_24adjacent_difference_implIS3_Lb0ELb0EPKaPaN6thrust23THRUST_200600_302600_NS4plusIaEEEE10hipError_tPvRmT2_T3_mT4_P12ihipStream_tbEUlT_E_NS1_11comp_targetILNS1_3genE9ELNS1_11target_archE1100ELNS1_3gpuE3ELNS1_3repE0EEENS1_30default_config_static_selectorELNS0_4arch9wavefront6targetE1EEEvT1_
		.amdhsa_group_segment_fixed_size 0
		.amdhsa_private_segment_fixed_size 0
		.amdhsa_kernarg_size 56
		.amdhsa_user_sgpr_count 6
		.amdhsa_user_sgpr_private_segment_buffer 1
		.amdhsa_user_sgpr_dispatch_ptr 0
		.amdhsa_user_sgpr_queue_ptr 0
		.amdhsa_user_sgpr_kernarg_segment_ptr 1
		.amdhsa_user_sgpr_dispatch_id 0
		.amdhsa_user_sgpr_flat_scratch_init 0
		.amdhsa_user_sgpr_kernarg_preload_length 0
		.amdhsa_user_sgpr_kernarg_preload_offset 0
		.amdhsa_user_sgpr_private_segment_size 0
		.amdhsa_uses_dynamic_stack 0
		.amdhsa_system_sgpr_private_segment_wavefront_offset 0
		.amdhsa_system_sgpr_workgroup_id_x 1
		.amdhsa_system_sgpr_workgroup_id_y 0
		.amdhsa_system_sgpr_workgroup_id_z 0
		.amdhsa_system_sgpr_workgroup_info 0
		.amdhsa_system_vgpr_workitem_id 0
		.amdhsa_next_free_vgpr 1
		.amdhsa_next_free_sgpr 0
		.amdhsa_accum_offset 4
		.amdhsa_reserve_vcc 0
		.amdhsa_reserve_flat_scratch 0
		.amdhsa_float_round_mode_32 0
		.amdhsa_float_round_mode_16_64 0
		.amdhsa_float_denorm_mode_32 3
		.amdhsa_float_denorm_mode_16_64 3
		.amdhsa_dx10_clamp 1
		.amdhsa_ieee_mode 1
		.amdhsa_fp16_overflow 0
		.amdhsa_tg_split 0
		.amdhsa_exception_fp_ieee_invalid_op 0
		.amdhsa_exception_fp_denorm_src 0
		.amdhsa_exception_fp_ieee_div_zero 0
		.amdhsa_exception_fp_ieee_overflow 0
		.amdhsa_exception_fp_ieee_underflow 0
		.amdhsa_exception_fp_ieee_inexact 0
		.amdhsa_exception_int_div_zero 0
	.end_amdhsa_kernel
	.section	.text._ZN7rocprim17ROCPRIM_400000_NS6detail17trampoline_kernelINS0_14default_configENS1_35adjacent_difference_config_selectorILb0EaEEZNS1_24adjacent_difference_implIS3_Lb0ELb0EPKaPaN6thrust23THRUST_200600_302600_NS4plusIaEEEE10hipError_tPvRmT2_T3_mT4_P12ihipStream_tbEUlT_E_NS1_11comp_targetILNS1_3genE9ELNS1_11target_archE1100ELNS1_3gpuE3ELNS1_3repE0EEENS1_30default_config_static_selectorELNS0_4arch9wavefront6targetE1EEEvT1_,"axG",@progbits,_ZN7rocprim17ROCPRIM_400000_NS6detail17trampoline_kernelINS0_14default_configENS1_35adjacent_difference_config_selectorILb0EaEEZNS1_24adjacent_difference_implIS3_Lb0ELb0EPKaPaN6thrust23THRUST_200600_302600_NS4plusIaEEEE10hipError_tPvRmT2_T3_mT4_P12ihipStream_tbEUlT_E_NS1_11comp_targetILNS1_3genE9ELNS1_11target_archE1100ELNS1_3gpuE3ELNS1_3repE0EEENS1_30default_config_static_selectorELNS0_4arch9wavefront6targetE1EEEvT1_,comdat
.Lfunc_end472:
	.size	_ZN7rocprim17ROCPRIM_400000_NS6detail17trampoline_kernelINS0_14default_configENS1_35adjacent_difference_config_selectorILb0EaEEZNS1_24adjacent_difference_implIS3_Lb0ELb0EPKaPaN6thrust23THRUST_200600_302600_NS4plusIaEEEE10hipError_tPvRmT2_T3_mT4_P12ihipStream_tbEUlT_E_NS1_11comp_targetILNS1_3genE9ELNS1_11target_archE1100ELNS1_3gpuE3ELNS1_3repE0EEENS1_30default_config_static_selectorELNS0_4arch9wavefront6targetE1EEEvT1_, .Lfunc_end472-_ZN7rocprim17ROCPRIM_400000_NS6detail17trampoline_kernelINS0_14default_configENS1_35adjacent_difference_config_selectorILb0EaEEZNS1_24adjacent_difference_implIS3_Lb0ELb0EPKaPaN6thrust23THRUST_200600_302600_NS4plusIaEEEE10hipError_tPvRmT2_T3_mT4_P12ihipStream_tbEUlT_E_NS1_11comp_targetILNS1_3genE9ELNS1_11target_archE1100ELNS1_3gpuE3ELNS1_3repE0EEENS1_30default_config_static_selectorELNS0_4arch9wavefront6targetE1EEEvT1_
                                        ; -- End function
	.section	.AMDGPU.csdata,"",@progbits
; Kernel info:
; codeLenInByte = 0
; NumSgprs: 4
; NumVgprs: 0
; NumAgprs: 0
; TotalNumVgprs: 0
; ScratchSize: 0
; MemoryBound: 0
; FloatMode: 240
; IeeeMode: 1
; LDSByteSize: 0 bytes/workgroup (compile time only)
; SGPRBlocks: 0
; VGPRBlocks: 0
; NumSGPRsForWavesPerEU: 4
; NumVGPRsForWavesPerEU: 1
; AccumOffset: 4
; Occupancy: 8
; WaveLimiterHint : 0
; COMPUTE_PGM_RSRC2:SCRATCH_EN: 0
; COMPUTE_PGM_RSRC2:USER_SGPR: 6
; COMPUTE_PGM_RSRC2:TRAP_HANDLER: 0
; COMPUTE_PGM_RSRC2:TGID_X_EN: 1
; COMPUTE_PGM_RSRC2:TGID_Y_EN: 0
; COMPUTE_PGM_RSRC2:TGID_Z_EN: 0
; COMPUTE_PGM_RSRC2:TIDIG_COMP_CNT: 0
; COMPUTE_PGM_RSRC3_GFX90A:ACCUM_OFFSET: 0
; COMPUTE_PGM_RSRC3_GFX90A:TG_SPLIT: 0
	.section	.text._ZN7rocprim17ROCPRIM_400000_NS6detail17trampoline_kernelINS0_14default_configENS1_35adjacent_difference_config_selectorILb0EaEEZNS1_24adjacent_difference_implIS3_Lb0ELb0EPKaPaN6thrust23THRUST_200600_302600_NS4plusIaEEEE10hipError_tPvRmT2_T3_mT4_P12ihipStream_tbEUlT_E_NS1_11comp_targetILNS1_3genE8ELNS1_11target_archE1030ELNS1_3gpuE2ELNS1_3repE0EEENS1_30default_config_static_selectorELNS0_4arch9wavefront6targetE1EEEvT1_,"axG",@progbits,_ZN7rocprim17ROCPRIM_400000_NS6detail17trampoline_kernelINS0_14default_configENS1_35adjacent_difference_config_selectorILb0EaEEZNS1_24adjacent_difference_implIS3_Lb0ELb0EPKaPaN6thrust23THRUST_200600_302600_NS4plusIaEEEE10hipError_tPvRmT2_T3_mT4_P12ihipStream_tbEUlT_E_NS1_11comp_targetILNS1_3genE8ELNS1_11target_archE1030ELNS1_3gpuE2ELNS1_3repE0EEENS1_30default_config_static_selectorELNS0_4arch9wavefront6targetE1EEEvT1_,comdat
	.protected	_ZN7rocprim17ROCPRIM_400000_NS6detail17trampoline_kernelINS0_14default_configENS1_35adjacent_difference_config_selectorILb0EaEEZNS1_24adjacent_difference_implIS3_Lb0ELb0EPKaPaN6thrust23THRUST_200600_302600_NS4plusIaEEEE10hipError_tPvRmT2_T3_mT4_P12ihipStream_tbEUlT_E_NS1_11comp_targetILNS1_3genE8ELNS1_11target_archE1030ELNS1_3gpuE2ELNS1_3repE0EEENS1_30default_config_static_selectorELNS0_4arch9wavefront6targetE1EEEvT1_ ; -- Begin function _ZN7rocprim17ROCPRIM_400000_NS6detail17trampoline_kernelINS0_14default_configENS1_35adjacent_difference_config_selectorILb0EaEEZNS1_24adjacent_difference_implIS3_Lb0ELb0EPKaPaN6thrust23THRUST_200600_302600_NS4plusIaEEEE10hipError_tPvRmT2_T3_mT4_P12ihipStream_tbEUlT_E_NS1_11comp_targetILNS1_3genE8ELNS1_11target_archE1030ELNS1_3gpuE2ELNS1_3repE0EEENS1_30default_config_static_selectorELNS0_4arch9wavefront6targetE1EEEvT1_
	.globl	_ZN7rocprim17ROCPRIM_400000_NS6detail17trampoline_kernelINS0_14default_configENS1_35adjacent_difference_config_selectorILb0EaEEZNS1_24adjacent_difference_implIS3_Lb0ELb0EPKaPaN6thrust23THRUST_200600_302600_NS4plusIaEEEE10hipError_tPvRmT2_T3_mT4_P12ihipStream_tbEUlT_E_NS1_11comp_targetILNS1_3genE8ELNS1_11target_archE1030ELNS1_3gpuE2ELNS1_3repE0EEENS1_30default_config_static_selectorELNS0_4arch9wavefront6targetE1EEEvT1_
	.p2align	8
	.type	_ZN7rocprim17ROCPRIM_400000_NS6detail17trampoline_kernelINS0_14default_configENS1_35adjacent_difference_config_selectorILb0EaEEZNS1_24adjacent_difference_implIS3_Lb0ELb0EPKaPaN6thrust23THRUST_200600_302600_NS4plusIaEEEE10hipError_tPvRmT2_T3_mT4_P12ihipStream_tbEUlT_E_NS1_11comp_targetILNS1_3genE8ELNS1_11target_archE1030ELNS1_3gpuE2ELNS1_3repE0EEENS1_30default_config_static_selectorELNS0_4arch9wavefront6targetE1EEEvT1_,@function
_ZN7rocprim17ROCPRIM_400000_NS6detail17trampoline_kernelINS0_14default_configENS1_35adjacent_difference_config_selectorILb0EaEEZNS1_24adjacent_difference_implIS3_Lb0ELb0EPKaPaN6thrust23THRUST_200600_302600_NS4plusIaEEEE10hipError_tPvRmT2_T3_mT4_P12ihipStream_tbEUlT_E_NS1_11comp_targetILNS1_3genE8ELNS1_11target_archE1030ELNS1_3gpuE2ELNS1_3repE0EEENS1_30default_config_static_selectorELNS0_4arch9wavefront6targetE1EEEvT1_: ; @_ZN7rocprim17ROCPRIM_400000_NS6detail17trampoline_kernelINS0_14default_configENS1_35adjacent_difference_config_selectorILb0EaEEZNS1_24adjacent_difference_implIS3_Lb0ELb0EPKaPaN6thrust23THRUST_200600_302600_NS4plusIaEEEE10hipError_tPvRmT2_T3_mT4_P12ihipStream_tbEUlT_E_NS1_11comp_targetILNS1_3genE8ELNS1_11target_archE1030ELNS1_3gpuE2ELNS1_3repE0EEENS1_30default_config_static_selectorELNS0_4arch9wavefront6targetE1EEEvT1_
; %bb.0:
	.section	.rodata,"a",@progbits
	.p2align	6, 0x0
	.amdhsa_kernel _ZN7rocprim17ROCPRIM_400000_NS6detail17trampoline_kernelINS0_14default_configENS1_35adjacent_difference_config_selectorILb0EaEEZNS1_24adjacent_difference_implIS3_Lb0ELb0EPKaPaN6thrust23THRUST_200600_302600_NS4plusIaEEEE10hipError_tPvRmT2_T3_mT4_P12ihipStream_tbEUlT_E_NS1_11comp_targetILNS1_3genE8ELNS1_11target_archE1030ELNS1_3gpuE2ELNS1_3repE0EEENS1_30default_config_static_selectorELNS0_4arch9wavefront6targetE1EEEvT1_
		.amdhsa_group_segment_fixed_size 0
		.amdhsa_private_segment_fixed_size 0
		.amdhsa_kernarg_size 56
		.amdhsa_user_sgpr_count 6
		.amdhsa_user_sgpr_private_segment_buffer 1
		.amdhsa_user_sgpr_dispatch_ptr 0
		.amdhsa_user_sgpr_queue_ptr 0
		.amdhsa_user_sgpr_kernarg_segment_ptr 1
		.amdhsa_user_sgpr_dispatch_id 0
		.amdhsa_user_sgpr_flat_scratch_init 0
		.amdhsa_user_sgpr_kernarg_preload_length 0
		.amdhsa_user_sgpr_kernarg_preload_offset 0
		.amdhsa_user_sgpr_private_segment_size 0
		.amdhsa_uses_dynamic_stack 0
		.amdhsa_system_sgpr_private_segment_wavefront_offset 0
		.amdhsa_system_sgpr_workgroup_id_x 1
		.amdhsa_system_sgpr_workgroup_id_y 0
		.amdhsa_system_sgpr_workgroup_id_z 0
		.amdhsa_system_sgpr_workgroup_info 0
		.amdhsa_system_vgpr_workitem_id 0
		.amdhsa_next_free_vgpr 1
		.amdhsa_next_free_sgpr 0
		.amdhsa_accum_offset 4
		.amdhsa_reserve_vcc 0
		.amdhsa_reserve_flat_scratch 0
		.amdhsa_float_round_mode_32 0
		.amdhsa_float_round_mode_16_64 0
		.amdhsa_float_denorm_mode_32 3
		.amdhsa_float_denorm_mode_16_64 3
		.amdhsa_dx10_clamp 1
		.amdhsa_ieee_mode 1
		.amdhsa_fp16_overflow 0
		.amdhsa_tg_split 0
		.amdhsa_exception_fp_ieee_invalid_op 0
		.amdhsa_exception_fp_denorm_src 0
		.amdhsa_exception_fp_ieee_div_zero 0
		.amdhsa_exception_fp_ieee_overflow 0
		.amdhsa_exception_fp_ieee_underflow 0
		.amdhsa_exception_fp_ieee_inexact 0
		.amdhsa_exception_int_div_zero 0
	.end_amdhsa_kernel
	.section	.text._ZN7rocprim17ROCPRIM_400000_NS6detail17trampoline_kernelINS0_14default_configENS1_35adjacent_difference_config_selectorILb0EaEEZNS1_24adjacent_difference_implIS3_Lb0ELb0EPKaPaN6thrust23THRUST_200600_302600_NS4plusIaEEEE10hipError_tPvRmT2_T3_mT4_P12ihipStream_tbEUlT_E_NS1_11comp_targetILNS1_3genE8ELNS1_11target_archE1030ELNS1_3gpuE2ELNS1_3repE0EEENS1_30default_config_static_selectorELNS0_4arch9wavefront6targetE1EEEvT1_,"axG",@progbits,_ZN7rocprim17ROCPRIM_400000_NS6detail17trampoline_kernelINS0_14default_configENS1_35adjacent_difference_config_selectorILb0EaEEZNS1_24adjacent_difference_implIS3_Lb0ELb0EPKaPaN6thrust23THRUST_200600_302600_NS4plusIaEEEE10hipError_tPvRmT2_T3_mT4_P12ihipStream_tbEUlT_E_NS1_11comp_targetILNS1_3genE8ELNS1_11target_archE1030ELNS1_3gpuE2ELNS1_3repE0EEENS1_30default_config_static_selectorELNS0_4arch9wavefront6targetE1EEEvT1_,comdat
.Lfunc_end473:
	.size	_ZN7rocprim17ROCPRIM_400000_NS6detail17trampoline_kernelINS0_14default_configENS1_35adjacent_difference_config_selectorILb0EaEEZNS1_24adjacent_difference_implIS3_Lb0ELb0EPKaPaN6thrust23THRUST_200600_302600_NS4plusIaEEEE10hipError_tPvRmT2_T3_mT4_P12ihipStream_tbEUlT_E_NS1_11comp_targetILNS1_3genE8ELNS1_11target_archE1030ELNS1_3gpuE2ELNS1_3repE0EEENS1_30default_config_static_selectorELNS0_4arch9wavefront6targetE1EEEvT1_, .Lfunc_end473-_ZN7rocprim17ROCPRIM_400000_NS6detail17trampoline_kernelINS0_14default_configENS1_35adjacent_difference_config_selectorILb0EaEEZNS1_24adjacent_difference_implIS3_Lb0ELb0EPKaPaN6thrust23THRUST_200600_302600_NS4plusIaEEEE10hipError_tPvRmT2_T3_mT4_P12ihipStream_tbEUlT_E_NS1_11comp_targetILNS1_3genE8ELNS1_11target_archE1030ELNS1_3gpuE2ELNS1_3repE0EEENS1_30default_config_static_selectorELNS0_4arch9wavefront6targetE1EEEvT1_
                                        ; -- End function
	.section	.AMDGPU.csdata,"",@progbits
; Kernel info:
; codeLenInByte = 0
; NumSgprs: 4
; NumVgprs: 0
; NumAgprs: 0
; TotalNumVgprs: 0
; ScratchSize: 0
; MemoryBound: 0
; FloatMode: 240
; IeeeMode: 1
; LDSByteSize: 0 bytes/workgroup (compile time only)
; SGPRBlocks: 0
; VGPRBlocks: 0
; NumSGPRsForWavesPerEU: 4
; NumVGPRsForWavesPerEU: 1
; AccumOffset: 4
; Occupancy: 8
; WaveLimiterHint : 0
; COMPUTE_PGM_RSRC2:SCRATCH_EN: 0
; COMPUTE_PGM_RSRC2:USER_SGPR: 6
; COMPUTE_PGM_RSRC2:TRAP_HANDLER: 0
; COMPUTE_PGM_RSRC2:TGID_X_EN: 1
; COMPUTE_PGM_RSRC2:TGID_Y_EN: 0
; COMPUTE_PGM_RSRC2:TGID_Z_EN: 0
; COMPUTE_PGM_RSRC2:TIDIG_COMP_CNT: 0
; COMPUTE_PGM_RSRC3_GFX90A:ACCUM_OFFSET: 0
; COMPUTE_PGM_RSRC3_GFX90A:TG_SPLIT: 0
	.section	.text._ZN7rocprim17ROCPRIM_400000_NS6detail17trampoline_kernelINS0_14default_configENS1_25transform_config_selectorIaLb0EEEZNS1_14transform_implILb0ES3_S5_NS0_18transform_iteratorINS0_17counting_iteratorImlEEZNS1_24adjacent_difference_implIS3_Lb1ELb0EPKaPaN6thrust23THRUST_200600_302600_NS4plusIaEEEE10hipError_tPvRmT2_T3_mT4_P12ihipStream_tbEUlmE_aEESD_NS0_8identityIvEEEESI_SL_SM_mSN_SP_bEUlT_E_NS1_11comp_targetILNS1_3genE0ELNS1_11target_archE4294967295ELNS1_3gpuE0ELNS1_3repE0EEENS1_30default_config_static_selectorELNS0_4arch9wavefront6targetE1EEEvT1_,"axG",@progbits,_ZN7rocprim17ROCPRIM_400000_NS6detail17trampoline_kernelINS0_14default_configENS1_25transform_config_selectorIaLb0EEEZNS1_14transform_implILb0ES3_S5_NS0_18transform_iteratorINS0_17counting_iteratorImlEEZNS1_24adjacent_difference_implIS3_Lb1ELb0EPKaPaN6thrust23THRUST_200600_302600_NS4plusIaEEEE10hipError_tPvRmT2_T3_mT4_P12ihipStream_tbEUlmE_aEESD_NS0_8identityIvEEEESI_SL_SM_mSN_SP_bEUlT_E_NS1_11comp_targetILNS1_3genE0ELNS1_11target_archE4294967295ELNS1_3gpuE0ELNS1_3repE0EEENS1_30default_config_static_selectorELNS0_4arch9wavefront6targetE1EEEvT1_,comdat
	.protected	_ZN7rocprim17ROCPRIM_400000_NS6detail17trampoline_kernelINS0_14default_configENS1_25transform_config_selectorIaLb0EEEZNS1_14transform_implILb0ES3_S5_NS0_18transform_iteratorINS0_17counting_iteratorImlEEZNS1_24adjacent_difference_implIS3_Lb1ELb0EPKaPaN6thrust23THRUST_200600_302600_NS4plusIaEEEE10hipError_tPvRmT2_T3_mT4_P12ihipStream_tbEUlmE_aEESD_NS0_8identityIvEEEESI_SL_SM_mSN_SP_bEUlT_E_NS1_11comp_targetILNS1_3genE0ELNS1_11target_archE4294967295ELNS1_3gpuE0ELNS1_3repE0EEENS1_30default_config_static_selectorELNS0_4arch9wavefront6targetE1EEEvT1_ ; -- Begin function _ZN7rocprim17ROCPRIM_400000_NS6detail17trampoline_kernelINS0_14default_configENS1_25transform_config_selectorIaLb0EEEZNS1_14transform_implILb0ES3_S5_NS0_18transform_iteratorINS0_17counting_iteratorImlEEZNS1_24adjacent_difference_implIS3_Lb1ELb0EPKaPaN6thrust23THRUST_200600_302600_NS4plusIaEEEE10hipError_tPvRmT2_T3_mT4_P12ihipStream_tbEUlmE_aEESD_NS0_8identityIvEEEESI_SL_SM_mSN_SP_bEUlT_E_NS1_11comp_targetILNS1_3genE0ELNS1_11target_archE4294967295ELNS1_3gpuE0ELNS1_3repE0EEENS1_30default_config_static_selectorELNS0_4arch9wavefront6targetE1EEEvT1_
	.globl	_ZN7rocprim17ROCPRIM_400000_NS6detail17trampoline_kernelINS0_14default_configENS1_25transform_config_selectorIaLb0EEEZNS1_14transform_implILb0ES3_S5_NS0_18transform_iteratorINS0_17counting_iteratorImlEEZNS1_24adjacent_difference_implIS3_Lb1ELb0EPKaPaN6thrust23THRUST_200600_302600_NS4plusIaEEEE10hipError_tPvRmT2_T3_mT4_P12ihipStream_tbEUlmE_aEESD_NS0_8identityIvEEEESI_SL_SM_mSN_SP_bEUlT_E_NS1_11comp_targetILNS1_3genE0ELNS1_11target_archE4294967295ELNS1_3gpuE0ELNS1_3repE0EEENS1_30default_config_static_selectorELNS0_4arch9wavefront6targetE1EEEvT1_
	.p2align	8
	.type	_ZN7rocprim17ROCPRIM_400000_NS6detail17trampoline_kernelINS0_14default_configENS1_25transform_config_selectorIaLb0EEEZNS1_14transform_implILb0ES3_S5_NS0_18transform_iteratorINS0_17counting_iteratorImlEEZNS1_24adjacent_difference_implIS3_Lb1ELb0EPKaPaN6thrust23THRUST_200600_302600_NS4plusIaEEEE10hipError_tPvRmT2_T3_mT4_P12ihipStream_tbEUlmE_aEESD_NS0_8identityIvEEEESI_SL_SM_mSN_SP_bEUlT_E_NS1_11comp_targetILNS1_3genE0ELNS1_11target_archE4294967295ELNS1_3gpuE0ELNS1_3repE0EEENS1_30default_config_static_selectorELNS0_4arch9wavefront6targetE1EEEvT1_,@function
_ZN7rocprim17ROCPRIM_400000_NS6detail17trampoline_kernelINS0_14default_configENS1_25transform_config_selectorIaLb0EEEZNS1_14transform_implILb0ES3_S5_NS0_18transform_iteratorINS0_17counting_iteratorImlEEZNS1_24adjacent_difference_implIS3_Lb1ELb0EPKaPaN6thrust23THRUST_200600_302600_NS4plusIaEEEE10hipError_tPvRmT2_T3_mT4_P12ihipStream_tbEUlmE_aEESD_NS0_8identityIvEEEESI_SL_SM_mSN_SP_bEUlT_E_NS1_11comp_targetILNS1_3genE0ELNS1_11target_archE4294967295ELNS1_3gpuE0ELNS1_3repE0EEENS1_30default_config_static_selectorELNS0_4arch9wavefront6targetE1EEEvT1_: ; @_ZN7rocprim17ROCPRIM_400000_NS6detail17trampoline_kernelINS0_14default_configENS1_25transform_config_selectorIaLb0EEEZNS1_14transform_implILb0ES3_S5_NS0_18transform_iteratorINS0_17counting_iteratorImlEEZNS1_24adjacent_difference_implIS3_Lb1ELb0EPKaPaN6thrust23THRUST_200600_302600_NS4plusIaEEEE10hipError_tPvRmT2_T3_mT4_P12ihipStream_tbEUlmE_aEESD_NS0_8identityIvEEEESI_SL_SM_mSN_SP_bEUlT_E_NS1_11comp_targetILNS1_3genE0ELNS1_11target_archE4294967295ELNS1_3gpuE0ELNS1_3repE0EEENS1_30default_config_static_selectorELNS0_4arch9wavefront6targetE1EEEvT1_
; %bb.0:
	.section	.rodata,"a",@progbits
	.p2align	6, 0x0
	.amdhsa_kernel _ZN7rocprim17ROCPRIM_400000_NS6detail17trampoline_kernelINS0_14default_configENS1_25transform_config_selectorIaLb0EEEZNS1_14transform_implILb0ES3_S5_NS0_18transform_iteratorINS0_17counting_iteratorImlEEZNS1_24adjacent_difference_implIS3_Lb1ELb0EPKaPaN6thrust23THRUST_200600_302600_NS4plusIaEEEE10hipError_tPvRmT2_T3_mT4_P12ihipStream_tbEUlmE_aEESD_NS0_8identityIvEEEESI_SL_SM_mSN_SP_bEUlT_E_NS1_11comp_targetILNS1_3genE0ELNS1_11target_archE4294967295ELNS1_3gpuE0ELNS1_3repE0EEENS1_30default_config_static_selectorELNS0_4arch9wavefront6targetE1EEEvT1_
		.amdhsa_group_segment_fixed_size 0
		.amdhsa_private_segment_fixed_size 0
		.amdhsa_kernarg_size 56
		.amdhsa_user_sgpr_count 6
		.amdhsa_user_sgpr_private_segment_buffer 1
		.amdhsa_user_sgpr_dispatch_ptr 0
		.amdhsa_user_sgpr_queue_ptr 0
		.amdhsa_user_sgpr_kernarg_segment_ptr 1
		.amdhsa_user_sgpr_dispatch_id 0
		.amdhsa_user_sgpr_flat_scratch_init 0
		.amdhsa_user_sgpr_kernarg_preload_length 0
		.amdhsa_user_sgpr_kernarg_preload_offset 0
		.amdhsa_user_sgpr_private_segment_size 0
		.amdhsa_uses_dynamic_stack 0
		.amdhsa_system_sgpr_private_segment_wavefront_offset 0
		.amdhsa_system_sgpr_workgroup_id_x 1
		.amdhsa_system_sgpr_workgroup_id_y 0
		.amdhsa_system_sgpr_workgroup_id_z 0
		.amdhsa_system_sgpr_workgroup_info 0
		.amdhsa_system_vgpr_workitem_id 0
		.amdhsa_next_free_vgpr 1
		.amdhsa_next_free_sgpr 0
		.amdhsa_accum_offset 4
		.amdhsa_reserve_vcc 0
		.amdhsa_reserve_flat_scratch 0
		.amdhsa_float_round_mode_32 0
		.amdhsa_float_round_mode_16_64 0
		.amdhsa_float_denorm_mode_32 3
		.amdhsa_float_denorm_mode_16_64 3
		.amdhsa_dx10_clamp 1
		.amdhsa_ieee_mode 1
		.amdhsa_fp16_overflow 0
		.amdhsa_tg_split 0
		.amdhsa_exception_fp_ieee_invalid_op 0
		.amdhsa_exception_fp_denorm_src 0
		.amdhsa_exception_fp_ieee_div_zero 0
		.amdhsa_exception_fp_ieee_overflow 0
		.amdhsa_exception_fp_ieee_underflow 0
		.amdhsa_exception_fp_ieee_inexact 0
		.amdhsa_exception_int_div_zero 0
	.end_amdhsa_kernel
	.section	.text._ZN7rocprim17ROCPRIM_400000_NS6detail17trampoline_kernelINS0_14default_configENS1_25transform_config_selectorIaLb0EEEZNS1_14transform_implILb0ES3_S5_NS0_18transform_iteratorINS0_17counting_iteratorImlEEZNS1_24adjacent_difference_implIS3_Lb1ELb0EPKaPaN6thrust23THRUST_200600_302600_NS4plusIaEEEE10hipError_tPvRmT2_T3_mT4_P12ihipStream_tbEUlmE_aEESD_NS0_8identityIvEEEESI_SL_SM_mSN_SP_bEUlT_E_NS1_11comp_targetILNS1_3genE0ELNS1_11target_archE4294967295ELNS1_3gpuE0ELNS1_3repE0EEENS1_30default_config_static_selectorELNS0_4arch9wavefront6targetE1EEEvT1_,"axG",@progbits,_ZN7rocprim17ROCPRIM_400000_NS6detail17trampoline_kernelINS0_14default_configENS1_25transform_config_selectorIaLb0EEEZNS1_14transform_implILb0ES3_S5_NS0_18transform_iteratorINS0_17counting_iteratorImlEEZNS1_24adjacent_difference_implIS3_Lb1ELb0EPKaPaN6thrust23THRUST_200600_302600_NS4plusIaEEEE10hipError_tPvRmT2_T3_mT4_P12ihipStream_tbEUlmE_aEESD_NS0_8identityIvEEEESI_SL_SM_mSN_SP_bEUlT_E_NS1_11comp_targetILNS1_3genE0ELNS1_11target_archE4294967295ELNS1_3gpuE0ELNS1_3repE0EEENS1_30default_config_static_selectorELNS0_4arch9wavefront6targetE1EEEvT1_,comdat
.Lfunc_end474:
	.size	_ZN7rocprim17ROCPRIM_400000_NS6detail17trampoline_kernelINS0_14default_configENS1_25transform_config_selectorIaLb0EEEZNS1_14transform_implILb0ES3_S5_NS0_18transform_iteratorINS0_17counting_iteratorImlEEZNS1_24adjacent_difference_implIS3_Lb1ELb0EPKaPaN6thrust23THRUST_200600_302600_NS4plusIaEEEE10hipError_tPvRmT2_T3_mT4_P12ihipStream_tbEUlmE_aEESD_NS0_8identityIvEEEESI_SL_SM_mSN_SP_bEUlT_E_NS1_11comp_targetILNS1_3genE0ELNS1_11target_archE4294967295ELNS1_3gpuE0ELNS1_3repE0EEENS1_30default_config_static_selectorELNS0_4arch9wavefront6targetE1EEEvT1_, .Lfunc_end474-_ZN7rocprim17ROCPRIM_400000_NS6detail17trampoline_kernelINS0_14default_configENS1_25transform_config_selectorIaLb0EEEZNS1_14transform_implILb0ES3_S5_NS0_18transform_iteratorINS0_17counting_iteratorImlEEZNS1_24adjacent_difference_implIS3_Lb1ELb0EPKaPaN6thrust23THRUST_200600_302600_NS4plusIaEEEE10hipError_tPvRmT2_T3_mT4_P12ihipStream_tbEUlmE_aEESD_NS0_8identityIvEEEESI_SL_SM_mSN_SP_bEUlT_E_NS1_11comp_targetILNS1_3genE0ELNS1_11target_archE4294967295ELNS1_3gpuE0ELNS1_3repE0EEENS1_30default_config_static_selectorELNS0_4arch9wavefront6targetE1EEEvT1_
                                        ; -- End function
	.section	.AMDGPU.csdata,"",@progbits
; Kernel info:
; codeLenInByte = 0
; NumSgprs: 4
; NumVgprs: 0
; NumAgprs: 0
; TotalNumVgprs: 0
; ScratchSize: 0
; MemoryBound: 0
; FloatMode: 240
; IeeeMode: 1
; LDSByteSize: 0 bytes/workgroup (compile time only)
; SGPRBlocks: 0
; VGPRBlocks: 0
; NumSGPRsForWavesPerEU: 4
; NumVGPRsForWavesPerEU: 1
; AccumOffset: 4
; Occupancy: 8
; WaveLimiterHint : 0
; COMPUTE_PGM_RSRC2:SCRATCH_EN: 0
; COMPUTE_PGM_RSRC2:USER_SGPR: 6
; COMPUTE_PGM_RSRC2:TRAP_HANDLER: 0
; COMPUTE_PGM_RSRC2:TGID_X_EN: 1
; COMPUTE_PGM_RSRC2:TGID_Y_EN: 0
; COMPUTE_PGM_RSRC2:TGID_Z_EN: 0
; COMPUTE_PGM_RSRC2:TIDIG_COMP_CNT: 0
; COMPUTE_PGM_RSRC3_GFX90A:ACCUM_OFFSET: 0
; COMPUTE_PGM_RSRC3_GFX90A:TG_SPLIT: 0
	.section	.text._ZN7rocprim17ROCPRIM_400000_NS6detail17trampoline_kernelINS0_14default_configENS1_25transform_config_selectorIaLb0EEEZNS1_14transform_implILb0ES3_S5_NS0_18transform_iteratorINS0_17counting_iteratorImlEEZNS1_24adjacent_difference_implIS3_Lb1ELb0EPKaPaN6thrust23THRUST_200600_302600_NS4plusIaEEEE10hipError_tPvRmT2_T3_mT4_P12ihipStream_tbEUlmE_aEESD_NS0_8identityIvEEEESI_SL_SM_mSN_SP_bEUlT_E_NS1_11comp_targetILNS1_3genE5ELNS1_11target_archE942ELNS1_3gpuE9ELNS1_3repE0EEENS1_30default_config_static_selectorELNS0_4arch9wavefront6targetE1EEEvT1_,"axG",@progbits,_ZN7rocprim17ROCPRIM_400000_NS6detail17trampoline_kernelINS0_14default_configENS1_25transform_config_selectorIaLb0EEEZNS1_14transform_implILb0ES3_S5_NS0_18transform_iteratorINS0_17counting_iteratorImlEEZNS1_24adjacent_difference_implIS3_Lb1ELb0EPKaPaN6thrust23THRUST_200600_302600_NS4plusIaEEEE10hipError_tPvRmT2_T3_mT4_P12ihipStream_tbEUlmE_aEESD_NS0_8identityIvEEEESI_SL_SM_mSN_SP_bEUlT_E_NS1_11comp_targetILNS1_3genE5ELNS1_11target_archE942ELNS1_3gpuE9ELNS1_3repE0EEENS1_30default_config_static_selectorELNS0_4arch9wavefront6targetE1EEEvT1_,comdat
	.protected	_ZN7rocprim17ROCPRIM_400000_NS6detail17trampoline_kernelINS0_14default_configENS1_25transform_config_selectorIaLb0EEEZNS1_14transform_implILb0ES3_S5_NS0_18transform_iteratorINS0_17counting_iteratorImlEEZNS1_24adjacent_difference_implIS3_Lb1ELb0EPKaPaN6thrust23THRUST_200600_302600_NS4plusIaEEEE10hipError_tPvRmT2_T3_mT4_P12ihipStream_tbEUlmE_aEESD_NS0_8identityIvEEEESI_SL_SM_mSN_SP_bEUlT_E_NS1_11comp_targetILNS1_3genE5ELNS1_11target_archE942ELNS1_3gpuE9ELNS1_3repE0EEENS1_30default_config_static_selectorELNS0_4arch9wavefront6targetE1EEEvT1_ ; -- Begin function _ZN7rocprim17ROCPRIM_400000_NS6detail17trampoline_kernelINS0_14default_configENS1_25transform_config_selectorIaLb0EEEZNS1_14transform_implILb0ES3_S5_NS0_18transform_iteratorINS0_17counting_iteratorImlEEZNS1_24adjacent_difference_implIS3_Lb1ELb0EPKaPaN6thrust23THRUST_200600_302600_NS4plusIaEEEE10hipError_tPvRmT2_T3_mT4_P12ihipStream_tbEUlmE_aEESD_NS0_8identityIvEEEESI_SL_SM_mSN_SP_bEUlT_E_NS1_11comp_targetILNS1_3genE5ELNS1_11target_archE942ELNS1_3gpuE9ELNS1_3repE0EEENS1_30default_config_static_selectorELNS0_4arch9wavefront6targetE1EEEvT1_
	.globl	_ZN7rocprim17ROCPRIM_400000_NS6detail17trampoline_kernelINS0_14default_configENS1_25transform_config_selectorIaLb0EEEZNS1_14transform_implILb0ES3_S5_NS0_18transform_iteratorINS0_17counting_iteratorImlEEZNS1_24adjacent_difference_implIS3_Lb1ELb0EPKaPaN6thrust23THRUST_200600_302600_NS4plusIaEEEE10hipError_tPvRmT2_T3_mT4_P12ihipStream_tbEUlmE_aEESD_NS0_8identityIvEEEESI_SL_SM_mSN_SP_bEUlT_E_NS1_11comp_targetILNS1_3genE5ELNS1_11target_archE942ELNS1_3gpuE9ELNS1_3repE0EEENS1_30default_config_static_selectorELNS0_4arch9wavefront6targetE1EEEvT1_
	.p2align	8
	.type	_ZN7rocprim17ROCPRIM_400000_NS6detail17trampoline_kernelINS0_14default_configENS1_25transform_config_selectorIaLb0EEEZNS1_14transform_implILb0ES3_S5_NS0_18transform_iteratorINS0_17counting_iteratorImlEEZNS1_24adjacent_difference_implIS3_Lb1ELb0EPKaPaN6thrust23THRUST_200600_302600_NS4plusIaEEEE10hipError_tPvRmT2_T3_mT4_P12ihipStream_tbEUlmE_aEESD_NS0_8identityIvEEEESI_SL_SM_mSN_SP_bEUlT_E_NS1_11comp_targetILNS1_3genE5ELNS1_11target_archE942ELNS1_3gpuE9ELNS1_3repE0EEENS1_30default_config_static_selectorELNS0_4arch9wavefront6targetE1EEEvT1_,@function
_ZN7rocprim17ROCPRIM_400000_NS6detail17trampoline_kernelINS0_14default_configENS1_25transform_config_selectorIaLb0EEEZNS1_14transform_implILb0ES3_S5_NS0_18transform_iteratorINS0_17counting_iteratorImlEEZNS1_24adjacent_difference_implIS3_Lb1ELb0EPKaPaN6thrust23THRUST_200600_302600_NS4plusIaEEEE10hipError_tPvRmT2_T3_mT4_P12ihipStream_tbEUlmE_aEESD_NS0_8identityIvEEEESI_SL_SM_mSN_SP_bEUlT_E_NS1_11comp_targetILNS1_3genE5ELNS1_11target_archE942ELNS1_3gpuE9ELNS1_3repE0EEENS1_30default_config_static_selectorELNS0_4arch9wavefront6targetE1EEEvT1_: ; @_ZN7rocprim17ROCPRIM_400000_NS6detail17trampoline_kernelINS0_14default_configENS1_25transform_config_selectorIaLb0EEEZNS1_14transform_implILb0ES3_S5_NS0_18transform_iteratorINS0_17counting_iteratorImlEEZNS1_24adjacent_difference_implIS3_Lb1ELb0EPKaPaN6thrust23THRUST_200600_302600_NS4plusIaEEEE10hipError_tPvRmT2_T3_mT4_P12ihipStream_tbEUlmE_aEESD_NS0_8identityIvEEEESI_SL_SM_mSN_SP_bEUlT_E_NS1_11comp_targetILNS1_3genE5ELNS1_11target_archE942ELNS1_3gpuE9ELNS1_3repE0EEENS1_30default_config_static_selectorELNS0_4arch9wavefront6targetE1EEEvT1_
; %bb.0:
	.section	.rodata,"a",@progbits
	.p2align	6, 0x0
	.amdhsa_kernel _ZN7rocprim17ROCPRIM_400000_NS6detail17trampoline_kernelINS0_14default_configENS1_25transform_config_selectorIaLb0EEEZNS1_14transform_implILb0ES3_S5_NS0_18transform_iteratorINS0_17counting_iteratorImlEEZNS1_24adjacent_difference_implIS3_Lb1ELb0EPKaPaN6thrust23THRUST_200600_302600_NS4plusIaEEEE10hipError_tPvRmT2_T3_mT4_P12ihipStream_tbEUlmE_aEESD_NS0_8identityIvEEEESI_SL_SM_mSN_SP_bEUlT_E_NS1_11comp_targetILNS1_3genE5ELNS1_11target_archE942ELNS1_3gpuE9ELNS1_3repE0EEENS1_30default_config_static_selectorELNS0_4arch9wavefront6targetE1EEEvT1_
		.amdhsa_group_segment_fixed_size 0
		.amdhsa_private_segment_fixed_size 0
		.amdhsa_kernarg_size 56
		.amdhsa_user_sgpr_count 6
		.amdhsa_user_sgpr_private_segment_buffer 1
		.amdhsa_user_sgpr_dispatch_ptr 0
		.amdhsa_user_sgpr_queue_ptr 0
		.amdhsa_user_sgpr_kernarg_segment_ptr 1
		.amdhsa_user_sgpr_dispatch_id 0
		.amdhsa_user_sgpr_flat_scratch_init 0
		.amdhsa_user_sgpr_kernarg_preload_length 0
		.amdhsa_user_sgpr_kernarg_preload_offset 0
		.amdhsa_user_sgpr_private_segment_size 0
		.amdhsa_uses_dynamic_stack 0
		.amdhsa_system_sgpr_private_segment_wavefront_offset 0
		.amdhsa_system_sgpr_workgroup_id_x 1
		.amdhsa_system_sgpr_workgroup_id_y 0
		.amdhsa_system_sgpr_workgroup_id_z 0
		.amdhsa_system_sgpr_workgroup_info 0
		.amdhsa_system_vgpr_workitem_id 0
		.amdhsa_next_free_vgpr 1
		.amdhsa_next_free_sgpr 0
		.amdhsa_accum_offset 4
		.amdhsa_reserve_vcc 0
		.amdhsa_reserve_flat_scratch 0
		.amdhsa_float_round_mode_32 0
		.amdhsa_float_round_mode_16_64 0
		.amdhsa_float_denorm_mode_32 3
		.amdhsa_float_denorm_mode_16_64 3
		.amdhsa_dx10_clamp 1
		.amdhsa_ieee_mode 1
		.amdhsa_fp16_overflow 0
		.amdhsa_tg_split 0
		.amdhsa_exception_fp_ieee_invalid_op 0
		.amdhsa_exception_fp_denorm_src 0
		.amdhsa_exception_fp_ieee_div_zero 0
		.amdhsa_exception_fp_ieee_overflow 0
		.amdhsa_exception_fp_ieee_underflow 0
		.amdhsa_exception_fp_ieee_inexact 0
		.amdhsa_exception_int_div_zero 0
	.end_amdhsa_kernel
	.section	.text._ZN7rocprim17ROCPRIM_400000_NS6detail17trampoline_kernelINS0_14default_configENS1_25transform_config_selectorIaLb0EEEZNS1_14transform_implILb0ES3_S5_NS0_18transform_iteratorINS0_17counting_iteratorImlEEZNS1_24adjacent_difference_implIS3_Lb1ELb0EPKaPaN6thrust23THRUST_200600_302600_NS4plusIaEEEE10hipError_tPvRmT2_T3_mT4_P12ihipStream_tbEUlmE_aEESD_NS0_8identityIvEEEESI_SL_SM_mSN_SP_bEUlT_E_NS1_11comp_targetILNS1_3genE5ELNS1_11target_archE942ELNS1_3gpuE9ELNS1_3repE0EEENS1_30default_config_static_selectorELNS0_4arch9wavefront6targetE1EEEvT1_,"axG",@progbits,_ZN7rocprim17ROCPRIM_400000_NS6detail17trampoline_kernelINS0_14default_configENS1_25transform_config_selectorIaLb0EEEZNS1_14transform_implILb0ES3_S5_NS0_18transform_iteratorINS0_17counting_iteratorImlEEZNS1_24adjacent_difference_implIS3_Lb1ELb0EPKaPaN6thrust23THRUST_200600_302600_NS4plusIaEEEE10hipError_tPvRmT2_T3_mT4_P12ihipStream_tbEUlmE_aEESD_NS0_8identityIvEEEESI_SL_SM_mSN_SP_bEUlT_E_NS1_11comp_targetILNS1_3genE5ELNS1_11target_archE942ELNS1_3gpuE9ELNS1_3repE0EEENS1_30default_config_static_selectorELNS0_4arch9wavefront6targetE1EEEvT1_,comdat
.Lfunc_end475:
	.size	_ZN7rocprim17ROCPRIM_400000_NS6detail17trampoline_kernelINS0_14default_configENS1_25transform_config_selectorIaLb0EEEZNS1_14transform_implILb0ES3_S5_NS0_18transform_iteratorINS0_17counting_iteratorImlEEZNS1_24adjacent_difference_implIS3_Lb1ELb0EPKaPaN6thrust23THRUST_200600_302600_NS4plusIaEEEE10hipError_tPvRmT2_T3_mT4_P12ihipStream_tbEUlmE_aEESD_NS0_8identityIvEEEESI_SL_SM_mSN_SP_bEUlT_E_NS1_11comp_targetILNS1_3genE5ELNS1_11target_archE942ELNS1_3gpuE9ELNS1_3repE0EEENS1_30default_config_static_selectorELNS0_4arch9wavefront6targetE1EEEvT1_, .Lfunc_end475-_ZN7rocprim17ROCPRIM_400000_NS6detail17trampoline_kernelINS0_14default_configENS1_25transform_config_selectorIaLb0EEEZNS1_14transform_implILb0ES3_S5_NS0_18transform_iteratorINS0_17counting_iteratorImlEEZNS1_24adjacent_difference_implIS3_Lb1ELb0EPKaPaN6thrust23THRUST_200600_302600_NS4plusIaEEEE10hipError_tPvRmT2_T3_mT4_P12ihipStream_tbEUlmE_aEESD_NS0_8identityIvEEEESI_SL_SM_mSN_SP_bEUlT_E_NS1_11comp_targetILNS1_3genE5ELNS1_11target_archE942ELNS1_3gpuE9ELNS1_3repE0EEENS1_30default_config_static_selectorELNS0_4arch9wavefront6targetE1EEEvT1_
                                        ; -- End function
	.section	.AMDGPU.csdata,"",@progbits
; Kernel info:
; codeLenInByte = 0
; NumSgprs: 4
; NumVgprs: 0
; NumAgprs: 0
; TotalNumVgprs: 0
; ScratchSize: 0
; MemoryBound: 0
; FloatMode: 240
; IeeeMode: 1
; LDSByteSize: 0 bytes/workgroup (compile time only)
; SGPRBlocks: 0
; VGPRBlocks: 0
; NumSGPRsForWavesPerEU: 4
; NumVGPRsForWavesPerEU: 1
; AccumOffset: 4
; Occupancy: 8
; WaveLimiterHint : 0
; COMPUTE_PGM_RSRC2:SCRATCH_EN: 0
; COMPUTE_PGM_RSRC2:USER_SGPR: 6
; COMPUTE_PGM_RSRC2:TRAP_HANDLER: 0
; COMPUTE_PGM_RSRC2:TGID_X_EN: 1
; COMPUTE_PGM_RSRC2:TGID_Y_EN: 0
; COMPUTE_PGM_RSRC2:TGID_Z_EN: 0
; COMPUTE_PGM_RSRC2:TIDIG_COMP_CNT: 0
; COMPUTE_PGM_RSRC3_GFX90A:ACCUM_OFFSET: 0
; COMPUTE_PGM_RSRC3_GFX90A:TG_SPLIT: 0
	.section	.text._ZN7rocprim17ROCPRIM_400000_NS6detail17trampoline_kernelINS0_14default_configENS1_25transform_config_selectorIaLb0EEEZNS1_14transform_implILb0ES3_S5_NS0_18transform_iteratorINS0_17counting_iteratorImlEEZNS1_24adjacent_difference_implIS3_Lb1ELb0EPKaPaN6thrust23THRUST_200600_302600_NS4plusIaEEEE10hipError_tPvRmT2_T3_mT4_P12ihipStream_tbEUlmE_aEESD_NS0_8identityIvEEEESI_SL_SM_mSN_SP_bEUlT_E_NS1_11comp_targetILNS1_3genE4ELNS1_11target_archE910ELNS1_3gpuE8ELNS1_3repE0EEENS1_30default_config_static_selectorELNS0_4arch9wavefront6targetE1EEEvT1_,"axG",@progbits,_ZN7rocprim17ROCPRIM_400000_NS6detail17trampoline_kernelINS0_14default_configENS1_25transform_config_selectorIaLb0EEEZNS1_14transform_implILb0ES3_S5_NS0_18transform_iteratorINS0_17counting_iteratorImlEEZNS1_24adjacent_difference_implIS3_Lb1ELb0EPKaPaN6thrust23THRUST_200600_302600_NS4plusIaEEEE10hipError_tPvRmT2_T3_mT4_P12ihipStream_tbEUlmE_aEESD_NS0_8identityIvEEEESI_SL_SM_mSN_SP_bEUlT_E_NS1_11comp_targetILNS1_3genE4ELNS1_11target_archE910ELNS1_3gpuE8ELNS1_3repE0EEENS1_30default_config_static_selectorELNS0_4arch9wavefront6targetE1EEEvT1_,comdat
	.protected	_ZN7rocprim17ROCPRIM_400000_NS6detail17trampoline_kernelINS0_14default_configENS1_25transform_config_selectorIaLb0EEEZNS1_14transform_implILb0ES3_S5_NS0_18transform_iteratorINS0_17counting_iteratorImlEEZNS1_24adjacent_difference_implIS3_Lb1ELb0EPKaPaN6thrust23THRUST_200600_302600_NS4plusIaEEEE10hipError_tPvRmT2_T3_mT4_P12ihipStream_tbEUlmE_aEESD_NS0_8identityIvEEEESI_SL_SM_mSN_SP_bEUlT_E_NS1_11comp_targetILNS1_3genE4ELNS1_11target_archE910ELNS1_3gpuE8ELNS1_3repE0EEENS1_30default_config_static_selectorELNS0_4arch9wavefront6targetE1EEEvT1_ ; -- Begin function _ZN7rocprim17ROCPRIM_400000_NS6detail17trampoline_kernelINS0_14default_configENS1_25transform_config_selectorIaLb0EEEZNS1_14transform_implILb0ES3_S5_NS0_18transform_iteratorINS0_17counting_iteratorImlEEZNS1_24adjacent_difference_implIS3_Lb1ELb0EPKaPaN6thrust23THRUST_200600_302600_NS4plusIaEEEE10hipError_tPvRmT2_T3_mT4_P12ihipStream_tbEUlmE_aEESD_NS0_8identityIvEEEESI_SL_SM_mSN_SP_bEUlT_E_NS1_11comp_targetILNS1_3genE4ELNS1_11target_archE910ELNS1_3gpuE8ELNS1_3repE0EEENS1_30default_config_static_selectorELNS0_4arch9wavefront6targetE1EEEvT1_
	.globl	_ZN7rocprim17ROCPRIM_400000_NS6detail17trampoline_kernelINS0_14default_configENS1_25transform_config_selectorIaLb0EEEZNS1_14transform_implILb0ES3_S5_NS0_18transform_iteratorINS0_17counting_iteratorImlEEZNS1_24adjacent_difference_implIS3_Lb1ELb0EPKaPaN6thrust23THRUST_200600_302600_NS4plusIaEEEE10hipError_tPvRmT2_T3_mT4_P12ihipStream_tbEUlmE_aEESD_NS0_8identityIvEEEESI_SL_SM_mSN_SP_bEUlT_E_NS1_11comp_targetILNS1_3genE4ELNS1_11target_archE910ELNS1_3gpuE8ELNS1_3repE0EEENS1_30default_config_static_selectorELNS0_4arch9wavefront6targetE1EEEvT1_
	.p2align	8
	.type	_ZN7rocprim17ROCPRIM_400000_NS6detail17trampoline_kernelINS0_14default_configENS1_25transform_config_selectorIaLb0EEEZNS1_14transform_implILb0ES3_S5_NS0_18transform_iteratorINS0_17counting_iteratorImlEEZNS1_24adjacent_difference_implIS3_Lb1ELb0EPKaPaN6thrust23THRUST_200600_302600_NS4plusIaEEEE10hipError_tPvRmT2_T3_mT4_P12ihipStream_tbEUlmE_aEESD_NS0_8identityIvEEEESI_SL_SM_mSN_SP_bEUlT_E_NS1_11comp_targetILNS1_3genE4ELNS1_11target_archE910ELNS1_3gpuE8ELNS1_3repE0EEENS1_30default_config_static_selectorELNS0_4arch9wavefront6targetE1EEEvT1_,@function
_ZN7rocprim17ROCPRIM_400000_NS6detail17trampoline_kernelINS0_14default_configENS1_25transform_config_selectorIaLb0EEEZNS1_14transform_implILb0ES3_S5_NS0_18transform_iteratorINS0_17counting_iteratorImlEEZNS1_24adjacent_difference_implIS3_Lb1ELb0EPKaPaN6thrust23THRUST_200600_302600_NS4plusIaEEEE10hipError_tPvRmT2_T3_mT4_P12ihipStream_tbEUlmE_aEESD_NS0_8identityIvEEEESI_SL_SM_mSN_SP_bEUlT_E_NS1_11comp_targetILNS1_3genE4ELNS1_11target_archE910ELNS1_3gpuE8ELNS1_3repE0EEENS1_30default_config_static_selectorELNS0_4arch9wavefront6targetE1EEEvT1_: ; @_ZN7rocprim17ROCPRIM_400000_NS6detail17trampoline_kernelINS0_14default_configENS1_25transform_config_selectorIaLb0EEEZNS1_14transform_implILb0ES3_S5_NS0_18transform_iteratorINS0_17counting_iteratorImlEEZNS1_24adjacent_difference_implIS3_Lb1ELb0EPKaPaN6thrust23THRUST_200600_302600_NS4plusIaEEEE10hipError_tPvRmT2_T3_mT4_P12ihipStream_tbEUlmE_aEESD_NS0_8identityIvEEEESI_SL_SM_mSN_SP_bEUlT_E_NS1_11comp_targetILNS1_3genE4ELNS1_11target_archE910ELNS1_3gpuE8ELNS1_3repE0EEENS1_30default_config_static_selectorELNS0_4arch9wavefront6targetE1EEEvT1_
; %bb.0:
	s_load_dwordx4 s[0:3], s[4:5], 0x18
	s_load_dwordx2 s[8:9], s[4:5], 0x28
	s_waitcnt lgkmcnt(0)
	s_load_dword s3, s[4:5], 0x38
	s_load_dwordx4 s[36:39], s[4:5], 0x0
	s_load_dword s40, s[4:5], 0x10
	s_mov_b32 s41, 0
	s_add_u32 s33, s8, s0
	s_addc_u32 s42, s9, s1
	s_lshl_b32 s43, s6, 10
	s_waitcnt lgkmcnt(0)
	s_add_i32 s3, s3, -1
	s_add_u32 s4, s36, s43
	s_addc_u32 s5, s37, 0
	s_add_u32 s44, s4, s0
	s_addc_u32 s45, s5, s1
	s_cmp_lg_u32 s6, s3
	s_cbranch_scc0 .LBB476_2
; %bb.1:
	v_add_co_u32_e32 v4, vcc, s44, v0
	v_pk_mov_b32 v[2:3], s[38:39], s[38:39] op_sel:[0,1]
	v_mov_b32_e32 v1, s45
	v_mad_u64_u32 v[2:3], s[0:1], v4, s40, v[2:3]
	v_addc_co_u32_e32 v1, vcc, 0, v1, vcc
	v_mov_b32_e32 v4, v3
	v_mad_u64_u32 v[4:5], s[0:1], v1, s40, v[4:5]
	v_mov_b32_e32 v3, v4
	s_lshl_b64 s[0:1], s[40:41], 6
	global_load_ubyte v1, v[2:3], off
	v_mov_b32_e32 v10, s1
	v_add_co_u32_e32 v2, vcc, s0, v2
	v_addc_co_u32_e32 v3, vcc, v3, v10, vcc
	v_add_co_u32_e32 v4, vcc, s0, v2
	v_addc_co_u32_e32 v5, vcc, v3, v10, vcc
	v_add_co_u32_e32 v6, vcc, s0, v4
	v_addc_co_u32_e32 v7, vcc, v5, v10, vcc
	v_add_co_u32_e32 v8, vcc, s0, v6
	v_addc_co_u32_e32 v9, vcc, v7, v10, vcc
	global_load_ubyte v11, v[2:3], off
	global_load_ubyte v12, v[4:5], off
	;; [unrolled: 1-line block ×4, first 2 shown]
	v_add_co_u32_e32 v2, vcc, s0, v8
	v_addc_co_u32_e32 v3, vcc, v9, v10, vcc
	global_load_ubyte v5, v[2:3], off
	v_add_co_u32_e32 v2, vcc, s0, v2
	v_addc_co_u32_e32 v3, vcc, v3, v10, vcc
	global_load_ubyte v6, v[2:3], off
	;; [unrolled: 3-line block ×11, first 2 shown]
	s_add_u32 s0, s33, s43
	s_addc_u32 s1, s42, 0
	v_mov_b32_e32 v3, s1
	v_add_co_u32_e32 v2, vcc, s0, v0
	v_addc_co_u32_e32 v3, vcc, 0, v3, vcc
	s_mov_b64 s[34:35], -1
	s_waitcnt vmcnt(15)
	global_store_byte v0, v1, s[0:1]
	s_waitcnt vmcnt(15)
	global_store_byte v0, v11, s[0:1] offset:64
	s_waitcnt vmcnt(15)
	global_store_byte v0, v12, s[0:1] offset:128
	;; [unrolled: 2-line block ×14, first 2 shown]
	s_cbranch_execz .LBB476_3
	s_branch .LBB476_68
.LBB476_2:
	s_mov_b64 s[34:35], 0
                                        ; implicit-def: $vgpr4
                                        ; implicit-def: $vgpr2_vgpr3
.LBB476_3:
	s_sub_i32 s36, s2, s43
	v_cmp_gt_u32_e32 vcc, s36, v0
                                        ; implicit-def: $vgpr1
	s_and_saveexec_b64 s[2:3], vcc
	s_cbranch_execz .LBB476_5
; %bb.4:
	v_mov_b32_e32 v1, s45
	s_waitcnt vmcnt(15)
	v_add_co_u32_e64 v4, s[0:1], s44, v0
	v_pk_mov_b32 v[2:3], s[38:39], s[38:39] op_sel:[0,1]
	v_addc_co_u32_e64 v1, s[0:1], 0, v1, s[0:1]
	v_mad_u64_u32 v[2:3], s[0:1], v4, s40, v[2:3]
	v_mov_b32_e32 v4, v3
	v_mad_u64_u32 v[4:5], s[0:1], v1, s40, v[4:5]
	v_mov_b32_e32 v3, v4
	global_load_ubyte v1, v[2:3], off
.LBB476_5:
	s_or_b64 exec, exec, s[2:3]
	v_or_b32_e32 v3, 64, v0
	v_cmp_gt_u32_e64 s[0:1], s36, v3
                                        ; implicit-def: $vgpr2
	s_and_saveexec_b64 s[4:5], s[0:1]
	s_cbranch_execz .LBB476_7
; %bb.6:
	v_mov_b32_e32 v2, s45
	s_waitcnt vmcnt(15)
	v_add_co_u32_e64 v4, s[2:3], s44, v3
	v_addc_co_u32_e64 v5, s[2:3], 0, v2, s[2:3]
	v_pk_mov_b32 v[2:3], s[38:39], s[38:39] op_sel:[0,1]
	v_mad_u64_u32 v[2:3], s[2:3], v4, s40, v[2:3]
	v_mov_b32_e32 v4, v3
	v_mad_u64_u32 v[4:5], s[2:3], v5, s40, v[4:5]
	v_mov_b32_e32 v3, v4
	global_load_ubyte v2, v[2:3], off
.LBB476_7:
	s_or_b64 exec, exec, s[4:5]
	s_waitcnt vmcnt(15)
	v_or_b32_e32 v4, 0x80, v0
	v_cmp_gt_u32_e64 s[2:3], s36, v4
                                        ; implicit-def: $vgpr3
	s_and_saveexec_b64 s[6:7], s[2:3]
	s_cbranch_execz .LBB476_9
; %bb.8:
	v_mov_b32_e32 v3, s45
	v_add_co_u32_e64 v6, s[4:5], s44, v4
	v_pk_mov_b32 v[4:5], s[38:39], s[38:39] op_sel:[0,1]
	v_addc_co_u32_e64 v3, s[4:5], 0, v3, s[4:5]
	v_mad_u64_u32 v[4:5], s[4:5], v6, s40, v[4:5]
	v_mov_b32_e32 v6, v5
	v_mad_u64_u32 v[6:7], s[4:5], v3, s40, v[6:7]
	v_mov_b32_e32 v5, v6
	global_load_ubyte v3, v[4:5], off
.LBB476_9:
	s_or_b64 exec, exec, s[6:7]
	v_or_b32_e32 v5, 0xc0, v0
	v_cmp_gt_u32_e64 s[4:5], s36, v5
                                        ; implicit-def: $vgpr4
	s_and_saveexec_b64 s[8:9], s[4:5]
	s_cbranch_execz .LBB476_11
; %bb.10:
	v_mov_b32_e32 v4, s45
	v_add_co_u32_e64 v6, s[6:7], s44, v5
	v_addc_co_u32_e64 v7, s[6:7], 0, v4, s[6:7]
	v_pk_mov_b32 v[4:5], s[38:39], s[38:39] op_sel:[0,1]
	v_mad_u64_u32 v[4:5], s[6:7], v6, s40, v[4:5]
	v_mov_b32_e32 v6, v5
	v_mad_u64_u32 v[6:7], s[6:7], v7, s40, v[6:7]
	v_mov_b32_e32 v5, v6
	global_load_ubyte v4, v[4:5], off
.LBB476_11:
	s_or_b64 exec, exec, s[8:9]
	v_or_b32_e32 v6, 0x100, v0
	v_cmp_gt_u32_e64 s[6:7], s36, v6
                                        ; implicit-def: $vgpr5
	s_and_saveexec_b64 s[10:11], s[6:7]
	s_cbranch_execz .LBB476_13
; %bb.12:
	v_mov_b32_e32 v5, s45
	v_add_co_u32_e64 v8, s[8:9], s44, v6
	v_pk_mov_b32 v[6:7], s[38:39], s[38:39] op_sel:[0,1]
	v_addc_co_u32_e64 v5, s[8:9], 0, v5, s[8:9]
	v_mad_u64_u32 v[6:7], s[8:9], v8, s40, v[6:7]
	v_mov_b32_e32 v8, v7
	v_mad_u64_u32 v[8:9], s[8:9], v5, s40, v[8:9]
	v_mov_b32_e32 v7, v8
	global_load_ubyte v5, v[6:7], off
.LBB476_13:
	s_or_b64 exec, exec, s[10:11]
	v_or_b32_e32 v7, 0x140, v0
	v_cmp_gt_u32_e64 s[8:9], s36, v7
                                        ; implicit-def: $vgpr6
	s_and_saveexec_b64 s[12:13], s[8:9]
	s_cbranch_execz .LBB476_15
; %bb.14:
	v_mov_b32_e32 v6, s45
	v_add_co_u32_e64 v8, s[10:11], s44, v7
	v_addc_co_u32_e64 v9, s[10:11], 0, v6, s[10:11]
	v_pk_mov_b32 v[6:7], s[38:39], s[38:39] op_sel:[0,1]
	v_mad_u64_u32 v[6:7], s[10:11], v8, s40, v[6:7]
	v_mov_b32_e32 v8, v7
	v_mad_u64_u32 v[8:9], s[10:11], v9, s40, v[8:9]
	v_mov_b32_e32 v7, v8
	global_load_ubyte v6, v[6:7], off
.LBB476_15:
	s_or_b64 exec, exec, s[12:13]
	v_or_b32_e32 v8, 0x180, v0
	v_cmp_gt_u32_e64 s[10:11], s36, v8
                                        ; implicit-def: $vgpr7
	s_and_saveexec_b64 s[14:15], s[10:11]
	s_cbranch_execz .LBB476_17
; %bb.16:
	v_mov_b32_e32 v7, s45
	v_add_co_u32_e64 v10, s[12:13], s44, v8
	v_pk_mov_b32 v[8:9], s[38:39], s[38:39] op_sel:[0,1]
	v_addc_co_u32_e64 v7, s[12:13], 0, v7, s[12:13]
	v_mad_u64_u32 v[8:9], s[12:13], v10, s40, v[8:9]
	v_mov_b32_e32 v10, v9
	v_mad_u64_u32 v[10:11], s[12:13], v7, s40, v[10:11]
	v_mov_b32_e32 v9, v10
	global_load_ubyte v7, v[8:9], off
.LBB476_17:
	s_or_b64 exec, exec, s[14:15]
	v_or_b32_e32 v9, 0x1c0, v0
	v_cmp_gt_u32_e64 s[12:13], s36, v9
                                        ; implicit-def: $vgpr8
	s_and_saveexec_b64 s[16:17], s[12:13]
	s_cbranch_execz .LBB476_19
; %bb.18:
	v_mov_b32_e32 v8, s45
	v_add_co_u32_e64 v10, s[14:15], s44, v9
	v_addc_co_u32_e64 v11, s[14:15], 0, v8, s[14:15]
	v_pk_mov_b32 v[8:9], s[38:39], s[38:39] op_sel:[0,1]
	v_mad_u64_u32 v[8:9], s[14:15], v10, s40, v[8:9]
	v_mov_b32_e32 v10, v9
	v_mad_u64_u32 v[10:11], s[14:15], v11, s40, v[10:11]
	v_mov_b32_e32 v9, v10
	global_load_ubyte v8, v[8:9], off
.LBB476_19:
	s_or_b64 exec, exec, s[16:17]
	v_or_b32_e32 v10, 0x200, v0
	v_cmp_gt_u32_e64 s[14:15], s36, v10
                                        ; implicit-def: $vgpr9
	s_and_saveexec_b64 s[18:19], s[14:15]
	s_cbranch_execz .LBB476_21
; %bb.20:
	v_mov_b32_e32 v9, s45
	v_add_co_u32_e64 v12, s[16:17], s44, v10
	v_pk_mov_b32 v[10:11], s[38:39], s[38:39] op_sel:[0,1]
	v_addc_co_u32_e64 v9, s[16:17], 0, v9, s[16:17]
	v_mad_u64_u32 v[10:11], s[16:17], v12, s40, v[10:11]
	v_mov_b32_e32 v12, v11
	v_mad_u64_u32 v[12:13], s[16:17], v9, s40, v[12:13]
	v_mov_b32_e32 v11, v12
	global_load_ubyte v9, v[10:11], off
.LBB476_21:
	s_or_b64 exec, exec, s[18:19]
	v_or_b32_e32 v11, 0x240, v0
	v_cmp_gt_u32_e64 s[16:17], s36, v11
                                        ; implicit-def: $vgpr10
	s_and_saveexec_b64 s[20:21], s[16:17]
	s_cbranch_execz .LBB476_23
; %bb.22:
	v_mov_b32_e32 v10, s45
	v_add_co_u32_e64 v12, s[18:19], s44, v11
	v_addc_co_u32_e64 v13, s[18:19], 0, v10, s[18:19]
	v_pk_mov_b32 v[10:11], s[38:39], s[38:39] op_sel:[0,1]
	v_mad_u64_u32 v[10:11], s[18:19], v12, s40, v[10:11]
	v_mov_b32_e32 v12, v11
	v_mad_u64_u32 v[12:13], s[18:19], v13, s40, v[12:13]
	v_mov_b32_e32 v11, v12
	global_load_ubyte v10, v[10:11], off
.LBB476_23:
	s_or_b64 exec, exec, s[20:21]
	v_or_b32_e32 v12, 0x280, v0
	v_cmp_gt_u32_e64 s[18:19], s36, v12
                                        ; implicit-def: $vgpr11
	s_and_saveexec_b64 s[22:23], s[18:19]
	s_cbranch_execz .LBB476_25
; %bb.24:
	v_mov_b32_e32 v11, s45
	v_add_co_u32_e64 v14, s[20:21], s44, v12
	v_pk_mov_b32 v[12:13], s[38:39], s[38:39] op_sel:[0,1]
	v_addc_co_u32_e64 v11, s[20:21], 0, v11, s[20:21]
	v_mad_u64_u32 v[12:13], s[20:21], v14, s40, v[12:13]
	v_mov_b32_e32 v14, v13
	v_mad_u64_u32 v[14:15], s[20:21], v11, s40, v[14:15]
	v_mov_b32_e32 v13, v14
	global_load_ubyte v11, v[12:13], off
.LBB476_25:
	s_or_b64 exec, exec, s[22:23]
	v_or_b32_e32 v13, 0x2c0, v0
	v_cmp_gt_u32_e64 s[20:21], s36, v13
                                        ; implicit-def: $vgpr12
	s_and_saveexec_b64 s[24:25], s[20:21]
	s_cbranch_execz .LBB476_27
; %bb.26:
	v_mov_b32_e32 v12, s45
	v_add_co_u32_e64 v14, s[22:23], s44, v13
	v_addc_co_u32_e64 v15, s[22:23], 0, v12, s[22:23]
	v_pk_mov_b32 v[12:13], s[38:39], s[38:39] op_sel:[0,1]
	v_mad_u64_u32 v[12:13], s[22:23], v14, s40, v[12:13]
	v_mov_b32_e32 v14, v13
	v_mad_u64_u32 v[14:15], s[22:23], v15, s40, v[14:15]
	v_mov_b32_e32 v13, v14
	global_load_ubyte v12, v[12:13], off
.LBB476_27:
	s_or_b64 exec, exec, s[24:25]
	v_or_b32_e32 v14, 0x300, v0
	v_cmp_gt_u32_e64 s[22:23], s36, v14
                                        ; implicit-def: $vgpr13
	s_and_saveexec_b64 s[26:27], s[22:23]
	s_cbranch_execz .LBB476_29
; %bb.28:
	v_mov_b32_e32 v13, s45
	v_add_co_u32_e64 v16, s[24:25], s44, v14
	v_pk_mov_b32 v[14:15], s[38:39], s[38:39] op_sel:[0,1]
	v_addc_co_u32_e64 v13, s[24:25], 0, v13, s[24:25]
	v_mad_u64_u32 v[14:15], s[24:25], v16, s40, v[14:15]
	v_mov_b32_e32 v16, v15
	v_mad_u64_u32 v[16:17], s[24:25], v13, s40, v[16:17]
	v_mov_b32_e32 v15, v16
	global_load_ubyte v13, v[14:15], off
.LBB476_29:
	s_or_b64 exec, exec, s[26:27]
	v_or_b32_e32 v15, 0x340, v0
	v_cmp_gt_u32_e64 s[24:25], s36, v15
                                        ; implicit-def: $vgpr14
	s_and_saveexec_b64 s[28:29], s[24:25]
	s_cbranch_execz .LBB476_31
; %bb.30:
	v_mov_b32_e32 v14, s45
	v_add_co_u32_e64 v16, s[26:27], s44, v15
	v_addc_co_u32_e64 v17, s[26:27], 0, v14, s[26:27]
	v_pk_mov_b32 v[14:15], s[38:39], s[38:39] op_sel:[0,1]
	v_mad_u64_u32 v[14:15], s[26:27], v16, s40, v[14:15]
	v_mov_b32_e32 v16, v15
	v_mad_u64_u32 v[16:17], s[26:27], v17, s40, v[16:17]
	v_mov_b32_e32 v15, v16
	global_load_ubyte v14, v[14:15], off
.LBB476_31:
	s_or_b64 exec, exec, s[28:29]
	v_or_b32_e32 v16, 0x380, v0
	v_cmp_gt_u32_e64 s[26:27], s36, v16
                                        ; implicit-def: $vgpr15
	s_and_saveexec_b64 s[30:31], s[26:27]
	s_cbranch_execz .LBB476_33
; %bb.32:
	v_mov_b32_e32 v15, s45
	v_add_co_u32_e64 v18, s[28:29], s44, v16
	v_pk_mov_b32 v[16:17], s[38:39], s[38:39] op_sel:[0,1]
	v_addc_co_u32_e64 v15, s[28:29], 0, v15, s[28:29]
	v_mad_u64_u32 v[16:17], s[28:29], v18, s40, v[16:17]
	v_mov_b32_e32 v18, v17
	v_mad_u64_u32 v[18:19], s[28:29], v15, s40, v[18:19]
	v_mov_b32_e32 v17, v18
	global_load_ubyte v15, v[16:17], off
.LBB476_33:
	s_or_b64 exec, exec, s[30:31]
	v_or_b32_e32 v17, 0x3c0, v0
	v_cmp_gt_u32_e64 s[28:29], s36, v17
                                        ; implicit-def: $vgpr16
	s_and_saveexec_b64 s[36:37], s[28:29]
	s_cbranch_execz .LBB476_35
; %bb.34:
	v_mov_b32_e32 v16, s45
	v_add_co_u32_e64 v18, s[30:31], s44, v17
	v_addc_co_u32_e64 v19, s[30:31], 0, v16, s[30:31]
	v_pk_mov_b32 v[16:17], s[38:39], s[38:39] op_sel:[0,1]
	v_mad_u64_u32 v[16:17], s[30:31], v18, s40, v[16:17]
	v_mov_b32_e32 v18, v17
	v_mad_u64_u32 v[18:19], s[30:31], v19, s40, v[18:19]
	v_mov_b32_e32 v17, v18
	global_load_ubyte v16, v[16:17], off
.LBB476_35:
	s_or_b64 exec, exec, s[36:37]
	s_waitcnt vmcnt(0)
	v_lshlrev_b16_e32 v2, 8, v2
	v_or_b32_sdwa v1, v1, v2 dst_sel:DWORD dst_unused:UNUSED_PAD src0_sel:BYTE_0 src1_sel:DWORD
	v_lshlrev_b16_e32 v2, 8, v4
	v_or_b32_sdwa v2, v3, v2 dst_sel:WORD_1 dst_unused:UNUSED_PAD src0_sel:BYTE_0 src1_sel:DWORD
	v_or_b32_sdwa v17, v1, v2 dst_sel:DWORD dst_unused:UNUSED_PAD src0_sel:WORD_0 src1_sel:DWORD
	v_lshlrev_b16_e32 v1, 8, v6
	v_lshlrev_b16_e32 v2, 8, v8
	v_or_b32_sdwa v1, v5, v1 dst_sel:DWORD dst_unused:UNUSED_PAD src0_sel:BYTE_0 src1_sel:DWORD
	v_or_b32_sdwa v2, v7, v2 dst_sel:WORD_1 dst_unused:UNUSED_PAD src0_sel:BYTE_0 src1_sel:DWORD
	v_or_b32_sdwa v5, v1, v2 dst_sel:DWORD dst_unused:UNUSED_PAD src0_sel:WORD_0 src1_sel:DWORD
	v_lshlrev_b16_e32 v1, 8, v10
	v_lshlrev_b16_e32 v2, 8, v12
	v_or_b32_sdwa v1, v9, v1 dst_sel:DWORD dst_unused:UNUSED_PAD src0_sel:BYTE_0 src1_sel:DWORD
	v_or_b32_sdwa v2, v11, v2 dst_sel:WORD_1 dst_unused:UNUSED_PAD src0_sel:BYTE_0 src1_sel:DWORD
	v_or_b32_sdwa v4, v1, v2 dst_sel:DWORD dst_unused:UNUSED_PAD src0_sel:WORD_0 src1_sel:DWORD
	v_lshlrev_b16_e32 v1, 8, v14
	v_lshlrev_b16_e32 v2, 8, v16
	s_add_u32 s30, s33, s43
	v_or_b32_sdwa v1, v13, v1 dst_sel:DWORD dst_unused:UNUSED_PAD src0_sel:BYTE_0 src1_sel:DWORD
	v_or_b32_sdwa v2, v15, v2 dst_sel:WORD_1 dst_unused:UNUSED_PAD src0_sel:BYTE_0 src1_sel:DWORD
	s_addc_u32 s31, s42, 0
	v_or_b32_sdwa v1, v1, v2 dst_sel:DWORD dst_unused:UNUSED_PAD src0_sel:WORD_0 src1_sel:DWORD
	v_mov_b32_e32 v3, s31
	v_add_co_u32_e64 v2, s[30:31], s30, v0
	v_addc_co_u32_e64 v3, s[30:31], 0, v3, s[30:31]
	s_and_saveexec_b64 s[30:31], vcc
	s_cbranch_execz .LBB476_37
; %bb.36:
	global_store_byte v[2:3], v17, off
.LBB476_37:
	s_or_b64 exec, exec, s[30:31]
	s_and_saveexec_b64 s[30:31], s[0:1]
	s_cbranch_execz .LBB476_39
; %bb.38:
	v_lshrrev_b32_e32 v0, 8, v17
	global_store_byte v[2:3], v0, off offset:64
.LBB476_39:
	s_or_b64 exec, exec, s[30:31]
	s_mov_b32 s0, 0x7060104
	v_perm_b32 v0, v17, v17, s0
	v_cndmask_b32_e64 v6, v0, v17, s[2:3]
	s_and_saveexec_b64 s[0:1], s[2:3]
	s_cbranch_execz .LBB476_41
; %bb.40:
	global_store_byte_d16_hi v[2:3], v6, off offset:128
.LBB476_41:
	s_or_b64 exec, exec, s[0:1]
	s_mov_b32 s0, 0x7020504
	v_perm_b32 v0, v0, v6, s0
	v_cndmask_b32_e64 v0, v0, v17, s[4:5]
	s_and_saveexec_b64 s[0:1], s[4:5]
	s_cbranch_execz .LBB476_43
; %bb.42:
	v_lshrrev_b32_e32 v0, 24, v0
	global_store_byte v[2:3], v0, off offset:192
.LBB476_43:
	s_or_b64 exec, exec, s[0:1]
	s_and_saveexec_b64 s[0:1], s[6:7]
	s_cbranch_execz .LBB476_45
; %bb.44:
	global_store_byte v[2:3], v5, off offset:256
.LBB476_45:
	s_or_b64 exec, exec, s[0:1]
	s_mov_b32 s0, 0x3020104
	v_perm_b32 v0, v5, v5, s0
	v_cndmask_b32_e64 v6, v0, v5, s[8:9]
	s_and_saveexec_b64 s[0:1], s[8:9]
	s_cbranch_execz .LBB476_47
; %bb.46:
	v_lshrrev_b32_e32 v7, 8, v6
	global_store_byte v[2:3], v7, off offset:320
.LBB476_47:
	s_or_b64 exec, exec, s[0:1]
	s_mov_b32 s0, 0x7060104
	v_perm_b32 v0, v0, v6, s0
	v_cndmask_b32_e64 v6, v0, v5, s[10:11]
	s_and_saveexec_b64 s[0:1], s[10:11]
	s_cbranch_execz .LBB476_49
; %bb.48:
	global_store_byte_d16_hi v[2:3], v6, off offset:384
.LBB476_49:
	s_or_b64 exec, exec, s[0:1]
	s_mov_b32 s0, 0x7020504
	v_perm_b32 v0, v0, v6, s0
	v_cndmask_b32_e64 v0, v0, v5, s[12:13]
	s_and_saveexec_b64 s[0:1], s[12:13]
	s_cbranch_execz .LBB476_51
; %bb.50:
	v_lshrrev_b32_e32 v0, 24, v0
	global_store_byte v[2:3], v0, off offset:448
.LBB476_51:
	s_or_b64 exec, exec, s[0:1]
	s_and_saveexec_b64 s[0:1], s[14:15]
	s_cbranch_execz .LBB476_53
; %bb.52:
	global_store_byte v[2:3], v4, off offset:512
.LBB476_53:
	s_or_b64 exec, exec, s[0:1]
	s_mov_b32 s0, 0x3020104
	v_perm_b32 v0, v4, v4, s0
	v_cndmask_b32_e64 v5, v0, v4, s[16:17]
	;; [unrolled: 35-line block ×3, first 2 shown]
	s_and_saveexec_b64 s[0:1], s[24:25]
	s_cbranch_execz .LBB476_63
; %bb.62:
	v_lshrrev_b32_e32 v5, 8, v4
	global_store_byte v[2:3], v5, off offset:832
.LBB476_63:
	s_or_b64 exec, exec, s[0:1]
	s_mov_b32 s0, 0x7060104
	v_perm_b32 v0, v0, v4, s0
	s_and_saveexec_b64 s[0:1], s[26:27]
	s_cbranch_execz .LBB476_65
; %bb.64:
	v_cndmask_b32_e64 v4, v0, v1, s[26:27]
	global_store_byte_d16_hi v[2:3], v4, off offset:896
.LBB476_65:
	s_or_b64 exec, exec, s[0:1]
                                        ; implicit-def: $vgpr4
	s_and_saveexec_b64 s[0:1], s[28:29]
; %bb.66:
	v_cndmask_b32_e64 v0, v0, v1, s[28:29]
	v_lshrrev_b32_e32 v4, 24, v0
	s_or_b64 s[34:35], s[34:35], exec
; %bb.67:
	s_or_b64 exec, exec, s[0:1]
.LBB476_68:
	s_and_saveexec_b64 s[0:1], s[34:35]
	s_cbranch_execnz .LBB476_70
; %bb.69:
	s_endpgm
.LBB476_70:
	s_waitcnt vmcnt(15)
	global_store_byte v[2:3], v4, off offset:960
	s_endpgm
	.section	.rodata,"a",@progbits
	.p2align	6, 0x0
	.amdhsa_kernel _ZN7rocprim17ROCPRIM_400000_NS6detail17trampoline_kernelINS0_14default_configENS1_25transform_config_selectorIaLb0EEEZNS1_14transform_implILb0ES3_S5_NS0_18transform_iteratorINS0_17counting_iteratorImlEEZNS1_24adjacent_difference_implIS3_Lb1ELb0EPKaPaN6thrust23THRUST_200600_302600_NS4plusIaEEEE10hipError_tPvRmT2_T3_mT4_P12ihipStream_tbEUlmE_aEESD_NS0_8identityIvEEEESI_SL_SM_mSN_SP_bEUlT_E_NS1_11comp_targetILNS1_3genE4ELNS1_11target_archE910ELNS1_3gpuE8ELNS1_3repE0EEENS1_30default_config_static_selectorELNS0_4arch9wavefront6targetE1EEEvT1_
		.amdhsa_group_segment_fixed_size 0
		.amdhsa_private_segment_fixed_size 0
		.amdhsa_kernarg_size 312
		.amdhsa_user_sgpr_count 6
		.amdhsa_user_sgpr_private_segment_buffer 1
		.amdhsa_user_sgpr_dispatch_ptr 0
		.amdhsa_user_sgpr_queue_ptr 0
		.amdhsa_user_sgpr_kernarg_segment_ptr 1
		.amdhsa_user_sgpr_dispatch_id 0
		.amdhsa_user_sgpr_flat_scratch_init 0
		.amdhsa_user_sgpr_kernarg_preload_length 0
		.amdhsa_user_sgpr_kernarg_preload_offset 0
		.amdhsa_user_sgpr_private_segment_size 0
		.amdhsa_uses_dynamic_stack 0
		.amdhsa_system_sgpr_private_segment_wavefront_offset 0
		.amdhsa_system_sgpr_workgroup_id_x 1
		.amdhsa_system_sgpr_workgroup_id_y 0
		.amdhsa_system_sgpr_workgroup_id_z 0
		.amdhsa_system_sgpr_workgroup_info 0
		.amdhsa_system_vgpr_workitem_id 0
		.amdhsa_next_free_vgpr 20
		.amdhsa_next_free_sgpr 46
		.amdhsa_accum_offset 20
		.amdhsa_reserve_vcc 1
		.amdhsa_reserve_flat_scratch 0
		.amdhsa_float_round_mode_32 0
		.amdhsa_float_round_mode_16_64 0
		.amdhsa_float_denorm_mode_32 3
		.amdhsa_float_denorm_mode_16_64 3
		.amdhsa_dx10_clamp 1
		.amdhsa_ieee_mode 1
		.amdhsa_fp16_overflow 0
		.amdhsa_tg_split 0
		.amdhsa_exception_fp_ieee_invalid_op 0
		.amdhsa_exception_fp_denorm_src 0
		.amdhsa_exception_fp_ieee_div_zero 0
		.amdhsa_exception_fp_ieee_overflow 0
		.amdhsa_exception_fp_ieee_underflow 0
		.amdhsa_exception_fp_ieee_inexact 0
		.amdhsa_exception_int_div_zero 0
	.end_amdhsa_kernel
	.section	.text._ZN7rocprim17ROCPRIM_400000_NS6detail17trampoline_kernelINS0_14default_configENS1_25transform_config_selectorIaLb0EEEZNS1_14transform_implILb0ES3_S5_NS0_18transform_iteratorINS0_17counting_iteratorImlEEZNS1_24adjacent_difference_implIS3_Lb1ELb0EPKaPaN6thrust23THRUST_200600_302600_NS4plusIaEEEE10hipError_tPvRmT2_T3_mT4_P12ihipStream_tbEUlmE_aEESD_NS0_8identityIvEEEESI_SL_SM_mSN_SP_bEUlT_E_NS1_11comp_targetILNS1_3genE4ELNS1_11target_archE910ELNS1_3gpuE8ELNS1_3repE0EEENS1_30default_config_static_selectorELNS0_4arch9wavefront6targetE1EEEvT1_,"axG",@progbits,_ZN7rocprim17ROCPRIM_400000_NS6detail17trampoline_kernelINS0_14default_configENS1_25transform_config_selectorIaLb0EEEZNS1_14transform_implILb0ES3_S5_NS0_18transform_iteratorINS0_17counting_iteratorImlEEZNS1_24adjacent_difference_implIS3_Lb1ELb0EPKaPaN6thrust23THRUST_200600_302600_NS4plusIaEEEE10hipError_tPvRmT2_T3_mT4_P12ihipStream_tbEUlmE_aEESD_NS0_8identityIvEEEESI_SL_SM_mSN_SP_bEUlT_E_NS1_11comp_targetILNS1_3genE4ELNS1_11target_archE910ELNS1_3gpuE8ELNS1_3repE0EEENS1_30default_config_static_selectorELNS0_4arch9wavefront6targetE1EEEvT1_,comdat
.Lfunc_end476:
	.size	_ZN7rocprim17ROCPRIM_400000_NS6detail17trampoline_kernelINS0_14default_configENS1_25transform_config_selectorIaLb0EEEZNS1_14transform_implILb0ES3_S5_NS0_18transform_iteratorINS0_17counting_iteratorImlEEZNS1_24adjacent_difference_implIS3_Lb1ELb0EPKaPaN6thrust23THRUST_200600_302600_NS4plusIaEEEE10hipError_tPvRmT2_T3_mT4_P12ihipStream_tbEUlmE_aEESD_NS0_8identityIvEEEESI_SL_SM_mSN_SP_bEUlT_E_NS1_11comp_targetILNS1_3genE4ELNS1_11target_archE910ELNS1_3gpuE8ELNS1_3repE0EEENS1_30default_config_static_selectorELNS0_4arch9wavefront6targetE1EEEvT1_, .Lfunc_end476-_ZN7rocprim17ROCPRIM_400000_NS6detail17trampoline_kernelINS0_14default_configENS1_25transform_config_selectorIaLb0EEEZNS1_14transform_implILb0ES3_S5_NS0_18transform_iteratorINS0_17counting_iteratorImlEEZNS1_24adjacent_difference_implIS3_Lb1ELb0EPKaPaN6thrust23THRUST_200600_302600_NS4plusIaEEEE10hipError_tPvRmT2_T3_mT4_P12ihipStream_tbEUlmE_aEESD_NS0_8identityIvEEEESI_SL_SM_mSN_SP_bEUlT_E_NS1_11comp_targetILNS1_3genE4ELNS1_11target_archE910ELNS1_3gpuE8ELNS1_3repE0EEENS1_30default_config_static_selectorELNS0_4arch9wavefront6targetE1EEEvT1_
                                        ; -- End function
	.section	.AMDGPU.csdata,"",@progbits
; Kernel info:
; codeLenInByte = 2796
; NumSgprs: 50
; NumVgprs: 20
; NumAgprs: 0
; TotalNumVgprs: 20
; ScratchSize: 0
; MemoryBound: 0
; FloatMode: 240
; IeeeMode: 1
; LDSByteSize: 0 bytes/workgroup (compile time only)
; SGPRBlocks: 6
; VGPRBlocks: 2
; NumSGPRsForWavesPerEU: 50
; NumVGPRsForWavesPerEU: 20
; AccumOffset: 20
; Occupancy: 8
; WaveLimiterHint : 0
; COMPUTE_PGM_RSRC2:SCRATCH_EN: 0
; COMPUTE_PGM_RSRC2:USER_SGPR: 6
; COMPUTE_PGM_RSRC2:TRAP_HANDLER: 0
; COMPUTE_PGM_RSRC2:TGID_X_EN: 1
; COMPUTE_PGM_RSRC2:TGID_Y_EN: 0
; COMPUTE_PGM_RSRC2:TGID_Z_EN: 0
; COMPUTE_PGM_RSRC2:TIDIG_COMP_CNT: 0
; COMPUTE_PGM_RSRC3_GFX90A:ACCUM_OFFSET: 4
; COMPUTE_PGM_RSRC3_GFX90A:TG_SPLIT: 0
	.section	.text._ZN7rocprim17ROCPRIM_400000_NS6detail17trampoline_kernelINS0_14default_configENS1_25transform_config_selectorIaLb0EEEZNS1_14transform_implILb0ES3_S5_NS0_18transform_iteratorINS0_17counting_iteratorImlEEZNS1_24adjacent_difference_implIS3_Lb1ELb0EPKaPaN6thrust23THRUST_200600_302600_NS4plusIaEEEE10hipError_tPvRmT2_T3_mT4_P12ihipStream_tbEUlmE_aEESD_NS0_8identityIvEEEESI_SL_SM_mSN_SP_bEUlT_E_NS1_11comp_targetILNS1_3genE3ELNS1_11target_archE908ELNS1_3gpuE7ELNS1_3repE0EEENS1_30default_config_static_selectorELNS0_4arch9wavefront6targetE1EEEvT1_,"axG",@progbits,_ZN7rocprim17ROCPRIM_400000_NS6detail17trampoline_kernelINS0_14default_configENS1_25transform_config_selectorIaLb0EEEZNS1_14transform_implILb0ES3_S5_NS0_18transform_iteratorINS0_17counting_iteratorImlEEZNS1_24adjacent_difference_implIS3_Lb1ELb0EPKaPaN6thrust23THRUST_200600_302600_NS4plusIaEEEE10hipError_tPvRmT2_T3_mT4_P12ihipStream_tbEUlmE_aEESD_NS0_8identityIvEEEESI_SL_SM_mSN_SP_bEUlT_E_NS1_11comp_targetILNS1_3genE3ELNS1_11target_archE908ELNS1_3gpuE7ELNS1_3repE0EEENS1_30default_config_static_selectorELNS0_4arch9wavefront6targetE1EEEvT1_,comdat
	.protected	_ZN7rocprim17ROCPRIM_400000_NS6detail17trampoline_kernelINS0_14default_configENS1_25transform_config_selectorIaLb0EEEZNS1_14transform_implILb0ES3_S5_NS0_18transform_iteratorINS0_17counting_iteratorImlEEZNS1_24adjacent_difference_implIS3_Lb1ELb0EPKaPaN6thrust23THRUST_200600_302600_NS4plusIaEEEE10hipError_tPvRmT2_T3_mT4_P12ihipStream_tbEUlmE_aEESD_NS0_8identityIvEEEESI_SL_SM_mSN_SP_bEUlT_E_NS1_11comp_targetILNS1_3genE3ELNS1_11target_archE908ELNS1_3gpuE7ELNS1_3repE0EEENS1_30default_config_static_selectorELNS0_4arch9wavefront6targetE1EEEvT1_ ; -- Begin function _ZN7rocprim17ROCPRIM_400000_NS6detail17trampoline_kernelINS0_14default_configENS1_25transform_config_selectorIaLb0EEEZNS1_14transform_implILb0ES3_S5_NS0_18transform_iteratorINS0_17counting_iteratorImlEEZNS1_24adjacent_difference_implIS3_Lb1ELb0EPKaPaN6thrust23THRUST_200600_302600_NS4plusIaEEEE10hipError_tPvRmT2_T3_mT4_P12ihipStream_tbEUlmE_aEESD_NS0_8identityIvEEEESI_SL_SM_mSN_SP_bEUlT_E_NS1_11comp_targetILNS1_3genE3ELNS1_11target_archE908ELNS1_3gpuE7ELNS1_3repE0EEENS1_30default_config_static_selectorELNS0_4arch9wavefront6targetE1EEEvT1_
	.globl	_ZN7rocprim17ROCPRIM_400000_NS6detail17trampoline_kernelINS0_14default_configENS1_25transform_config_selectorIaLb0EEEZNS1_14transform_implILb0ES3_S5_NS0_18transform_iteratorINS0_17counting_iteratorImlEEZNS1_24adjacent_difference_implIS3_Lb1ELb0EPKaPaN6thrust23THRUST_200600_302600_NS4plusIaEEEE10hipError_tPvRmT2_T3_mT4_P12ihipStream_tbEUlmE_aEESD_NS0_8identityIvEEEESI_SL_SM_mSN_SP_bEUlT_E_NS1_11comp_targetILNS1_3genE3ELNS1_11target_archE908ELNS1_3gpuE7ELNS1_3repE0EEENS1_30default_config_static_selectorELNS0_4arch9wavefront6targetE1EEEvT1_
	.p2align	8
	.type	_ZN7rocprim17ROCPRIM_400000_NS6detail17trampoline_kernelINS0_14default_configENS1_25transform_config_selectorIaLb0EEEZNS1_14transform_implILb0ES3_S5_NS0_18transform_iteratorINS0_17counting_iteratorImlEEZNS1_24adjacent_difference_implIS3_Lb1ELb0EPKaPaN6thrust23THRUST_200600_302600_NS4plusIaEEEE10hipError_tPvRmT2_T3_mT4_P12ihipStream_tbEUlmE_aEESD_NS0_8identityIvEEEESI_SL_SM_mSN_SP_bEUlT_E_NS1_11comp_targetILNS1_3genE3ELNS1_11target_archE908ELNS1_3gpuE7ELNS1_3repE0EEENS1_30default_config_static_selectorELNS0_4arch9wavefront6targetE1EEEvT1_,@function
_ZN7rocprim17ROCPRIM_400000_NS6detail17trampoline_kernelINS0_14default_configENS1_25transform_config_selectorIaLb0EEEZNS1_14transform_implILb0ES3_S5_NS0_18transform_iteratorINS0_17counting_iteratorImlEEZNS1_24adjacent_difference_implIS3_Lb1ELb0EPKaPaN6thrust23THRUST_200600_302600_NS4plusIaEEEE10hipError_tPvRmT2_T3_mT4_P12ihipStream_tbEUlmE_aEESD_NS0_8identityIvEEEESI_SL_SM_mSN_SP_bEUlT_E_NS1_11comp_targetILNS1_3genE3ELNS1_11target_archE908ELNS1_3gpuE7ELNS1_3repE0EEENS1_30default_config_static_selectorELNS0_4arch9wavefront6targetE1EEEvT1_: ; @_ZN7rocprim17ROCPRIM_400000_NS6detail17trampoline_kernelINS0_14default_configENS1_25transform_config_selectorIaLb0EEEZNS1_14transform_implILb0ES3_S5_NS0_18transform_iteratorINS0_17counting_iteratorImlEEZNS1_24adjacent_difference_implIS3_Lb1ELb0EPKaPaN6thrust23THRUST_200600_302600_NS4plusIaEEEE10hipError_tPvRmT2_T3_mT4_P12ihipStream_tbEUlmE_aEESD_NS0_8identityIvEEEESI_SL_SM_mSN_SP_bEUlT_E_NS1_11comp_targetILNS1_3genE3ELNS1_11target_archE908ELNS1_3gpuE7ELNS1_3repE0EEENS1_30default_config_static_selectorELNS0_4arch9wavefront6targetE1EEEvT1_
; %bb.0:
	.section	.rodata,"a",@progbits
	.p2align	6, 0x0
	.amdhsa_kernel _ZN7rocprim17ROCPRIM_400000_NS6detail17trampoline_kernelINS0_14default_configENS1_25transform_config_selectorIaLb0EEEZNS1_14transform_implILb0ES3_S5_NS0_18transform_iteratorINS0_17counting_iteratorImlEEZNS1_24adjacent_difference_implIS3_Lb1ELb0EPKaPaN6thrust23THRUST_200600_302600_NS4plusIaEEEE10hipError_tPvRmT2_T3_mT4_P12ihipStream_tbEUlmE_aEESD_NS0_8identityIvEEEESI_SL_SM_mSN_SP_bEUlT_E_NS1_11comp_targetILNS1_3genE3ELNS1_11target_archE908ELNS1_3gpuE7ELNS1_3repE0EEENS1_30default_config_static_selectorELNS0_4arch9wavefront6targetE1EEEvT1_
		.amdhsa_group_segment_fixed_size 0
		.amdhsa_private_segment_fixed_size 0
		.amdhsa_kernarg_size 56
		.amdhsa_user_sgpr_count 6
		.amdhsa_user_sgpr_private_segment_buffer 1
		.amdhsa_user_sgpr_dispatch_ptr 0
		.amdhsa_user_sgpr_queue_ptr 0
		.amdhsa_user_sgpr_kernarg_segment_ptr 1
		.amdhsa_user_sgpr_dispatch_id 0
		.amdhsa_user_sgpr_flat_scratch_init 0
		.amdhsa_user_sgpr_kernarg_preload_length 0
		.amdhsa_user_sgpr_kernarg_preload_offset 0
		.amdhsa_user_sgpr_private_segment_size 0
		.amdhsa_uses_dynamic_stack 0
		.amdhsa_system_sgpr_private_segment_wavefront_offset 0
		.amdhsa_system_sgpr_workgroup_id_x 1
		.amdhsa_system_sgpr_workgroup_id_y 0
		.amdhsa_system_sgpr_workgroup_id_z 0
		.amdhsa_system_sgpr_workgroup_info 0
		.amdhsa_system_vgpr_workitem_id 0
		.amdhsa_next_free_vgpr 1
		.amdhsa_next_free_sgpr 0
		.amdhsa_accum_offset 4
		.amdhsa_reserve_vcc 0
		.amdhsa_reserve_flat_scratch 0
		.amdhsa_float_round_mode_32 0
		.amdhsa_float_round_mode_16_64 0
		.amdhsa_float_denorm_mode_32 3
		.amdhsa_float_denorm_mode_16_64 3
		.amdhsa_dx10_clamp 1
		.amdhsa_ieee_mode 1
		.amdhsa_fp16_overflow 0
		.amdhsa_tg_split 0
		.amdhsa_exception_fp_ieee_invalid_op 0
		.amdhsa_exception_fp_denorm_src 0
		.amdhsa_exception_fp_ieee_div_zero 0
		.amdhsa_exception_fp_ieee_overflow 0
		.amdhsa_exception_fp_ieee_underflow 0
		.amdhsa_exception_fp_ieee_inexact 0
		.amdhsa_exception_int_div_zero 0
	.end_amdhsa_kernel
	.section	.text._ZN7rocprim17ROCPRIM_400000_NS6detail17trampoline_kernelINS0_14default_configENS1_25transform_config_selectorIaLb0EEEZNS1_14transform_implILb0ES3_S5_NS0_18transform_iteratorINS0_17counting_iteratorImlEEZNS1_24adjacent_difference_implIS3_Lb1ELb0EPKaPaN6thrust23THRUST_200600_302600_NS4plusIaEEEE10hipError_tPvRmT2_T3_mT4_P12ihipStream_tbEUlmE_aEESD_NS0_8identityIvEEEESI_SL_SM_mSN_SP_bEUlT_E_NS1_11comp_targetILNS1_3genE3ELNS1_11target_archE908ELNS1_3gpuE7ELNS1_3repE0EEENS1_30default_config_static_selectorELNS0_4arch9wavefront6targetE1EEEvT1_,"axG",@progbits,_ZN7rocprim17ROCPRIM_400000_NS6detail17trampoline_kernelINS0_14default_configENS1_25transform_config_selectorIaLb0EEEZNS1_14transform_implILb0ES3_S5_NS0_18transform_iteratorINS0_17counting_iteratorImlEEZNS1_24adjacent_difference_implIS3_Lb1ELb0EPKaPaN6thrust23THRUST_200600_302600_NS4plusIaEEEE10hipError_tPvRmT2_T3_mT4_P12ihipStream_tbEUlmE_aEESD_NS0_8identityIvEEEESI_SL_SM_mSN_SP_bEUlT_E_NS1_11comp_targetILNS1_3genE3ELNS1_11target_archE908ELNS1_3gpuE7ELNS1_3repE0EEENS1_30default_config_static_selectorELNS0_4arch9wavefront6targetE1EEEvT1_,comdat
.Lfunc_end477:
	.size	_ZN7rocprim17ROCPRIM_400000_NS6detail17trampoline_kernelINS0_14default_configENS1_25transform_config_selectorIaLb0EEEZNS1_14transform_implILb0ES3_S5_NS0_18transform_iteratorINS0_17counting_iteratorImlEEZNS1_24adjacent_difference_implIS3_Lb1ELb0EPKaPaN6thrust23THRUST_200600_302600_NS4plusIaEEEE10hipError_tPvRmT2_T3_mT4_P12ihipStream_tbEUlmE_aEESD_NS0_8identityIvEEEESI_SL_SM_mSN_SP_bEUlT_E_NS1_11comp_targetILNS1_3genE3ELNS1_11target_archE908ELNS1_3gpuE7ELNS1_3repE0EEENS1_30default_config_static_selectorELNS0_4arch9wavefront6targetE1EEEvT1_, .Lfunc_end477-_ZN7rocprim17ROCPRIM_400000_NS6detail17trampoline_kernelINS0_14default_configENS1_25transform_config_selectorIaLb0EEEZNS1_14transform_implILb0ES3_S5_NS0_18transform_iteratorINS0_17counting_iteratorImlEEZNS1_24adjacent_difference_implIS3_Lb1ELb0EPKaPaN6thrust23THRUST_200600_302600_NS4plusIaEEEE10hipError_tPvRmT2_T3_mT4_P12ihipStream_tbEUlmE_aEESD_NS0_8identityIvEEEESI_SL_SM_mSN_SP_bEUlT_E_NS1_11comp_targetILNS1_3genE3ELNS1_11target_archE908ELNS1_3gpuE7ELNS1_3repE0EEENS1_30default_config_static_selectorELNS0_4arch9wavefront6targetE1EEEvT1_
                                        ; -- End function
	.section	.AMDGPU.csdata,"",@progbits
; Kernel info:
; codeLenInByte = 0
; NumSgprs: 4
; NumVgprs: 0
; NumAgprs: 0
; TotalNumVgprs: 0
; ScratchSize: 0
; MemoryBound: 0
; FloatMode: 240
; IeeeMode: 1
; LDSByteSize: 0 bytes/workgroup (compile time only)
; SGPRBlocks: 0
; VGPRBlocks: 0
; NumSGPRsForWavesPerEU: 4
; NumVGPRsForWavesPerEU: 1
; AccumOffset: 4
; Occupancy: 8
; WaveLimiterHint : 0
; COMPUTE_PGM_RSRC2:SCRATCH_EN: 0
; COMPUTE_PGM_RSRC2:USER_SGPR: 6
; COMPUTE_PGM_RSRC2:TRAP_HANDLER: 0
; COMPUTE_PGM_RSRC2:TGID_X_EN: 1
; COMPUTE_PGM_RSRC2:TGID_Y_EN: 0
; COMPUTE_PGM_RSRC2:TGID_Z_EN: 0
; COMPUTE_PGM_RSRC2:TIDIG_COMP_CNT: 0
; COMPUTE_PGM_RSRC3_GFX90A:ACCUM_OFFSET: 0
; COMPUTE_PGM_RSRC3_GFX90A:TG_SPLIT: 0
	.section	.text._ZN7rocprim17ROCPRIM_400000_NS6detail17trampoline_kernelINS0_14default_configENS1_25transform_config_selectorIaLb0EEEZNS1_14transform_implILb0ES3_S5_NS0_18transform_iteratorINS0_17counting_iteratorImlEEZNS1_24adjacent_difference_implIS3_Lb1ELb0EPKaPaN6thrust23THRUST_200600_302600_NS4plusIaEEEE10hipError_tPvRmT2_T3_mT4_P12ihipStream_tbEUlmE_aEESD_NS0_8identityIvEEEESI_SL_SM_mSN_SP_bEUlT_E_NS1_11comp_targetILNS1_3genE2ELNS1_11target_archE906ELNS1_3gpuE6ELNS1_3repE0EEENS1_30default_config_static_selectorELNS0_4arch9wavefront6targetE1EEEvT1_,"axG",@progbits,_ZN7rocprim17ROCPRIM_400000_NS6detail17trampoline_kernelINS0_14default_configENS1_25transform_config_selectorIaLb0EEEZNS1_14transform_implILb0ES3_S5_NS0_18transform_iteratorINS0_17counting_iteratorImlEEZNS1_24adjacent_difference_implIS3_Lb1ELb0EPKaPaN6thrust23THRUST_200600_302600_NS4plusIaEEEE10hipError_tPvRmT2_T3_mT4_P12ihipStream_tbEUlmE_aEESD_NS0_8identityIvEEEESI_SL_SM_mSN_SP_bEUlT_E_NS1_11comp_targetILNS1_3genE2ELNS1_11target_archE906ELNS1_3gpuE6ELNS1_3repE0EEENS1_30default_config_static_selectorELNS0_4arch9wavefront6targetE1EEEvT1_,comdat
	.protected	_ZN7rocprim17ROCPRIM_400000_NS6detail17trampoline_kernelINS0_14default_configENS1_25transform_config_selectorIaLb0EEEZNS1_14transform_implILb0ES3_S5_NS0_18transform_iteratorINS0_17counting_iteratorImlEEZNS1_24adjacent_difference_implIS3_Lb1ELb0EPKaPaN6thrust23THRUST_200600_302600_NS4plusIaEEEE10hipError_tPvRmT2_T3_mT4_P12ihipStream_tbEUlmE_aEESD_NS0_8identityIvEEEESI_SL_SM_mSN_SP_bEUlT_E_NS1_11comp_targetILNS1_3genE2ELNS1_11target_archE906ELNS1_3gpuE6ELNS1_3repE0EEENS1_30default_config_static_selectorELNS0_4arch9wavefront6targetE1EEEvT1_ ; -- Begin function _ZN7rocprim17ROCPRIM_400000_NS6detail17trampoline_kernelINS0_14default_configENS1_25transform_config_selectorIaLb0EEEZNS1_14transform_implILb0ES3_S5_NS0_18transform_iteratorINS0_17counting_iteratorImlEEZNS1_24adjacent_difference_implIS3_Lb1ELb0EPKaPaN6thrust23THRUST_200600_302600_NS4plusIaEEEE10hipError_tPvRmT2_T3_mT4_P12ihipStream_tbEUlmE_aEESD_NS0_8identityIvEEEESI_SL_SM_mSN_SP_bEUlT_E_NS1_11comp_targetILNS1_3genE2ELNS1_11target_archE906ELNS1_3gpuE6ELNS1_3repE0EEENS1_30default_config_static_selectorELNS0_4arch9wavefront6targetE1EEEvT1_
	.globl	_ZN7rocprim17ROCPRIM_400000_NS6detail17trampoline_kernelINS0_14default_configENS1_25transform_config_selectorIaLb0EEEZNS1_14transform_implILb0ES3_S5_NS0_18transform_iteratorINS0_17counting_iteratorImlEEZNS1_24adjacent_difference_implIS3_Lb1ELb0EPKaPaN6thrust23THRUST_200600_302600_NS4plusIaEEEE10hipError_tPvRmT2_T3_mT4_P12ihipStream_tbEUlmE_aEESD_NS0_8identityIvEEEESI_SL_SM_mSN_SP_bEUlT_E_NS1_11comp_targetILNS1_3genE2ELNS1_11target_archE906ELNS1_3gpuE6ELNS1_3repE0EEENS1_30default_config_static_selectorELNS0_4arch9wavefront6targetE1EEEvT1_
	.p2align	8
	.type	_ZN7rocprim17ROCPRIM_400000_NS6detail17trampoline_kernelINS0_14default_configENS1_25transform_config_selectorIaLb0EEEZNS1_14transform_implILb0ES3_S5_NS0_18transform_iteratorINS0_17counting_iteratorImlEEZNS1_24adjacent_difference_implIS3_Lb1ELb0EPKaPaN6thrust23THRUST_200600_302600_NS4plusIaEEEE10hipError_tPvRmT2_T3_mT4_P12ihipStream_tbEUlmE_aEESD_NS0_8identityIvEEEESI_SL_SM_mSN_SP_bEUlT_E_NS1_11comp_targetILNS1_3genE2ELNS1_11target_archE906ELNS1_3gpuE6ELNS1_3repE0EEENS1_30default_config_static_selectorELNS0_4arch9wavefront6targetE1EEEvT1_,@function
_ZN7rocprim17ROCPRIM_400000_NS6detail17trampoline_kernelINS0_14default_configENS1_25transform_config_selectorIaLb0EEEZNS1_14transform_implILb0ES3_S5_NS0_18transform_iteratorINS0_17counting_iteratorImlEEZNS1_24adjacent_difference_implIS3_Lb1ELb0EPKaPaN6thrust23THRUST_200600_302600_NS4plusIaEEEE10hipError_tPvRmT2_T3_mT4_P12ihipStream_tbEUlmE_aEESD_NS0_8identityIvEEEESI_SL_SM_mSN_SP_bEUlT_E_NS1_11comp_targetILNS1_3genE2ELNS1_11target_archE906ELNS1_3gpuE6ELNS1_3repE0EEENS1_30default_config_static_selectorELNS0_4arch9wavefront6targetE1EEEvT1_: ; @_ZN7rocprim17ROCPRIM_400000_NS6detail17trampoline_kernelINS0_14default_configENS1_25transform_config_selectorIaLb0EEEZNS1_14transform_implILb0ES3_S5_NS0_18transform_iteratorINS0_17counting_iteratorImlEEZNS1_24adjacent_difference_implIS3_Lb1ELb0EPKaPaN6thrust23THRUST_200600_302600_NS4plusIaEEEE10hipError_tPvRmT2_T3_mT4_P12ihipStream_tbEUlmE_aEESD_NS0_8identityIvEEEESI_SL_SM_mSN_SP_bEUlT_E_NS1_11comp_targetILNS1_3genE2ELNS1_11target_archE906ELNS1_3gpuE6ELNS1_3repE0EEENS1_30default_config_static_selectorELNS0_4arch9wavefront6targetE1EEEvT1_
; %bb.0:
	.section	.rodata,"a",@progbits
	.p2align	6, 0x0
	.amdhsa_kernel _ZN7rocprim17ROCPRIM_400000_NS6detail17trampoline_kernelINS0_14default_configENS1_25transform_config_selectorIaLb0EEEZNS1_14transform_implILb0ES3_S5_NS0_18transform_iteratorINS0_17counting_iteratorImlEEZNS1_24adjacent_difference_implIS3_Lb1ELb0EPKaPaN6thrust23THRUST_200600_302600_NS4plusIaEEEE10hipError_tPvRmT2_T3_mT4_P12ihipStream_tbEUlmE_aEESD_NS0_8identityIvEEEESI_SL_SM_mSN_SP_bEUlT_E_NS1_11comp_targetILNS1_3genE2ELNS1_11target_archE906ELNS1_3gpuE6ELNS1_3repE0EEENS1_30default_config_static_selectorELNS0_4arch9wavefront6targetE1EEEvT1_
		.amdhsa_group_segment_fixed_size 0
		.amdhsa_private_segment_fixed_size 0
		.amdhsa_kernarg_size 56
		.amdhsa_user_sgpr_count 6
		.amdhsa_user_sgpr_private_segment_buffer 1
		.amdhsa_user_sgpr_dispatch_ptr 0
		.amdhsa_user_sgpr_queue_ptr 0
		.amdhsa_user_sgpr_kernarg_segment_ptr 1
		.amdhsa_user_sgpr_dispatch_id 0
		.amdhsa_user_sgpr_flat_scratch_init 0
		.amdhsa_user_sgpr_kernarg_preload_length 0
		.amdhsa_user_sgpr_kernarg_preload_offset 0
		.amdhsa_user_sgpr_private_segment_size 0
		.amdhsa_uses_dynamic_stack 0
		.amdhsa_system_sgpr_private_segment_wavefront_offset 0
		.amdhsa_system_sgpr_workgroup_id_x 1
		.amdhsa_system_sgpr_workgroup_id_y 0
		.amdhsa_system_sgpr_workgroup_id_z 0
		.amdhsa_system_sgpr_workgroup_info 0
		.amdhsa_system_vgpr_workitem_id 0
		.amdhsa_next_free_vgpr 1
		.amdhsa_next_free_sgpr 0
		.amdhsa_accum_offset 4
		.amdhsa_reserve_vcc 0
		.amdhsa_reserve_flat_scratch 0
		.amdhsa_float_round_mode_32 0
		.amdhsa_float_round_mode_16_64 0
		.amdhsa_float_denorm_mode_32 3
		.amdhsa_float_denorm_mode_16_64 3
		.amdhsa_dx10_clamp 1
		.amdhsa_ieee_mode 1
		.amdhsa_fp16_overflow 0
		.amdhsa_tg_split 0
		.amdhsa_exception_fp_ieee_invalid_op 0
		.amdhsa_exception_fp_denorm_src 0
		.amdhsa_exception_fp_ieee_div_zero 0
		.amdhsa_exception_fp_ieee_overflow 0
		.amdhsa_exception_fp_ieee_underflow 0
		.amdhsa_exception_fp_ieee_inexact 0
		.amdhsa_exception_int_div_zero 0
	.end_amdhsa_kernel
	.section	.text._ZN7rocprim17ROCPRIM_400000_NS6detail17trampoline_kernelINS0_14default_configENS1_25transform_config_selectorIaLb0EEEZNS1_14transform_implILb0ES3_S5_NS0_18transform_iteratorINS0_17counting_iteratorImlEEZNS1_24adjacent_difference_implIS3_Lb1ELb0EPKaPaN6thrust23THRUST_200600_302600_NS4plusIaEEEE10hipError_tPvRmT2_T3_mT4_P12ihipStream_tbEUlmE_aEESD_NS0_8identityIvEEEESI_SL_SM_mSN_SP_bEUlT_E_NS1_11comp_targetILNS1_3genE2ELNS1_11target_archE906ELNS1_3gpuE6ELNS1_3repE0EEENS1_30default_config_static_selectorELNS0_4arch9wavefront6targetE1EEEvT1_,"axG",@progbits,_ZN7rocprim17ROCPRIM_400000_NS6detail17trampoline_kernelINS0_14default_configENS1_25transform_config_selectorIaLb0EEEZNS1_14transform_implILb0ES3_S5_NS0_18transform_iteratorINS0_17counting_iteratorImlEEZNS1_24adjacent_difference_implIS3_Lb1ELb0EPKaPaN6thrust23THRUST_200600_302600_NS4plusIaEEEE10hipError_tPvRmT2_T3_mT4_P12ihipStream_tbEUlmE_aEESD_NS0_8identityIvEEEESI_SL_SM_mSN_SP_bEUlT_E_NS1_11comp_targetILNS1_3genE2ELNS1_11target_archE906ELNS1_3gpuE6ELNS1_3repE0EEENS1_30default_config_static_selectorELNS0_4arch9wavefront6targetE1EEEvT1_,comdat
.Lfunc_end478:
	.size	_ZN7rocprim17ROCPRIM_400000_NS6detail17trampoline_kernelINS0_14default_configENS1_25transform_config_selectorIaLb0EEEZNS1_14transform_implILb0ES3_S5_NS0_18transform_iteratorINS0_17counting_iteratorImlEEZNS1_24adjacent_difference_implIS3_Lb1ELb0EPKaPaN6thrust23THRUST_200600_302600_NS4plusIaEEEE10hipError_tPvRmT2_T3_mT4_P12ihipStream_tbEUlmE_aEESD_NS0_8identityIvEEEESI_SL_SM_mSN_SP_bEUlT_E_NS1_11comp_targetILNS1_3genE2ELNS1_11target_archE906ELNS1_3gpuE6ELNS1_3repE0EEENS1_30default_config_static_selectorELNS0_4arch9wavefront6targetE1EEEvT1_, .Lfunc_end478-_ZN7rocprim17ROCPRIM_400000_NS6detail17trampoline_kernelINS0_14default_configENS1_25transform_config_selectorIaLb0EEEZNS1_14transform_implILb0ES3_S5_NS0_18transform_iteratorINS0_17counting_iteratorImlEEZNS1_24adjacent_difference_implIS3_Lb1ELb0EPKaPaN6thrust23THRUST_200600_302600_NS4plusIaEEEE10hipError_tPvRmT2_T3_mT4_P12ihipStream_tbEUlmE_aEESD_NS0_8identityIvEEEESI_SL_SM_mSN_SP_bEUlT_E_NS1_11comp_targetILNS1_3genE2ELNS1_11target_archE906ELNS1_3gpuE6ELNS1_3repE0EEENS1_30default_config_static_selectorELNS0_4arch9wavefront6targetE1EEEvT1_
                                        ; -- End function
	.section	.AMDGPU.csdata,"",@progbits
; Kernel info:
; codeLenInByte = 0
; NumSgprs: 4
; NumVgprs: 0
; NumAgprs: 0
; TotalNumVgprs: 0
; ScratchSize: 0
; MemoryBound: 0
; FloatMode: 240
; IeeeMode: 1
; LDSByteSize: 0 bytes/workgroup (compile time only)
; SGPRBlocks: 0
; VGPRBlocks: 0
; NumSGPRsForWavesPerEU: 4
; NumVGPRsForWavesPerEU: 1
; AccumOffset: 4
; Occupancy: 8
; WaveLimiterHint : 0
; COMPUTE_PGM_RSRC2:SCRATCH_EN: 0
; COMPUTE_PGM_RSRC2:USER_SGPR: 6
; COMPUTE_PGM_RSRC2:TRAP_HANDLER: 0
; COMPUTE_PGM_RSRC2:TGID_X_EN: 1
; COMPUTE_PGM_RSRC2:TGID_Y_EN: 0
; COMPUTE_PGM_RSRC2:TGID_Z_EN: 0
; COMPUTE_PGM_RSRC2:TIDIG_COMP_CNT: 0
; COMPUTE_PGM_RSRC3_GFX90A:ACCUM_OFFSET: 0
; COMPUTE_PGM_RSRC3_GFX90A:TG_SPLIT: 0
	.section	.text._ZN7rocprim17ROCPRIM_400000_NS6detail17trampoline_kernelINS0_14default_configENS1_25transform_config_selectorIaLb0EEEZNS1_14transform_implILb0ES3_S5_NS0_18transform_iteratorINS0_17counting_iteratorImlEEZNS1_24adjacent_difference_implIS3_Lb1ELb0EPKaPaN6thrust23THRUST_200600_302600_NS4plusIaEEEE10hipError_tPvRmT2_T3_mT4_P12ihipStream_tbEUlmE_aEESD_NS0_8identityIvEEEESI_SL_SM_mSN_SP_bEUlT_E_NS1_11comp_targetILNS1_3genE10ELNS1_11target_archE1201ELNS1_3gpuE5ELNS1_3repE0EEENS1_30default_config_static_selectorELNS0_4arch9wavefront6targetE1EEEvT1_,"axG",@progbits,_ZN7rocprim17ROCPRIM_400000_NS6detail17trampoline_kernelINS0_14default_configENS1_25transform_config_selectorIaLb0EEEZNS1_14transform_implILb0ES3_S5_NS0_18transform_iteratorINS0_17counting_iteratorImlEEZNS1_24adjacent_difference_implIS3_Lb1ELb0EPKaPaN6thrust23THRUST_200600_302600_NS4plusIaEEEE10hipError_tPvRmT2_T3_mT4_P12ihipStream_tbEUlmE_aEESD_NS0_8identityIvEEEESI_SL_SM_mSN_SP_bEUlT_E_NS1_11comp_targetILNS1_3genE10ELNS1_11target_archE1201ELNS1_3gpuE5ELNS1_3repE0EEENS1_30default_config_static_selectorELNS0_4arch9wavefront6targetE1EEEvT1_,comdat
	.protected	_ZN7rocprim17ROCPRIM_400000_NS6detail17trampoline_kernelINS0_14default_configENS1_25transform_config_selectorIaLb0EEEZNS1_14transform_implILb0ES3_S5_NS0_18transform_iteratorINS0_17counting_iteratorImlEEZNS1_24adjacent_difference_implIS3_Lb1ELb0EPKaPaN6thrust23THRUST_200600_302600_NS4plusIaEEEE10hipError_tPvRmT2_T3_mT4_P12ihipStream_tbEUlmE_aEESD_NS0_8identityIvEEEESI_SL_SM_mSN_SP_bEUlT_E_NS1_11comp_targetILNS1_3genE10ELNS1_11target_archE1201ELNS1_3gpuE5ELNS1_3repE0EEENS1_30default_config_static_selectorELNS0_4arch9wavefront6targetE1EEEvT1_ ; -- Begin function _ZN7rocprim17ROCPRIM_400000_NS6detail17trampoline_kernelINS0_14default_configENS1_25transform_config_selectorIaLb0EEEZNS1_14transform_implILb0ES3_S5_NS0_18transform_iteratorINS0_17counting_iteratorImlEEZNS1_24adjacent_difference_implIS3_Lb1ELb0EPKaPaN6thrust23THRUST_200600_302600_NS4plusIaEEEE10hipError_tPvRmT2_T3_mT4_P12ihipStream_tbEUlmE_aEESD_NS0_8identityIvEEEESI_SL_SM_mSN_SP_bEUlT_E_NS1_11comp_targetILNS1_3genE10ELNS1_11target_archE1201ELNS1_3gpuE5ELNS1_3repE0EEENS1_30default_config_static_selectorELNS0_4arch9wavefront6targetE1EEEvT1_
	.globl	_ZN7rocprim17ROCPRIM_400000_NS6detail17trampoline_kernelINS0_14default_configENS1_25transform_config_selectorIaLb0EEEZNS1_14transform_implILb0ES3_S5_NS0_18transform_iteratorINS0_17counting_iteratorImlEEZNS1_24adjacent_difference_implIS3_Lb1ELb0EPKaPaN6thrust23THRUST_200600_302600_NS4plusIaEEEE10hipError_tPvRmT2_T3_mT4_P12ihipStream_tbEUlmE_aEESD_NS0_8identityIvEEEESI_SL_SM_mSN_SP_bEUlT_E_NS1_11comp_targetILNS1_3genE10ELNS1_11target_archE1201ELNS1_3gpuE5ELNS1_3repE0EEENS1_30default_config_static_selectorELNS0_4arch9wavefront6targetE1EEEvT1_
	.p2align	8
	.type	_ZN7rocprim17ROCPRIM_400000_NS6detail17trampoline_kernelINS0_14default_configENS1_25transform_config_selectorIaLb0EEEZNS1_14transform_implILb0ES3_S5_NS0_18transform_iteratorINS0_17counting_iteratorImlEEZNS1_24adjacent_difference_implIS3_Lb1ELb0EPKaPaN6thrust23THRUST_200600_302600_NS4plusIaEEEE10hipError_tPvRmT2_T3_mT4_P12ihipStream_tbEUlmE_aEESD_NS0_8identityIvEEEESI_SL_SM_mSN_SP_bEUlT_E_NS1_11comp_targetILNS1_3genE10ELNS1_11target_archE1201ELNS1_3gpuE5ELNS1_3repE0EEENS1_30default_config_static_selectorELNS0_4arch9wavefront6targetE1EEEvT1_,@function
_ZN7rocprim17ROCPRIM_400000_NS6detail17trampoline_kernelINS0_14default_configENS1_25transform_config_selectorIaLb0EEEZNS1_14transform_implILb0ES3_S5_NS0_18transform_iteratorINS0_17counting_iteratorImlEEZNS1_24adjacent_difference_implIS3_Lb1ELb0EPKaPaN6thrust23THRUST_200600_302600_NS4plusIaEEEE10hipError_tPvRmT2_T3_mT4_P12ihipStream_tbEUlmE_aEESD_NS0_8identityIvEEEESI_SL_SM_mSN_SP_bEUlT_E_NS1_11comp_targetILNS1_3genE10ELNS1_11target_archE1201ELNS1_3gpuE5ELNS1_3repE0EEENS1_30default_config_static_selectorELNS0_4arch9wavefront6targetE1EEEvT1_: ; @_ZN7rocprim17ROCPRIM_400000_NS6detail17trampoline_kernelINS0_14default_configENS1_25transform_config_selectorIaLb0EEEZNS1_14transform_implILb0ES3_S5_NS0_18transform_iteratorINS0_17counting_iteratorImlEEZNS1_24adjacent_difference_implIS3_Lb1ELb0EPKaPaN6thrust23THRUST_200600_302600_NS4plusIaEEEE10hipError_tPvRmT2_T3_mT4_P12ihipStream_tbEUlmE_aEESD_NS0_8identityIvEEEESI_SL_SM_mSN_SP_bEUlT_E_NS1_11comp_targetILNS1_3genE10ELNS1_11target_archE1201ELNS1_3gpuE5ELNS1_3repE0EEENS1_30default_config_static_selectorELNS0_4arch9wavefront6targetE1EEEvT1_
; %bb.0:
	.section	.rodata,"a",@progbits
	.p2align	6, 0x0
	.amdhsa_kernel _ZN7rocprim17ROCPRIM_400000_NS6detail17trampoline_kernelINS0_14default_configENS1_25transform_config_selectorIaLb0EEEZNS1_14transform_implILb0ES3_S5_NS0_18transform_iteratorINS0_17counting_iteratorImlEEZNS1_24adjacent_difference_implIS3_Lb1ELb0EPKaPaN6thrust23THRUST_200600_302600_NS4plusIaEEEE10hipError_tPvRmT2_T3_mT4_P12ihipStream_tbEUlmE_aEESD_NS0_8identityIvEEEESI_SL_SM_mSN_SP_bEUlT_E_NS1_11comp_targetILNS1_3genE10ELNS1_11target_archE1201ELNS1_3gpuE5ELNS1_3repE0EEENS1_30default_config_static_selectorELNS0_4arch9wavefront6targetE1EEEvT1_
		.amdhsa_group_segment_fixed_size 0
		.amdhsa_private_segment_fixed_size 0
		.amdhsa_kernarg_size 56
		.amdhsa_user_sgpr_count 6
		.amdhsa_user_sgpr_private_segment_buffer 1
		.amdhsa_user_sgpr_dispatch_ptr 0
		.amdhsa_user_sgpr_queue_ptr 0
		.amdhsa_user_sgpr_kernarg_segment_ptr 1
		.amdhsa_user_sgpr_dispatch_id 0
		.amdhsa_user_sgpr_flat_scratch_init 0
		.amdhsa_user_sgpr_kernarg_preload_length 0
		.amdhsa_user_sgpr_kernarg_preload_offset 0
		.amdhsa_user_sgpr_private_segment_size 0
		.amdhsa_uses_dynamic_stack 0
		.amdhsa_system_sgpr_private_segment_wavefront_offset 0
		.amdhsa_system_sgpr_workgroup_id_x 1
		.amdhsa_system_sgpr_workgroup_id_y 0
		.amdhsa_system_sgpr_workgroup_id_z 0
		.amdhsa_system_sgpr_workgroup_info 0
		.amdhsa_system_vgpr_workitem_id 0
		.amdhsa_next_free_vgpr 1
		.amdhsa_next_free_sgpr 0
		.amdhsa_accum_offset 4
		.amdhsa_reserve_vcc 0
		.amdhsa_reserve_flat_scratch 0
		.amdhsa_float_round_mode_32 0
		.amdhsa_float_round_mode_16_64 0
		.amdhsa_float_denorm_mode_32 3
		.amdhsa_float_denorm_mode_16_64 3
		.amdhsa_dx10_clamp 1
		.amdhsa_ieee_mode 1
		.amdhsa_fp16_overflow 0
		.amdhsa_tg_split 0
		.amdhsa_exception_fp_ieee_invalid_op 0
		.amdhsa_exception_fp_denorm_src 0
		.amdhsa_exception_fp_ieee_div_zero 0
		.amdhsa_exception_fp_ieee_overflow 0
		.amdhsa_exception_fp_ieee_underflow 0
		.amdhsa_exception_fp_ieee_inexact 0
		.amdhsa_exception_int_div_zero 0
	.end_amdhsa_kernel
	.section	.text._ZN7rocprim17ROCPRIM_400000_NS6detail17trampoline_kernelINS0_14default_configENS1_25transform_config_selectorIaLb0EEEZNS1_14transform_implILb0ES3_S5_NS0_18transform_iteratorINS0_17counting_iteratorImlEEZNS1_24adjacent_difference_implIS3_Lb1ELb0EPKaPaN6thrust23THRUST_200600_302600_NS4plusIaEEEE10hipError_tPvRmT2_T3_mT4_P12ihipStream_tbEUlmE_aEESD_NS0_8identityIvEEEESI_SL_SM_mSN_SP_bEUlT_E_NS1_11comp_targetILNS1_3genE10ELNS1_11target_archE1201ELNS1_3gpuE5ELNS1_3repE0EEENS1_30default_config_static_selectorELNS0_4arch9wavefront6targetE1EEEvT1_,"axG",@progbits,_ZN7rocprim17ROCPRIM_400000_NS6detail17trampoline_kernelINS0_14default_configENS1_25transform_config_selectorIaLb0EEEZNS1_14transform_implILb0ES3_S5_NS0_18transform_iteratorINS0_17counting_iteratorImlEEZNS1_24adjacent_difference_implIS3_Lb1ELb0EPKaPaN6thrust23THRUST_200600_302600_NS4plusIaEEEE10hipError_tPvRmT2_T3_mT4_P12ihipStream_tbEUlmE_aEESD_NS0_8identityIvEEEESI_SL_SM_mSN_SP_bEUlT_E_NS1_11comp_targetILNS1_3genE10ELNS1_11target_archE1201ELNS1_3gpuE5ELNS1_3repE0EEENS1_30default_config_static_selectorELNS0_4arch9wavefront6targetE1EEEvT1_,comdat
.Lfunc_end479:
	.size	_ZN7rocprim17ROCPRIM_400000_NS6detail17trampoline_kernelINS0_14default_configENS1_25transform_config_selectorIaLb0EEEZNS1_14transform_implILb0ES3_S5_NS0_18transform_iteratorINS0_17counting_iteratorImlEEZNS1_24adjacent_difference_implIS3_Lb1ELb0EPKaPaN6thrust23THRUST_200600_302600_NS4plusIaEEEE10hipError_tPvRmT2_T3_mT4_P12ihipStream_tbEUlmE_aEESD_NS0_8identityIvEEEESI_SL_SM_mSN_SP_bEUlT_E_NS1_11comp_targetILNS1_3genE10ELNS1_11target_archE1201ELNS1_3gpuE5ELNS1_3repE0EEENS1_30default_config_static_selectorELNS0_4arch9wavefront6targetE1EEEvT1_, .Lfunc_end479-_ZN7rocprim17ROCPRIM_400000_NS6detail17trampoline_kernelINS0_14default_configENS1_25transform_config_selectorIaLb0EEEZNS1_14transform_implILb0ES3_S5_NS0_18transform_iteratorINS0_17counting_iteratorImlEEZNS1_24adjacent_difference_implIS3_Lb1ELb0EPKaPaN6thrust23THRUST_200600_302600_NS4plusIaEEEE10hipError_tPvRmT2_T3_mT4_P12ihipStream_tbEUlmE_aEESD_NS0_8identityIvEEEESI_SL_SM_mSN_SP_bEUlT_E_NS1_11comp_targetILNS1_3genE10ELNS1_11target_archE1201ELNS1_3gpuE5ELNS1_3repE0EEENS1_30default_config_static_selectorELNS0_4arch9wavefront6targetE1EEEvT1_
                                        ; -- End function
	.section	.AMDGPU.csdata,"",@progbits
; Kernel info:
; codeLenInByte = 0
; NumSgprs: 4
; NumVgprs: 0
; NumAgprs: 0
; TotalNumVgprs: 0
; ScratchSize: 0
; MemoryBound: 0
; FloatMode: 240
; IeeeMode: 1
; LDSByteSize: 0 bytes/workgroup (compile time only)
; SGPRBlocks: 0
; VGPRBlocks: 0
; NumSGPRsForWavesPerEU: 4
; NumVGPRsForWavesPerEU: 1
; AccumOffset: 4
; Occupancy: 8
; WaveLimiterHint : 0
; COMPUTE_PGM_RSRC2:SCRATCH_EN: 0
; COMPUTE_PGM_RSRC2:USER_SGPR: 6
; COMPUTE_PGM_RSRC2:TRAP_HANDLER: 0
; COMPUTE_PGM_RSRC2:TGID_X_EN: 1
; COMPUTE_PGM_RSRC2:TGID_Y_EN: 0
; COMPUTE_PGM_RSRC2:TGID_Z_EN: 0
; COMPUTE_PGM_RSRC2:TIDIG_COMP_CNT: 0
; COMPUTE_PGM_RSRC3_GFX90A:ACCUM_OFFSET: 0
; COMPUTE_PGM_RSRC3_GFX90A:TG_SPLIT: 0
	.section	.text._ZN7rocprim17ROCPRIM_400000_NS6detail17trampoline_kernelINS0_14default_configENS1_25transform_config_selectorIaLb0EEEZNS1_14transform_implILb0ES3_S5_NS0_18transform_iteratorINS0_17counting_iteratorImlEEZNS1_24adjacent_difference_implIS3_Lb1ELb0EPKaPaN6thrust23THRUST_200600_302600_NS4plusIaEEEE10hipError_tPvRmT2_T3_mT4_P12ihipStream_tbEUlmE_aEESD_NS0_8identityIvEEEESI_SL_SM_mSN_SP_bEUlT_E_NS1_11comp_targetILNS1_3genE10ELNS1_11target_archE1200ELNS1_3gpuE4ELNS1_3repE0EEENS1_30default_config_static_selectorELNS0_4arch9wavefront6targetE1EEEvT1_,"axG",@progbits,_ZN7rocprim17ROCPRIM_400000_NS6detail17trampoline_kernelINS0_14default_configENS1_25transform_config_selectorIaLb0EEEZNS1_14transform_implILb0ES3_S5_NS0_18transform_iteratorINS0_17counting_iteratorImlEEZNS1_24adjacent_difference_implIS3_Lb1ELb0EPKaPaN6thrust23THRUST_200600_302600_NS4plusIaEEEE10hipError_tPvRmT2_T3_mT4_P12ihipStream_tbEUlmE_aEESD_NS0_8identityIvEEEESI_SL_SM_mSN_SP_bEUlT_E_NS1_11comp_targetILNS1_3genE10ELNS1_11target_archE1200ELNS1_3gpuE4ELNS1_3repE0EEENS1_30default_config_static_selectorELNS0_4arch9wavefront6targetE1EEEvT1_,comdat
	.protected	_ZN7rocprim17ROCPRIM_400000_NS6detail17trampoline_kernelINS0_14default_configENS1_25transform_config_selectorIaLb0EEEZNS1_14transform_implILb0ES3_S5_NS0_18transform_iteratorINS0_17counting_iteratorImlEEZNS1_24adjacent_difference_implIS3_Lb1ELb0EPKaPaN6thrust23THRUST_200600_302600_NS4plusIaEEEE10hipError_tPvRmT2_T3_mT4_P12ihipStream_tbEUlmE_aEESD_NS0_8identityIvEEEESI_SL_SM_mSN_SP_bEUlT_E_NS1_11comp_targetILNS1_3genE10ELNS1_11target_archE1200ELNS1_3gpuE4ELNS1_3repE0EEENS1_30default_config_static_selectorELNS0_4arch9wavefront6targetE1EEEvT1_ ; -- Begin function _ZN7rocprim17ROCPRIM_400000_NS6detail17trampoline_kernelINS0_14default_configENS1_25transform_config_selectorIaLb0EEEZNS1_14transform_implILb0ES3_S5_NS0_18transform_iteratorINS0_17counting_iteratorImlEEZNS1_24adjacent_difference_implIS3_Lb1ELb0EPKaPaN6thrust23THRUST_200600_302600_NS4plusIaEEEE10hipError_tPvRmT2_T3_mT4_P12ihipStream_tbEUlmE_aEESD_NS0_8identityIvEEEESI_SL_SM_mSN_SP_bEUlT_E_NS1_11comp_targetILNS1_3genE10ELNS1_11target_archE1200ELNS1_3gpuE4ELNS1_3repE0EEENS1_30default_config_static_selectorELNS0_4arch9wavefront6targetE1EEEvT1_
	.globl	_ZN7rocprim17ROCPRIM_400000_NS6detail17trampoline_kernelINS0_14default_configENS1_25transform_config_selectorIaLb0EEEZNS1_14transform_implILb0ES3_S5_NS0_18transform_iteratorINS0_17counting_iteratorImlEEZNS1_24adjacent_difference_implIS3_Lb1ELb0EPKaPaN6thrust23THRUST_200600_302600_NS4plusIaEEEE10hipError_tPvRmT2_T3_mT4_P12ihipStream_tbEUlmE_aEESD_NS0_8identityIvEEEESI_SL_SM_mSN_SP_bEUlT_E_NS1_11comp_targetILNS1_3genE10ELNS1_11target_archE1200ELNS1_3gpuE4ELNS1_3repE0EEENS1_30default_config_static_selectorELNS0_4arch9wavefront6targetE1EEEvT1_
	.p2align	8
	.type	_ZN7rocprim17ROCPRIM_400000_NS6detail17trampoline_kernelINS0_14default_configENS1_25transform_config_selectorIaLb0EEEZNS1_14transform_implILb0ES3_S5_NS0_18transform_iteratorINS0_17counting_iteratorImlEEZNS1_24adjacent_difference_implIS3_Lb1ELb0EPKaPaN6thrust23THRUST_200600_302600_NS4plusIaEEEE10hipError_tPvRmT2_T3_mT4_P12ihipStream_tbEUlmE_aEESD_NS0_8identityIvEEEESI_SL_SM_mSN_SP_bEUlT_E_NS1_11comp_targetILNS1_3genE10ELNS1_11target_archE1200ELNS1_3gpuE4ELNS1_3repE0EEENS1_30default_config_static_selectorELNS0_4arch9wavefront6targetE1EEEvT1_,@function
_ZN7rocprim17ROCPRIM_400000_NS6detail17trampoline_kernelINS0_14default_configENS1_25transform_config_selectorIaLb0EEEZNS1_14transform_implILb0ES3_S5_NS0_18transform_iteratorINS0_17counting_iteratorImlEEZNS1_24adjacent_difference_implIS3_Lb1ELb0EPKaPaN6thrust23THRUST_200600_302600_NS4plusIaEEEE10hipError_tPvRmT2_T3_mT4_P12ihipStream_tbEUlmE_aEESD_NS0_8identityIvEEEESI_SL_SM_mSN_SP_bEUlT_E_NS1_11comp_targetILNS1_3genE10ELNS1_11target_archE1200ELNS1_3gpuE4ELNS1_3repE0EEENS1_30default_config_static_selectorELNS0_4arch9wavefront6targetE1EEEvT1_: ; @_ZN7rocprim17ROCPRIM_400000_NS6detail17trampoline_kernelINS0_14default_configENS1_25transform_config_selectorIaLb0EEEZNS1_14transform_implILb0ES3_S5_NS0_18transform_iteratorINS0_17counting_iteratorImlEEZNS1_24adjacent_difference_implIS3_Lb1ELb0EPKaPaN6thrust23THRUST_200600_302600_NS4plusIaEEEE10hipError_tPvRmT2_T3_mT4_P12ihipStream_tbEUlmE_aEESD_NS0_8identityIvEEEESI_SL_SM_mSN_SP_bEUlT_E_NS1_11comp_targetILNS1_3genE10ELNS1_11target_archE1200ELNS1_3gpuE4ELNS1_3repE0EEENS1_30default_config_static_selectorELNS0_4arch9wavefront6targetE1EEEvT1_
; %bb.0:
	.section	.rodata,"a",@progbits
	.p2align	6, 0x0
	.amdhsa_kernel _ZN7rocprim17ROCPRIM_400000_NS6detail17trampoline_kernelINS0_14default_configENS1_25transform_config_selectorIaLb0EEEZNS1_14transform_implILb0ES3_S5_NS0_18transform_iteratorINS0_17counting_iteratorImlEEZNS1_24adjacent_difference_implIS3_Lb1ELb0EPKaPaN6thrust23THRUST_200600_302600_NS4plusIaEEEE10hipError_tPvRmT2_T3_mT4_P12ihipStream_tbEUlmE_aEESD_NS0_8identityIvEEEESI_SL_SM_mSN_SP_bEUlT_E_NS1_11comp_targetILNS1_3genE10ELNS1_11target_archE1200ELNS1_3gpuE4ELNS1_3repE0EEENS1_30default_config_static_selectorELNS0_4arch9wavefront6targetE1EEEvT1_
		.amdhsa_group_segment_fixed_size 0
		.amdhsa_private_segment_fixed_size 0
		.amdhsa_kernarg_size 56
		.amdhsa_user_sgpr_count 6
		.amdhsa_user_sgpr_private_segment_buffer 1
		.amdhsa_user_sgpr_dispatch_ptr 0
		.amdhsa_user_sgpr_queue_ptr 0
		.amdhsa_user_sgpr_kernarg_segment_ptr 1
		.amdhsa_user_sgpr_dispatch_id 0
		.amdhsa_user_sgpr_flat_scratch_init 0
		.amdhsa_user_sgpr_kernarg_preload_length 0
		.amdhsa_user_sgpr_kernarg_preload_offset 0
		.amdhsa_user_sgpr_private_segment_size 0
		.amdhsa_uses_dynamic_stack 0
		.amdhsa_system_sgpr_private_segment_wavefront_offset 0
		.amdhsa_system_sgpr_workgroup_id_x 1
		.amdhsa_system_sgpr_workgroup_id_y 0
		.amdhsa_system_sgpr_workgroup_id_z 0
		.amdhsa_system_sgpr_workgroup_info 0
		.amdhsa_system_vgpr_workitem_id 0
		.amdhsa_next_free_vgpr 1
		.amdhsa_next_free_sgpr 0
		.amdhsa_accum_offset 4
		.amdhsa_reserve_vcc 0
		.amdhsa_reserve_flat_scratch 0
		.amdhsa_float_round_mode_32 0
		.amdhsa_float_round_mode_16_64 0
		.amdhsa_float_denorm_mode_32 3
		.amdhsa_float_denorm_mode_16_64 3
		.amdhsa_dx10_clamp 1
		.amdhsa_ieee_mode 1
		.amdhsa_fp16_overflow 0
		.amdhsa_tg_split 0
		.amdhsa_exception_fp_ieee_invalid_op 0
		.amdhsa_exception_fp_denorm_src 0
		.amdhsa_exception_fp_ieee_div_zero 0
		.amdhsa_exception_fp_ieee_overflow 0
		.amdhsa_exception_fp_ieee_underflow 0
		.amdhsa_exception_fp_ieee_inexact 0
		.amdhsa_exception_int_div_zero 0
	.end_amdhsa_kernel
	.section	.text._ZN7rocprim17ROCPRIM_400000_NS6detail17trampoline_kernelINS0_14default_configENS1_25transform_config_selectorIaLb0EEEZNS1_14transform_implILb0ES3_S5_NS0_18transform_iteratorINS0_17counting_iteratorImlEEZNS1_24adjacent_difference_implIS3_Lb1ELb0EPKaPaN6thrust23THRUST_200600_302600_NS4plusIaEEEE10hipError_tPvRmT2_T3_mT4_P12ihipStream_tbEUlmE_aEESD_NS0_8identityIvEEEESI_SL_SM_mSN_SP_bEUlT_E_NS1_11comp_targetILNS1_3genE10ELNS1_11target_archE1200ELNS1_3gpuE4ELNS1_3repE0EEENS1_30default_config_static_selectorELNS0_4arch9wavefront6targetE1EEEvT1_,"axG",@progbits,_ZN7rocprim17ROCPRIM_400000_NS6detail17trampoline_kernelINS0_14default_configENS1_25transform_config_selectorIaLb0EEEZNS1_14transform_implILb0ES3_S5_NS0_18transform_iteratorINS0_17counting_iteratorImlEEZNS1_24adjacent_difference_implIS3_Lb1ELb0EPKaPaN6thrust23THRUST_200600_302600_NS4plusIaEEEE10hipError_tPvRmT2_T3_mT4_P12ihipStream_tbEUlmE_aEESD_NS0_8identityIvEEEESI_SL_SM_mSN_SP_bEUlT_E_NS1_11comp_targetILNS1_3genE10ELNS1_11target_archE1200ELNS1_3gpuE4ELNS1_3repE0EEENS1_30default_config_static_selectorELNS0_4arch9wavefront6targetE1EEEvT1_,comdat
.Lfunc_end480:
	.size	_ZN7rocprim17ROCPRIM_400000_NS6detail17trampoline_kernelINS0_14default_configENS1_25transform_config_selectorIaLb0EEEZNS1_14transform_implILb0ES3_S5_NS0_18transform_iteratorINS0_17counting_iteratorImlEEZNS1_24adjacent_difference_implIS3_Lb1ELb0EPKaPaN6thrust23THRUST_200600_302600_NS4plusIaEEEE10hipError_tPvRmT2_T3_mT4_P12ihipStream_tbEUlmE_aEESD_NS0_8identityIvEEEESI_SL_SM_mSN_SP_bEUlT_E_NS1_11comp_targetILNS1_3genE10ELNS1_11target_archE1200ELNS1_3gpuE4ELNS1_3repE0EEENS1_30default_config_static_selectorELNS0_4arch9wavefront6targetE1EEEvT1_, .Lfunc_end480-_ZN7rocprim17ROCPRIM_400000_NS6detail17trampoline_kernelINS0_14default_configENS1_25transform_config_selectorIaLb0EEEZNS1_14transform_implILb0ES3_S5_NS0_18transform_iteratorINS0_17counting_iteratorImlEEZNS1_24adjacent_difference_implIS3_Lb1ELb0EPKaPaN6thrust23THRUST_200600_302600_NS4plusIaEEEE10hipError_tPvRmT2_T3_mT4_P12ihipStream_tbEUlmE_aEESD_NS0_8identityIvEEEESI_SL_SM_mSN_SP_bEUlT_E_NS1_11comp_targetILNS1_3genE10ELNS1_11target_archE1200ELNS1_3gpuE4ELNS1_3repE0EEENS1_30default_config_static_selectorELNS0_4arch9wavefront6targetE1EEEvT1_
                                        ; -- End function
	.section	.AMDGPU.csdata,"",@progbits
; Kernel info:
; codeLenInByte = 0
; NumSgprs: 4
; NumVgprs: 0
; NumAgprs: 0
; TotalNumVgprs: 0
; ScratchSize: 0
; MemoryBound: 0
; FloatMode: 240
; IeeeMode: 1
; LDSByteSize: 0 bytes/workgroup (compile time only)
; SGPRBlocks: 0
; VGPRBlocks: 0
; NumSGPRsForWavesPerEU: 4
; NumVGPRsForWavesPerEU: 1
; AccumOffset: 4
; Occupancy: 8
; WaveLimiterHint : 0
; COMPUTE_PGM_RSRC2:SCRATCH_EN: 0
; COMPUTE_PGM_RSRC2:USER_SGPR: 6
; COMPUTE_PGM_RSRC2:TRAP_HANDLER: 0
; COMPUTE_PGM_RSRC2:TGID_X_EN: 1
; COMPUTE_PGM_RSRC2:TGID_Y_EN: 0
; COMPUTE_PGM_RSRC2:TGID_Z_EN: 0
; COMPUTE_PGM_RSRC2:TIDIG_COMP_CNT: 0
; COMPUTE_PGM_RSRC3_GFX90A:ACCUM_OFFSET: 0
; COMPUTE_PGM_RSRC3_GFX90A:TG_SPLIT: 0
	.section	.text._ZN7rocprim17ROCPRIM_400000_NS6detail17trampoline_kernelINS0_14default_configENS1_25transform_config_selectorIaLb0EEEZNS1_14transform_implILb0ES3_S5_NS0_18transform_iteratorINS0_17counting_iteratorImlEEZNS1_24adjacent_difference_implIS3_Lb1ELb0EPKaPaN6thrust23THRUST_200600_302600_NS4plusIaEEEE10hipError_tPvRmT2_T3_mT4_P12ihipStream_tbEUlmE_aEESD_NS0_8identityIvEEEESI_SL_SM_mSN_SP_bEUlT_E_NS1_11comp_targetILNS1_3genE9ELNS1_11target_archE1100ELNS1_3gpuE3ELNS1_3repE0EEENS1_30default_config_static_selectorELNS0_4arch9wavefront6targetE1EEEvT1_,"axG",@progbits,_ZN7rocprim17ROCPRIM_400000_NS6detail17trampoline_kernelINS0_14default_configENS1_25transform_config_selectorIaLb0EEEZNS1_14transform_implILb0ES3_S5_NS0_18transform_iteratorINS0_17counting_iteratorImlEEZNS1_24adjacent_difference_implIS3_Lb1ELb0EPKaPaN6thrust23THRUST_200600_302600_NS4plusIaEEEE10hipError_tPvRmT2_T3_mT4_P12ihipStream_tbEUlmE_aEESD_NS0_8identityIvEEEESI_SL_SM_mSN_SP_bEUlT_E_NS1_11comp_targetILNS1_3genE9ELNS1_11target_archE1100ELNS1_3gpuE3ELNS1_3repE0EEENS1_30default_config_static_selectorELNS0_4arch9wavefront6targetE1EEEvT1_,comdat
	.protected	_ZN7rocprim17ROCPRIM_400000_NS6detail17trampoline_kernelINS0_14default_configENS1_25transform_config_selectorIaLb0EEEZNS1_14transform_implILb0ES3_S5_NS0_18transform_iteratorINS0_17counting_iteratorImlEEZNS1_24adjacent_difference_implIS3_Lb1ELb0EPKaPaN6thrust23THRUST_200600_302600_NS4plusIaEEEE10hipError_tPvRmT2_T3_mT4_P12ihipStream_tbEUlmE_aEESD_NS0_8identityIvEEEESI_SL_SM_mSN_SP_bEUlT_E_NS1_11comp_targetILNS1_3genE9ELNS1_11target_archE1100ELNS1_3gpuE3ELNS1_3repE0EEENS1_30default_config_static_selectorELNS0_4arch9wavefront6targetE1EEEvT1_ ; -- Begin function _ZN7rocprim17ROCPRIM_400000_NS6detail17trampoline_kernelINS0_14default_configENS1_25transform_config_selectorIaLb0EEEZNS1_14transform_implILb0ES3_S5_NS0_18transform_iteratorINS0_17counting_iteratorImlEEZNS1_24adjacent_difference_implIS3_Lb1ELb0EPKaPaN6thrust23THRUST_200600_302600_NS4plusIaEEEE10hipError_tPvRmT2_T3_mT4_P12ihipStream_tbEUlmE_aEESD_NS0_8identityIvEEEESI_SL_SM_mSN_SP_bEUlT_E_NS1_11comp_targetILNS1_3genE9ELNS1_11target_archE1100ELNS1_3gpuE3ELNS1_3repE0EEENS1_30default_config_static_selectorELNS0_4arch9wavefront6targetE1EEEvT1_
	.globl	_ZN7rocprim17ROCPRIM_400000_NS6detail17trampoline_kernelINS0_14default_configENS1_25transform_config_selectorIaLb0EEEZNS1_14transform_implILb0ES3_S5_NS0_18transform_iteratorINS0_17counting_iteratorImlEEZNS1_24adjacent_difference_implIS3_Lb1ELb0EPKaPaN6thrust23THRUST_200600_302600_NS4plusIaEEEE10hipError_tPvRmT2_T3_mT4_P12ihipStream_tbEUlmE_aEESD_NS0_8identityIvEEEESI_SL_SM_mSN_SP_bEUlT_E_NS1_11comp_targetILNS1_3genE9ELNS1_11target_archE1100ELNS1_3gpuE3ELNS1_3repE0EEENS1_30default_config_static_selectorELNS0_4arch9wavefront6targetE1EEEvT1_
	.p2align	8
	.type	_ZN7rocprim17ROCPRIM_400000_NS6detail17trampoline_kernelINS0_14default_configENS1_25transform_config_selectorIaLb0EEEZNS1_14transform_implILb0ES3_S5_NS0_18transform_iteratorINS0_17counting_iteratorImlEEZNS1_24adjacent_difference_implIS3_Lb1ELb0EPKaPaN6thrust23THRUST_200600_302600_NS4plusIaEEEE10hipError_tPvRmT2_T3_mT4_P12ihipStream_tbEUlmE_aEESD_NS0_8identityIvEEEESI_SL_SM_mSN_SP_bEUlT_E_NS1_11comp_targetILNS1_3genE9ELNS1_11target_archE1100ELNS1_3gpuE3ELNS1_3repE0EEENS1_30default_config_static_selectorELNS0_4arch9wavefront6targetE1EEEvT1_,@function
_ZN7rocprim17ROCPRIM_400000_NS6detail17trampoline_kernelINS0_14default_configENS1_25transform_config_selectorIaLb0EEEZNS1_14transform_implILb0ES3_S5_NS0_18transform_iteratorINS0_17counting_iteratorImlEEZNS1_24adjacent_difference_implIS3_Lb1ELb0EPKaPaN6thrust23THRUST_200600_302600_NS4plusIaEEEE10hipError_tPvRmT2_T3_mT4_P12ihipStream_tbEUlmE_aEESD_NS0_8identityIvEEEESI_SL_SM_mSN_SP_bEUlT_E_NS1_11comp_targetILNS1_3genE9ELNS1_11target_archE1100ELNS1_3gpuE3ELNS1_3repE0EEENS1_30default_config_static_selectorELNS0_4arch9wavefront6targetE1EEEvT1_: ; @_ZN7rocprim17ROCPRIM_400000_NS6detail17trampoline_kernelINS0_14default_configENS1_25transform_config_selectorIaLb0EEEZNS1_14transform_implILb0ES3_S5_NS0_18transform_iteratorINS0_17counting_iteratorImlEEZNS1_24adjacent_difference_implIS3_Lb1ELb0EPKaPaN6thrust23THRUST_200600_302600_NS4plusIaEEEE10hipError_tPvRmT2_T3_mT4_P12ihipStream_tbEUlmE_aEESD_NS0_8identityIvEEEESI_SL_SM_mSN_SP_bEUlT_E_NS1_11comp_targetILNS1_3genE9ELNS1_11target_archE1100ELNS1_3gpuE3ELNS1_3repE0EEENS1_30default_config_static_selectorELNS0_4arch9wavefront6targetE1EEEvT1_
; %bb.0:
	.section	.rodata,"a",@progbits
	.p2align	6, 0x0
	.amdhsa_kernel _ZN7rocprim17ROCPRIM_400000_NS6detail17trampoline_kernelINS0_14default_configENS1_25transform_config_selectorIaLb0EEEZNS1_14transform_implILb0ES3_S5_NS0_18transform_iteratorINS0_17counting_iteratorImlEEZNS1_24adjacent_difference_implIS3_Lb1ELb0EPKaPaN6thrust23THRUST_200600_302600_NS4plusIaEEEE10hipError_tPvRmT2_T3_mT4_P12ihipStream_tbEUlmE_aEESD_NS0_8identityIvEEEESI_SL_SM_mSN_SP_bEUlT_E_NS1_11comp_targetILNS1_3genE9ELNS1_11target_archE1100ELNS1_3gpuE3ELNS1_3repE0EEENS1_30default_config_static_selectorELNS0_4arch9wavefront6targetE1EEEvT1_
		.amdhsa_group_segment_fixed_size 0
		.amdhsa_private_segment_fixed_size 0
		.amdhsa_kernarg_size 56
		.amdhsa_user_sgpr_count 6
		.amdhsa_user_sgpr_private_segment_buffer 1
		.amdhsa_user_sgpr_dispatch_ptr 0
		.amdhsa_user_sgpr_queue_ptr 0
		.amdhsa_user_sgpr_kernarg_segment_ptr 1
		.amdhsa_user_sgpr_dispatch_id 0
		.amdhsa_user_sgpr_flat_scratch_init 0
		.amdhsa_user_sgpr_kernarg_preload_length 0
		.amdhsa_user_sgpr_kernarg_preload_offset 0
		.amdhsa_user_sgpr_private_segment_size 0
		.amdhsa_uses_dynamic_stack 0
		.amdhsa_system_sgpr_private_segment_wavefront_offset 0
		.amdhsa_system_sgpr_workgroup_id_x 1
		.amdhsa_system_sgpr_workgroup_id_y 0
		.amdhsa_system_sgpr_workgroup_id_z 0
		.amdhsa_system_sgpr_workgroup_info 0
		.amdhsa_system_vgpr_workitem_id 0
		.amdhsa_next_free_vgpr 1
		.amdhsa_next_free_sgpr 0
		.amdhsa_accum_offset 4
		.amdhsa_reserve_vcc 0
		.amdhsa_reserve_flat_scratch 0
		.amdhsa_float_round_mode_32 0
		.amdhsa_float_round_mode_16_64 0
		.amdhsa_float_denorm_mode_32 3
		.amdhsa_float_denorm_mode_16_64 3
		.amdhsa_dx10_clamp 1
		.amdhsa_ieee_mode 1
		.amdhsa_fp16_overflow 0
		.amdhsa_tg_split 0
		.amdhsa_exception_fp_ieee_invalid_op 0
		.amdhsa_exception_fp_denorm_src 0
		.amdhsa_exception_fp_ieee_div_zero 0
		.amdhsa_exception_fp_ieee_overflow 0
		.amdhsa_exception_fp_ieee_underflow 0
		.amdhsa_exception_fp_ieee_inexact 0
		.amdhsa_exception_int_div_zero 0
	.end_amdhsa_kernel
	.section	.text._ZN7rocprim17ROCPRIM_400000_NS6detail17trampoline_kernelINS0_14default_configENS1_25transform_config_selectorIaLb0EEEZNS1_14transform_implILb0ES3_S5_NS0_18transform_iteratorINS0_17counting_iteratorImlEEZNS1_24adjacent_difference_implIS3_Lb1ELb0EPKaPaN6thrust23THRUST_200600_302600_NS4plusIaEEEE10hipError_tPvRmT2_T3_mT4_P12ihipStream_tbEUlmE_aEESD_NS0_8identityIvEEEESI_SL_SM_mSN_SP_bEUlT_E_NS1_11comp_targetILNS1_3genE9ELNS1_11target_archE1100ELNS1_3gpuE3ELNS1_3repE0EEENS1_30default_config_static_selectorELNS0_4arch9wavefront6targetE1EEEvT1_,"axG",@progbits,_ZN7rocprim17ROCPRIM_400000_NS6detail17trampoline_kernelINS0_14default_configENS1_25transform_config_selectorIaLb0EEEZNS1_14transform_implILb0ES3_S5_NS0_18transform_iteratorINS0_17counting_iteratorImlEEZNS1_24adjacent_difference_implIS3_Lb1ELb0EPKaPaN6thrust23THRUST_200600_302600_NS4plusIaEEEE10hipError_tPvRmT2_T3_mT4_P12ihipStream_tbEUlmE_aEESD_NS0_8identityIvEEEESI_SL_SM_mSN_SP_bEUlT_E_NS1_11comp_targetILNS1_3genE9ELNS1_11target_archE1100ELNS1_3gpuE3ELNS1_3repE0EEENS1_30default_config_static_selectorELNS0_4arch9wavefront6targetE1EEEvT1_,comdat
.Lfunc_end481:
	.size	_ZN7rocprim17ROCPRIM_400000_NS6detail17trampoline_kernelINS0_14default_configENS1_25transform_config_selectorIaLb0EEEZNS1_14transform_implILb0ES3_S5_NS0_18transform_iteratorINS0_17counting_iteratorImlEEZNS1_24adjacent_difference_implIS3_Lb1ELb0EPKaPaN6thrust23THRUST_200600_302600_NS4plusIaEEEE10hipError_tPvRmT2_T3_mT4_P12ihipStream_tbEUlmE_aEESD_NS0_8identityIvEEEESI_SL_SM_mSN_SP_bEUlT_E_NS1_11comp_targetILNS1_3genE9ELNS1_11target_archE1100ELNS1_3gpuE3ELNS1_3repE0EEENS1_30default_config_static_selectorELNS0_4arch9wavefront6targetE1EEEvT1_, .Lfunc_end481-_ZN7rocprim17ROCPRIM_400000_NS6detail17trampoline_kernelINS0_14default_configENS1_25transform_config_selectorIaLb0EEEZNS1_14transform_implILb0ES3_S5_NS0_18transform_iteratorINS0_17counting_iteratorImlEEZNS1_24adjacent_difference_implIS3_Lb1ELb0EPKaPaN6thrust23THRUST_200600_302600_NS4plusIaEEEE10hipError_tPvRmT2_T3_mT4_P12ihipStream_tbEUlmE_aEESD_NS0_8identityIvEEEESI_SL_SM_mSN_SP_bEUlT_E_NS1_11comp_targetILNS1_3genE9ELNS1_11target_archE1100ELNS1_3gpuE3ELNS1_3repE0EEENS1_30default_config_static_selectorELNS0_4arch9wavefront6targetE1EEEvT1_
                                        ; -- End function
	.section	.AMDGPU.csdata,"",@progbits
; Kernel info:
; codeLenInByte = 0
; NumSgprs: 4
; NumVgprs: 0
; NumAgprs: 0
; TotalNumVgprs: 0
; ScratchSize: 0
; MemoryBound: 0
; FloatMode: 240
; IeeeMode: 1
; LDSByteSize: 0 bytes/workgroup (compile time only)
; SGPRBlocks: 0
; VGPRBlocks: 0
; NumSGPRsForWavesPerEU: 4
; NumVGPRsForWavesPerEU: 1
; AccumOffset: 4
; Occupancy: 8
; WaveLimiterHint : 0
; COMPUTE_PGM_RSRC2:SCRATCH_EN: 0
; COMPUTE_PGM_RSRC2:USER_SGPR: 6
; COMPUTE_PGM_RSRC2:TRAP_HANDLER: 0
; COMPUTE_PGM_RSRC2:TGID_X_EN: 1
; COMPUTE_PGM_RSRC2:TGID_Y_EN: 0
; COMPUTE_PGM_RSRC2:TGID_Z_EN: 0
; COMPUTE_PGM_RSRC2:TIDIG_COMP_CNT: 0
; COMPUTE_PGM_RSRC3_GFX90A:ACCUM_OFFSET: 0
; COMPUTE_PGM_RSRC3_GFX90A:TG_SPLIT: 0
	.section	.text._ZN7rocprim17ROCPRIM_400000_NS6detail17trampoline_kernelINS0_14default_configENS1_25transform_config_selectorIaLb0EEEZNS1_14transform_implILb0ES3_S5_NS0_18transform_iteratorINS0_17counting_iteratorImlEEZNS1_24adjacent_difference_implIS3_Lb1ELb0EPKaPaN6thrust23THRUST_200600_302600_NS4plusIaEEEE10hipError_tPvRmT2_T3_mT4_P12ihipStream_tbEUlmE_aEESD_NS0_8identityIvEEEESI_SL_SM_mSN_SP_bEUlT_E_NS1_11comp_targetILNS1_3genE8ELNS1_11target_archE1030ELNS1_3gpuE2ELNS1_3repE0EEENS1_30default_config_static_selectorELNS0_4arch9wavefront6targetE1EEEvT1_,"axG",@progbits,_ZN7rocprim17ROCPRIM_400000_NS6detail17trampoline_kernelINS0_14default_configENS1_25transform_config_selectorIaLb0EEEZNS1_14transform_implILb0ES3_S5_NS0_18transform_iteratorINS0_17counting_iteratorImlEEZNS1_24adjacent_difference_implIS3_Lb1ELb0EPKaPaN6thrust23THRUST_200600_302600_NS4plusIaEEEE10hipError_tPvRmT2_T3_mT4_P12ihipStream_tbEUlmE_aEESD_NS0_8identityIvEEEESI_SL_SM_mSN_SP_bEUlT_E_NS1_11comp_targetILNS1_3genE8ELNS1_11target_archE1030ELNS1_3gpuE2ELNS1_3repE0EEENS1_30default_config_static_selectorELNS0_4arch9wavefront6targetE1EEEvT1_,comdat
	.protected	_ZN7rocprim17ROCPRIM_400000_NS6detail17trampoline_kernelINS0_14default_configENS1_25transform_config_selectorIaLb0EEEZNS1_14transform_implILb0ES3_S5_NS0_18transform_iteratorINS0_17counting_iteratorImlEEZNS1_24adjacent_difference_implIS3_Lb1ELb0EPKaPaN6thrust23THRUST_200600_302600_NS4plusIaEEEE10hipError_tPvRmT2_T3_mT4_P12ihipStream_tbEUlmE_aEESD_NS0_8identityIvEEEESI_SL_SM_mSN_SP_bEUlT_E_NS1_11comp_targetILNS1_3genE8ELNS1_11target_archE1030ELNS1_3gpuE2ELNS1_3repE0EEENS1_30default_config_static_selectorELNS0_4arch9wavefront6targetE1EEEvT1_ ; -- Begin function _ZN7rocprim17ROCPRIM_400000_NS6detail17trampoline_kernelINS0_14default_configENS1_25transform_config_selectorIaLb0EEEZNS1_14transform_implILb0ES3_S5_NS0_18transform_iteratorINS0_17counting_iteratorImlEEZNS1_24adjacent_difference_implIS3_Lb1ELb0EPKaPaN6thrust23THRUST_200600_302600_NS4plusIaEEEE10hipError_tPvRmT2_T3_mT4_P12ihipStream_tbEUlmE_aEESD_NS0_8identityIvEEEESI_SL_SM_mSN_SP_bEUlT_E_NS1_11comp_targetILNS1_3genE8ELNS1_11target_archE1030ELNS1_3gpuE2ELNS1_3repE0EEENS1_30default_config_static_selectorELNS0_4arch9wavefront6targetE1EEEvT1_
	.globl	_ZN7rocprim17ROCPRIM_400000_NS6detail17trampoline_kernelINS0_14default_configENS1_25transform_config_selectorIaLb0EEEZNS1_14transform_implILb0ES3_S5_NS0_18transform_iteratorINS0_17counting_iteratorImlEEZNS1_24adjacent_difference_implIS3_Lb1ELb0EPKaPaN6thrust23THRUST_200600_302600_NS4plusIaEEEE10hipError_tPvRmT2_T3_mT4_P12ihipStream_tbEUlmE_aEESD_NS0_8identityIvEEEESI_SL_SM_mSN_SP_bEUlT_E_NS1_11comp_targetILNS1_3genE8ELNS1_11target_archE1030ELNS1_3gpuE2ELNS1_3repE0EEENS1_30default_config_static_selectorELNS0_4arch9wavefront6targetE1EEEvT1_
	.p2align	8
	.type	_ZN7rocprim17ROCPRIM_400000_NS6detail17trampoline_kernelINS0_14default_configENS1_25transform_config_selectorIaLb0EEEZNS1_14transform_implILb0ES3_S5_NS0_18transform_iteratorINS0_17counting_iteratorImlEEZNS1_24adjacent_difference_implIS3_Lb1ELb0EPKaPaN6thrust23THRUST_200600_302600_NS4plusIaEEEE10hipError_tPvRmT2_T3_mT4_P12ihipStream_tbEUlmE_aEESD_NS0_8identityIvEEEESI_SL_SM_mSN_SP_bEUlT_E_NS1_11comp_targetILNS1_3genE8ELNS1_11target_archE1030ELNS1_3gpuE2ELNS1_3repE0EEENS1_30default_config_static_selectorELNS0_4arch9wavefront6targetE1EEEvT1_,@function
_ZN7rocprim17ROCPRIM_400000_NS6detail17trampoline_kernelINS0_14default_configENS1_25transform_config_selectorIaLb0EEEZNS1_14transform_implILb0ES3_S5_NS0_18transform_iteratorINS0_17counting_iteratorImlEEZNS1_24adjacent_difference_implIS3_Lb1ELb0EPKaPaN6thrust23THRUST_200600_302600_NS4plusIaEEEE10hipError_tPvRmT2_T3_mT4_P12ihipStream_tbEUlmE_aEESD_NS0_8identityIvEEEESI_SL_SM_mSN_SP_bEUlT_E_NS1_11comp_targetILNS1_3genE8ELNS1_11target_archE1030ELNS1_3gpuE2ELNS1_3repE0EEENS1_30default_config_static_selectorELNS0_4arch9wavefront6targetE1EEEvT1_: ; @_ZN7rocprim17ROCPRIM_400000_NS6detail17trampoline_kernelINS0_14default_configENS1_25transform_config_selectorIaLb0EEEZNS1_14transform_implILb0ES3_S5_NS0_18transform_iteratorINS0_17counting_iteratorImlEEZNS1_24adjacent_difference_implIS3_Lb1ELb0EPKaPaN6thrust23THRUST_200600_302600_NS4plusIaEEEE10hipError_tPvRmT2_T3_mT4_P12ihipStream_tbEUlmE_aEESD_NS0_8identityIvEEEESI_SL_SM_mSN_SP_bEUlT_E_NS1_11comp_targetILNS1_3genE8ELNS1_11target_archE1030ELNS1_3gpuE2ELNS1_3repE0EEENS1_30default_config_static_selectorELNS0_4arch9wavefront6targetE1EEEvT1_
; %bb.0:
	.section	.rodata,"a",@progbits
	.p2align	6, 0x0
	.amdhsa_kernel _ZN7rocprim17ROCPRIM_400000_NS6detail17trampoline_kernelINS0_14default_configENS1_25transform_config_selectorIaLb0EEEZNS1_14transform_implILb0ES3_S5_NS0_18transform_iteratorINS0_17counting_iteratorImlEEZNS1_24adjacent_difference_implIS3_Lb1ELb0EPKaPaN6thrust23THRUST_200600_302600_NS4plusIaEEEE10hipError_tPvRmT2_T3_mT4_P12ihipStream_tbEUlmE_aEESD_NS0_8identityIvEEEESI_SL_SM_mSN_SP_bEUlT_E_NS1_11comp_targetILNS1_3genE8ELNS1_11target_archE1030ELNS1_3gpuE2ELNS1_3repE0EEENS1_30default_config_static_selectorELNS0_4arch9wavefront6targetE1EEEvT1_
		.amdhsa_group_segment_fixed_size 0
		.amdhsa_private_segment_fixed_size 0
		.amdhsa_kernarg_size 56
		.amdhsa_user_sgpr_count 6
		.amdhsa_user_sgpr_private_segment_buffer 1
		.amdhsa_user_sgpr_dispatch_ptr 0
		.amdhsa_user_sgpr_queue_ptr 0
		.amdhsa_user_sgpr_kernarg_segment_ptr 1
		.amdhsa_user_sgpr_dispatch_id 0
		.amdhsa_user_sgpr_flat_scratch_init 0
		.amdhsa_user_sgpr_kernarg_preload_length 0
		.amdhsa_user_sgpr_kernarg_preload_offset 0
		.amdhsa_user_sgpr_private_segment_size 0
		.amdhsa_uses_dynamic_stack 0
		.amdhsa_system_sgpr_private_segment_wavefront_offset 0
		.amdhsa_system_sgpr_workgroup_id_x 1
		.amdhsa_system_sgpr_workgroup_id_y 0
		.amdhsa_system_sgpr_workgroup_id_z 0
		.amdhsa_system_sgpr_workgroup_info 0
		.amdhsa_system_vgpr_workitem_id 0
		.amdhsa_next_free_vgpr 1
		.amdhsa_next_free_sgpr 0
		.amdhsa_accum_offset 4
		.amdhsa_reserve_vcc 0
		.amdhsa_reserve_flat_scratch 0
		.amdhsa_float_round_mode_32 0
		.amdhsa_float_round_mode_16_64 0
		.amdhsa_float_denorm_mode_32 3
		.amdhsa_float_denorm_mode_16_64 3
		.amdhsa_dx10_clamp 1
		.amdhsa_ieee_mode 1
		.amdhsa_fp16_overflow 0
		.amdhsa_tg_split 0
		.amdhsa_exception_fp_ieee_invalid_op 0
		.amdhsa_exception_fp_denorm_src 0
		.amdhsa_exception_fp_ieee_div_zero 0
		.amdhsa_exception_fp_ieee_overflow 0
		.amdhsa_exception_fp_ieee_underflow 0
		.amdhsa_exception_fp_ieee_inexact 0
		.amdhsa_exception_int_div_zero 0
	.end_amdhsa_kernel
	.section	.text._ZN7rocprim17ROCPRIM_400000_NS6detail17trampoline_kernelINS0_14default_configENS1_25transform_config_selectorIaLb0EEEZNS1_14transform_implILb0ES3_S5_NS0_18transform_iteratorINS0_17counting_iteratorImlEEZNS1_24adjacent_difference_implIS3_Lb1ELb0EPKaPaN6thrust23THRUST_200600_302600_NS4plusIaEEEE10hipError_tPvRmT2_T3_mT4_P12ihipStream_tbEUlmE_aEESD_NS0_8identityIvEEEESI_SL_SM_mSN_SP_bEUlT_E_NS1_11comp_targetILNS1_3genE8ELNS1_11target_archE1030ELNS1_3gpuE2ELNS1_3repE0EEENS1_30default_config_static_selectorELNS0_4arch9wavefront6targetE1EEEvT1_,"axG",@progbits,_ZN7rocprim17ROCPRIM_400000_NS6detail17trampoline_kernelINS0_14default_configENS1_25transform_config_selectorIaLb0EEEZNS1_14transform_implILb0ES3_S5_NS0_18transform_iteratorINS0_17counting_iteratorImlEEZNS1_24adjacent_difference_implIS3_Lb1ELb0EPKaPaN6thrust23THRUST_200600_302600_NS4plusIaEEEE10hipError_tPvRmT2_T3_mT4_P12ihipStream_tbEUlmE_aEESD_NS0_8identityIvEEEESI_SL_SM_mSN_SP_bEUlT_E_NS1_11comp_targetILNS1_3genE8ELNS1_11target_archE1030ELNS1_3gpuE2ELNS1_3repE0EEENS1_30default_config_static_selectorELNS0_4arch9wavefront6targetE1EEEvT1_,comdat
.Lfunc_end482:
	.size	_ZN7rocprim17ROCPRIM_400000_NS6detail17trampoline_kernelINS0_14default_configENS1_25transform_config_selectorIaLb0EEEZNS1_14transform_implILb0ES3_S5_NS0_18transform_iteratorINS0_17counting_iteratorImlEEZNS1_24adjacent_difference_implIS3_Lb1ELb0EPKaPaN6thrust23THRUST_200600_302600_NS4plusIaEEEE10hipError_tPvRmT2_T3_mT4_P12ihipStream_tbEUlmE_aEESD_NS0_8identityIvEEEESI_SL_SM_mSN_SP_bEUlT_E_NS1_11comp_targetILNS1_3genE8ELNS1_11target_archE1030ELNS1_3gpuE2ELNS1_3repE0EEENS1_30default_config_static_selectorELNS0_4arch9wavefront6targetE1EEEvT1_, .Lfunc_end482-_ZN7rocprim17ROCPRIM_400000_NS6detail17trampoline_kernelINS0_14default_configENS1_25transform_config_selectorIaLb0EEEZNS1_14transform_implILb0ES3_S5_NS0_18transform_iteratorINS0_17counting_iteratorImlEEZNS1_24adjacent_difference_implIS3_Lb1ELb0EPKaPaN6thrust23THRUST_200600_302600_NS4plusIaEEEE10hipError_tPvRmT2_T3_mT4_P12ihipStream_tbEUlmE_aEESD_NS0_8identityIvEEEESI_SL_SM_mSN_SP_bEUlT_E_NS1_11comp_targetILNS1_3genE8ELNS1_11target_archE1030ELNS1_3gpuE2ELNS1_3repE0EEENS1_30default_config_static_selectorELNS0_4arch9wavefront6targetE1EEEvT1_
                                        ; -- End function
	.section	.AMDGPU.csdata,"",@progbits
; Kernel info:
; codeLenInByte = 0
; NumSgprs: 4
; NumVgprs: 0
; NumAgprs: 0
; TotalNumVgprs: 0
; ScratchSize: 0
; MemoryBound: 0
; FloatMode: 240
; IeeeMode: 1
; LDSByteSize: 0 bytes/workgroup (compile time only)
; SGPRBlocks: 0
; VGPRBlocks: 0
; NumSGPRsForWavesPerEU: 4
; NumVGPRsForWavesPerEU: 1
; AccumOffset: 4
; Occupancy: 8
; WaveLimiterHint : 0
; COMPUTE_PGM_RSRC2:SCRATCH_EN: 0
; COMPUTE_PGM_RSRC2:USER_SGPR: 6
; COMPUTE_PGM_RSRC2:TRAP_HANDLER: 0
; COMPUTE_PGM_RSRC2:TGID_X_EN: 1
; COMPUTE_PGM_RSRC2:TGID_Y_EN: 0
; COMPUTE_PGM_RSRC2:TGID_Z_EN: 0
; COMPUTE_PGM_RSRC2:TIDIG_COMP_CNT: 0
; COMPUTE_PGM_RSRC3_GFX90A:ACCUM_OFFSET: 0
; COMPUTE_PGM_RSRC3_GFX90A:TG_SPLIT: 0
	.section	.text._ZN7rocprim17ROCPRIM_400000_NS6detail17trampoline_kernelINS0_14default_configENS1_35adjacent_difference_config_selectorILb1EaEEZNS1_24adjacent_difference_implIS3_Lb1ELb0EPKaPaN6thrust23THRUST_200600_302600_NS4plusIaEEEE10hipError_tPvRmT2_T3_mT4_P12ihipStream_tbEUlT_E_NS1_11comp_targetILNS1_3genE0ELNS1_11target_archE4294967295ELNS1_3gpuE0ELNS1_3repE0EEENS1_30default_config_static_selectorELNS0_4arch9wavefront6targetE1EEEvT1_,"axG",@progbits,_ZN7rocprim17ROCPRIM_400000_NS6detail17trampoline_kernelINS0_14default_configENS1_35adjacent_difference_config_selectorILb1EaEEZNS1_24adjacent_difference_implIS3_Lb1ELb0EPKaPaN6thrust23THRUST_200600_302600_NS4plusIaEEEE10hipError_tPvRmT2_T3_mT4_P12ihipStream_tbEUlT_E_NS1_11comp_targetILNS1_3genE0ELNS1_11target_archE4294967295ELNS1_3gpuE0ELNS1_3repE0EEENS1_30default_config_static_selectorELNS0_4arch9wavefront6targetE1EEEvT1_,comdat
	.protected	_ZN7rocprim17ROCPRIM_400000_NS6detail17trampoline_kernelINS0_14default_configENS1_35adjacent_difference_config_selectorILb1EaEEZNS1_24adjacent_difference_implIS3_Lb1ELb0EPKaPaN6thrust23THRUST_200600_302600_NS4plusIaEEEE10hipError_tPvRmT2_T3_mT4_P12ihipStream_tbEUlT_E_NS1_11comp_targetILNS1_3genE0ELNS1_11target_archE4294967295ELNS1_3gpuE0ELNS1_3repE0EEENS1_30default_config_static_selectorELNS0_4arch9wavefront6targetE1EEEvT1_ ; -- Begin function _ZN7rocprim17ROCPRIM_400000_NS6detail17trampoline_kernelINS0_14default_configENS1_35adjacent_difference_config_selectorILb1EaEEZNS1_24adjacent_difference_implIS3_Lb1ELb0EPKaPaN6thrust23THRUST_200600_302600_NS4plusIaEEEE10hipError_tPvRmT2_T3_mT4_P12ihipStream_tbEUlT_E_NS1_11comp_targetILNS1_3genE0ELNS1_11target_archE4294967295ELNS1_3gpuE0ELNS1_3repE0EEENS1_30default_config_static_selectorELNS0_4arch9wavefront6targetE1EEEvT1_
	.globl	_ZN7rocprim17ROCPRIM_400000_NS6detail17trampoline_kernelINS0_14default_configENS1_35adjacent_difference_config_selectorILb1EaEEZNS1_24adjacent_difference_implIS3_Lb1ELb0EPKaPaN6thrust23THRUST_200600_302600_NS4plusIaEEEE10hipError_tPvRmT2_T3_mT4_P12ihipStream_tbEUlT_E_NS1_11comp_targetILNS1_3genE0ELNS1_11target_archE4294967295ELNS1_3gpuE0ELNS1_3repE0EEENS1_30default_config_static_selectorELNS0_4arch9wavefront6targetE1EEEvT1_
	.p2align	8
	.type	_ZN7rocprim17ROCPRIM_400000_NS6detail17trampoline_kernelINS0_14default_configENS1_35adjacent_difference_config_selectorILb1EaEEZNS1_24adjacent_difference_implIS3_Lb1ELb0EPKaPaN6thrust23THRUST_200600_302600_NS4plusIaEEEE10hipError_tPvRmT2_T3_mT4_P12ihipStream_tbEUlT_E_NS1_11comp_targetILNS1_3genE0ELNS1_11target_archE4294967295ELNS1_3gpuE0ELNS1_3repE0EEENS1_30default_config_static_selectorELNS0_4arch9wavefront6targetE1EEEvT1_,@function
_ZN7rocprim17ROCPRIM_400000_NS6detail17trampoline_kernelINS0_14default_configENS1_35adjacent_difference_config_selectorILb1EaEEZNS1_24adjacent_difference_implIS3_Lb1ELb0EPKaPaN6thrust23THRUST_200600_302600_NS4plusIaEEEE10hipError_tPvRmT2_T3_mT4_P12ihipStream_tbEUlT_E_NS1_11comp_targetILNS1_3genE0ELNS1_11target_archE4294967295ELNS1_3gpuE0ELNS1_3repE0EEENS1_30default_config_static_selectorELNS0_4arch9wavefront6targetE1EEEvT1_: ; @_ZN7rocprim17ROCPRIM_400000_NS6detail17trampoline_kernelINS0_14default_configENS1_35adjacent_difference_config_selectorILb1EaEEZNS1_24adjacent_difference_implIS3_Lb1ELb0EPKaPaN6thrust23THRUST_200600_302600_NS4plusIaEEEE10hipError_tPvRmT2_T3_mT4_P12ihipStream_tbEUlT_E_NS1_11comp_targetILNS1_3genE0ELNS1_11target_archE4294967295ELNS1_3gpuE0ELNS1_3repE0EEENS1_30default_config_static_selectorELNS0_4arch9wavefront6targetE1EEEvT1_
; %bb.0:
	.section	.rodata,"a",@progbits
	.p2align	6, 0x0
	.amdhsa_kernel _ZN7rocprim17ROCPRIM_400000_NS6detail17trampoline_kernelINS0_14default_configENS1_35adjacent_difference_config_selectorILb1EaEEZNS1_24adjacent_difference_implIS3_Lb1ELb0EPKaPaN6thrust23THRUST_200600_302600_NS4plusIaEEEE10hipError_tPvRmT2_T3_mT4_P12ihipStream_tbEUlT_E_NS1_11comp_targetILNS1_3genE0ELNS1_11target_archE4294967295ELNS1_3gpuE0ELNS1_3repE0EEENS1_30default_config_static_selectorELNS0_4arch9wavefront6targetE1EEEvT1_
		.amdhsa_group_segment_fixed_size 0
		.amdhsa_private_segment_fixed_size 0
		.amdhsa_kernarg_size 56
		.amdhsa_user_sgpr_count 6
		.amdhsa_user_sgpr_private_segment_buffer 1
		.amdhsa_user_sgpr_dispatch_ptr 0
		.amdhsa_user_sgpr_queue_ptr 0
		.amdhsa_user_sgpr_kernarg_segment_ptr 1
		.amdhsa_user_sgpr_dispatch_id 0
		.amdhsa_user_sgpr_flat_scratch_init 0
		.amdhsa_user_sgpr_kernarg_preload_length 0
		.amdhsa_user_sgpr_kernarg_preload_offset 0
		.amdhsa_user_sgpr_private_segment_size 0
		.amdhsa_uses_dynamic_stack 0
		.amdhsa_system_sgpr_private_segment_wavefront_offset 0
		.amdhsa_system_sgpr_workgroup_id_x 1
		.amdhsa_system_sgpr_workgroup_id_y 0
		.amdhsa_system_sgpr_workgroup_id_z 0
		.amdhsa_system_sgpr_workgroup_info 0
		.amdhsa_system_vgpr_workitem_id 0
		.amdhsa_next_free_vgpr 1
		.amdhsa_next_free_sgpr 0
		.amdhsa_accum_offset 4
		.amdhsa_reserve_vcc 0
		.amdhsa_reserve_flat_scratch 0
		.amdhsa_float_round_mode_32 0
		.amdhsa_float_round_mode_16_64 0
		.amdhsa_float_denorm_mode_32 3
		.amdhsa_float_denorm_mode_16_64 3
		.amdhsa_dx10_clamp 1
		.amdhsa_ieee_mode 1
		.amdhsa_fp16_overflow 0
		.amdhsa_tg_split 0
		.amdhsa_exception_fp_ieee_invalid_op 0
		.amdhsa_exception_fp_denorm_src 0
		.amdhsa_exception_fp_ieee_div_zero 0
		.amdhsa_exception_fp_ieee_overflow 0
		.amdhsa_exception_fp_ieee_underflow 0
		.amdhsa_exception_fp_ieee_inexact 0
		.amdhsa_exception_int_div_zero 0
	.end_amdhsa_kernel
	.section	.text._ZN7rocprim17ROCPRIM_400000_NS6detail17trampoline_kernelINS0_14default_configENS1_35adjacent_difference_config_selectorILb1EaEEZNS1_24adjacent_difference_implIS3_Lb1ELb0EPKaPaN6thrust23THRUST_200600_302600_NS4plusIaEEEE10hipError_tPvRmT2_T3_mT4_P12ihipStream_tbEUlT_E_NS1_11comp_targetILNS1_3genE0ELNS1_11target_archE4294967295ELNS1_3gpuE0ELNS1_3repE0EEENS1_30default_config_static_selectorELNS0_4arch9wavefront6targetE1EEEvT1_,"axG",@progbits,_ZN7rocprim17ROCPRIM_400000_NS6detail17trampoline_kernelINS0_14default_configENS1_35adjacent_difference_config_selectorILb1EaEEZNS1_24adjacent_difference_implIS3_Lb1ELb0EPKaPaN6thrust23THRUST_200600_302600_NS4plusIaEEEE10hipError_tPvRmT2_T3_mT4_P12ihipStream_tbEUlT_E_NS1_11comp_targetILNS1_3genE0ELNS1_11target_archE4294967295ELNS1_3gpuE0ELNS1_3repE0EEENS1_30default_config_static_selectorELNS0_4arch9wavefront6targetE1EEEvT1_,comdat
.Lfunc_end483:
	.size	_ZN7rocprim17ROCPRIM_400000_NS6detail17trampoline_kernelINS0_14default_configENS1_35adjacent_difference_config_selectorILb1EaEEZNS1_24adjacent_difference_implIS3_Lb1ELb0EPKaPaN6thrust23THRUST_200600_302600_NS4plusIaEEEE10hipError_tPvRmT2_T3_mT4_P12ihipStream_tbEUlT_E_NS1_11comp_targetILNS1_3genE0ELNS1_11target_archE4294967295ELNS1_3gpuE0ELNS1_3repE0EEENS1_30default_config_static_selectorELNS0_4arch9wavefront6targetE1EEEvT1_, .Lfunc_end483-_ZN7rocprim17ROCPRIM_400000_NS6detail17trampoline_kernelINS0_14default_configENS1_35adjacent_difference_config_selectorILb1EaEEZNS1_24adjacent_difference_implIS3_Lb1ELb0EPKaPaN6thrust23THRUST_200600_302600_NS4plusIaEEEE10hipError_tPvRmT2_T3_mT4_P12ihipStream_tbEUlT_E_NS1_11comp_targetILNS1_3genE0ELNS1_11target_archE4294967295ELNS1_3gpuE0ELNS1_3repE0EEENS1_30default_config_static_selectorELNS0_4arch9wavefront6targetE1EEEvT1_
                                        ; -- End function
	.section	.AMDGPU.csdata,"",@progbits
; Kernel info:
; codeLenInByte = 0
; NumSgprs: 4
; NumVgprs: 0
; NumAgprs: 0
; TotalNumVgprs: 0
; ScratchSize: 0
; MemoryBound: 0
; FloatMode: 240
; IeeeMode: 1
; LDSByteSize: 0 bytes/workgroup (compile time only)
; SGPRBlocks: 0
; VGPRBlocks: 0
; NumSGPRsForWavesPerEU: 4
; NumVGPRsForWavesPerEU: 1
; AccumOffset: 4
; Occupancy: 8
; WaveLimiterHint : 0
; COMPUTE_PGM_RSRC2:SCRATCH_EN: 0
; COMPUTE_PGM_RSRC2:USER_SGPR: 6
; COMPUTE_PGM_RSRC2:TRAP_HANDLER: 0
; COMPUTE_PGM_RSRC2:TGID_X_EN: 1
; COMPUTE_PGM_RSRC2:TGID_Y_EN: 0
; COMPUTE_PGM_RSRC2:TGID_Z_EN: 0
; COMPUTE_PGM_RSRC2:TIDIG_COMP_CNT: 0
; COMPUTE_PGM_RSRC3_GFX90A:ACCUM_OFFSET: 0
; COMPUTE_PGM_RSRC3_GFX90A:TG_SPLIT: 0
	.section	.text._ZN7rocprim17ROCPRIM_400000_NS6detail17trampoline_kernelINS0_14default_configENS1_35adjacent_difference_config_selectorILb1EaEEZNS1_24adjacent_difference_implIS3_Lb1ELb0EPKaPaN6thrust23THRUST_200600_302600_NS4plusIaEEEE10hipError_tPvRmT2_T3_mT4_P12ihipStream_tbEUlT_E_NS1_11comp_targetILNS1_3genE10ELNS1_11target_archE1201ELNS1_3gpuE5ELNS1_3repE0EEENS1_30default_config_static_selectorELNS0_4arch9wavefront6targetE1EEEvT1_,"axG",@progbits,_ZN7rocprim17ROCPRIM_400000_NS6detail17trampoline_kernelINS0_14default_configENS1_35adjacent_difference_config_selectorILb1EaEEZNS1_24adjacent_difference_implIS3_Lb1ELb0EPKaPaN6thrust23THRUST_200600_302600_NS4plusIaEEEE10hipError_tPvRmT2_T3_mT4_P12ihipStream_tbEUlT_E_NS1_11comp_targetILNS1_3genE10ELNS1_11target_archE1201ELNS1_3gpuE5ELNS1_3repE0EEENS1_30default_config_static_selectorELNS0_4arch9wavefront6targetE1EEEvT1_,comdat
	.protected	_ZN7rocprim17ROCPRIM_400000_NS6detail17trampoline_kernelINS0_14default_configENS1_35adjacent_difference_config_selectorILb1EaEEZNS1_24adjacent_difference_implIS3_Lb1ELb0EPKaPaN6thrust23THRUST_200600_302600_NS4plusIaEEEE10hipError_tPvRmT2_T3_mT4_P12ihipStream_tbEUlT_E_NS1_11comp_targetILNS1_3genE10ELNS1_11target_archE1201ELNS1_3gpuE5ELNS1_3repE0EEENS1_30default_config_static_selectorELNS0_4arch9wavefront6targetE1EEEvT1_ ; -- Begin function _ZN7rocprim17ROCPRIM_400000_NS6detail17trampoline_kernelINS0_14default_configENS1_35adjacent_difference_config_selectorILb1EaEEZNS1_24adjacent_difference_implIS3_Lb1ELb0EPKaPaN6thrust23THRUST_200600_302600_NS4plusIaEEEE10hipError_tPvRmT2_T3_mT4_P12ihipStream_tbEUlT_E_NS1_11comp_targetILNS1_3genE10ELNS1_11target_archE1201ELNS1_3gpuE5ELNS1_3repE0EEENS1_30default_config_static_selectorELNS0_4arch9wavefront6targetE1EEEvT1_
	.globl	_ZN7rocprim17ROCPRIM_400000_NS6detail17trampoline_kernelINS0_14default_configENS1_35adjacent_difference_config_selectorILb1EaEEZNS1_24adjacent_difference_implIS3_Lb1ELb0EPKaPaN6thrust23THRUST_200600_302600_NS4plusIaEEEE10hipError_tPvRmT2_T3_mT4_P12ihipStream_tbEUlT_E_NS1_11comp_targetILNS1_3genE10ELNS1_11target_archE1201ELNS1_3gpuE5ELNS1_3repE0EEENS1_30default_config_static_selectorELNS0_4arch9wavefront6targetE1EEEvT1_
	.p2align	8
	.type	_ZN7rocprim17ROCPRIM_400000_NS6detail17trampoline_kernelINS0_14default_configENS1_35adjacent_difference_config_selectorILb1EaEEZNS1_24adjacent_difference_implIS3_Lb1ELb0EPKaPaN6thrust23THRUST_200600_302600_NS4plusIaEEEE10hipError_tPvRmT2_T3_mT4_P12ihipStream_tbEUlT_E_NS1_11comp_targetILNS1_3genE10ELNS1_11target_archE1201ELNS1_3gpuE5ELNS1_3repE0EEENS1_30default_config_static_selectorELNS0_4arch9wavefront6targetE1EEEvT1_,@function
_ZN7rocprim17ROCPRIM_400000_NS6detail17trampoline_kernelINS0_14default_configENS1_35adjacent_difference_config_selectorILb1EaEEZNS1_24adjacent_difference_implIS3_Lb1ELb0EPKaPaN6thrust23THRUST_200600_302600_NS4plusIaEEEE10hipError_tPvRmT2_T3_mT4_P12ihipStream_tbEUlT_E_NS1_11comp_targetILNS1_3genE10ELNS1_11target_archE1201ELNS1_3gpuE5ELNS1_3repE0EEENS1_30default_config_static_selectorELNS0_4arch9wavefront6targetE1EEEvT1_: ; @_ZN7rocprim17ROCPRIM_400000_NS6detail17trampoline_kernelINS0_14default_configENS1_35adjacent_difference_config_selectorILb1EaEEZNS1_24adjacent_difference_implIS3_Lb1ELb0EPKaPaN6thrust23THRUST_200600_302600_NS4plusIaEEEE10hipError_tPvRmT2_T3_mT4_P12ihipStream_tbEUlT_E_NS1_11comp_targetILNS1_3genE10ELNS1_11target_archE1201ELNS1_3gpuE5ELNS1_3repE0EEENS1_30default_config_static_selectorELNS0_4arch9wavefront6targetE1EEEvT1_
; %bb.0:
	.section	.rodata,"a",@progbits
	.p2align	6, 0x0
	.amdhsa_kernel _ZN7rocprim17ROCPRIM_400000_NS6detail17trampoline_kernelINS0_14default_configENS1_35adjacent_difference_config_selectorILb1EaEEZNS1_24adjacent_difference_implIS3_Lb1ELb0EPKaPaN6thrust23THRUST_200600_302600_NS4plusIaEEEE10hipError_tPvRmT2_T3_mT4_P12ihipStream_tbEUlT_E_NS1_11comp_targetILNS1_3genE10ELNS1_11target_archE1201ELNS1_3gpuE5ELNS1_3repE0EEENS1_30default_config_static_selectorELNS0_4arch9wavefront6targetE1EEEvT1_
		.amdhsa_group_segment_fixed_size 0
		.amdhsa_private_segment_fixed_size 0
		.amdhsa_kernarg_size 56
		.amdhsa_user_sgpr_count 6
		.amdhsa_user_sgpr_private_segment_buffer 1
		.amdhsa_user_sgpr_dispatch_ptr 0
		.amdhsa_user_sgpr_queue_ptr 0
		.amdhsa_user_sgpr_kernarg_segment_ptr 1
		.amdhsa_user_sgpr_dispatch_id 0
		.amdhsa_user_sgpr_flat_scratch_init 0
		.amdhsa_user_sgpr_kernarg_preload_length 0
		.amdhsa_user_sgpr_kernarg_preload_offset 0
		.amdhsa_user_sgpr_private_segment_size 0
		.amdhsa_uses_dynamic_stack 0
		.amdhsa_system_sgpr_private_segment_wavefront_offset 0
		.amdhsa_system_sgpr_workgroup_id_x 1
		.amdhsa_system_sgpr_workgroup_id_y 0
		.amdhsa_system_sgpr_workgroup_id_z 0
		.amdhsa_system_sgpr_workgroup_info 0
		.amdhsa_system_vgpr_workitem_id 0
		.amdhsa_next_free_vgpr 1
		.amdhsa_next_free_sgpr 0
		.amdhsa_accum_offset 4
		.amdhsa_reserve_vcc 0
		.amdhsa_reserve_flat_scratch 0
		.amdhsa_float_round_mode_32 0
		.amdhsa_float_round_mode_16_64 0
		.amdhsa_float_denorm_mode_32 3
		.amdhsa_float_denorm_mode_16_64 3
		.amdhsa_dx10_clamp 1
		.amdhsa_ieee_mode 1
		.amdhsa_fp16_overflow 0
		.amdhsa_tg_split 0
		.amdhsa_exception_fp_ieee_invalid_op 0
		.amdhsa_exception_fp_denorm_src 0
		.amdhsa_exception_fp_ieee_div_zero 0
		.amdhsa_exception_fp_ieee_overflow 0
		.amdhsa_exception_fp_ieee_underflow 0
		.amdhsa_exception_fp_ieee_inexact 0
		.amdhsa_exception_int_div_zero 0
	.end_amdhsa_kernel
	.section	.text._ZN7rocprim17ROCPRIM_400000_NS6detail17trampoline_kernelINS0_14default_configENS1_35adjacent_difference_config_selectorILb1EaEEZNS1_24adjacent_difference_implIS3_Lb1ELb0EPKaPaN6thrust23THRUST_200600_302600_NS4plusIaEEEE10hipError_tPvRmT2_T3_mT4_P12ihipStream_tbEUlT_E_NS1_11comp_targetILNS1_3genE10ELNS1_11target_archE1201ELNS1_3gpuE5ELNS1_3repE0EEENS1_30default_config_static_selectorELNS0_4arch9wavefront6targetE1EEEvT1_,"axG",@progbits,_ZN7rocprim17ROCPRIM_400000_NS6detail17trampoline_kernelINS0_14default_configENS1_35adjacent_difference_config_selectorILb1EaEEZNS1_24adjacent_difference_implIS3_Lb1ELb0EPKaPaN6thrust23THRUST_200600_302600_NS4plusIaEEEE10hipError_tPvRmT2_T3_mT4_P12ihipStream_tbEUlT_E_NS1_11comp_targetILNS1_3genE10ELNS1_11target_archE1201ELNS1_3gpuE5ELNS1_3repE0EEENS1_30default_config_static_selectorELNS0_4arch9wavefront6targetE1EEEvT1_,comdat
.Lfunc_end484:
	.size	_ZN7rocprim17ROCPRIM_400000_NS6detail17trampoline_kernelINS0_14default_configENS1_35adjacent_difference_config_selectorILb1EaEEZNS1_24adjacent_difference_implIS3_Lb1ELb0EPKaPaN6thrust23THRUST_200600_302600_NS4plusIaEEEE10hipError_tPvRmT2_T3_mT4_P12ihipStream_tbEUlT_E_NS1_11comp_targetILNS1_3genE10ELNS1_11target_archE1201ELNS1_3gpuE5ELNS1_3repE0EEENS1_30default_config_static_selectorELNS0_4arch9wavefront6targetE1EEEvT1_, .Lfunc_end484-_ZN7rocprim17ROCPRIM_400000_NS6detail17trampoline_kernelINS0_14default_configENS1_35adjacent_difference_config_selectorILb1EaEEZNS1_24adjacent_difference_implIS3_Lb1ELb0EPKaPaN6thrust23THRUST_200600_302600_NS4plusIaEEEE10hipError_tPvRmT2_T3_mT4_P12ihipStream_tbEUlT_E_NS1_11comp_targetILNS1_3genE10ELNS1_11target_archE1201ELNS1_3gpuE5ELNS1_3repE0EEENS1_30default_config_static_selectorELNS0_4arch9wavefront6targetE1EEEvT1_
                                        ; -- End function
	.section	.AMDGPU.csdata,"",@progbits
; Kernel info:
; codeLenInByte = 0
; NumSgprs: 4
; NumVgprs: 0
; NumAgprs: 0
; TotalNumVgprs: 0
; ScratchSize: 0
; MemoryBound: 0
; FloatMode: 240
; IeeeMode: 1
; LDSByteSize: 0 bytes/workgroup (compile time only)
; SGPRBlocks: 0
; VGPRBlocks: 0
; NumSGPRsForWavesPerEU: 4
; NumVGPRsForWavesPerEU: 1
; AccumOffset: 4
; Occupancy: 8
; WaveLimiterHint : 0
; COMPUTE_PGM_RSRC2:SCRATCH_EN: 0
; COMPUTE_PGM_RSRC2:USER_SGPR: 6
; COMPUTE_PGM_RSRC2:TRAP_HANDLER: 0
; COMPUTE_PGM_RSRC2:TGID_X_EN: 1
; COMPUTE_PGM_RSRC2:TGID_Y_EN: 0
; COMPUTE_PGM_RSRC2:TGID_Z_EN: 0
; COMPUTE_PGM_RSRC2:TIDIG_COMP_CNT: 0
; COMPUTE_PGM_RSRC3_GFX90A:ACCUM_OFFSET: 0
; COMPUTE_PGM_RSRC3_GFX90A:TG_SPLIT: 0
	.section	.text._ZN7rocprim17ROCPRIM_400000_NS6detail17trampoline_kernelINS0_14default_configENS1_35adjacent_difference_config_selectorILb1EaEEZNS1_24adjacent_difference_implIS3_Lb1ELb0EPKaPaN6thrust23THRUST_200600_302600_NS4plusIaEEEE10hipError_tPvRmT2_T3_mT4_P12ihipStream_tbEUlT_E_NS1_11comp_targetILNS1_3genE5ELNS1_11target_archE942ELNS1_3gpuE9ELNS1_3repE0EEENS1_30default_config_static_selectorELNS0_4arch9wavefront6targetE1EEEvT1_,"axG",@progbits,_ZN7rocprim17ROCPRIM_400000_NS6detail17trampoline_kernelINS0_14default_configENS1_35adjacent_difference_config_selectorILb1EaEEZNS1_24adjacent_difference_implIS3_Lb1ELb0EPKaPaN6thrust23THRUST_200600_302600_NS4plusIaEEEE10hipError_tPvRmT2_T3_mT4_P12ihipStream_tbEUlT_E_NS1_11comp_targetILNS1_3genE5ELNS1_11target_archE942ELNS1_3gpuE9ELNS1_3repE0EEENS1_30default_config_static_selectorELNS0_4arch9wavefront6targetE1EEEvT1_,comdat
	.protected	_ZN7rocprim17ROCPRIM_400000_NS6detail17trampoline_kernelINS0_14default_configENS1_35adjacent_difference_config_selectorILb1EaEEZNS1_24adjacent_difference_implIS3_Lb1ELb0EPKaPaN6thrust23THRUST_200600_302600_NS4plusIaEEEE10hipError_tPvRmT2_T3_mT4_P12ihipStream_tbEUlT_E_NS1_11comp_targetILNS1_3genE5ELNS1_11target_archE942ELNS1_3gpuE9ELNS1_3repE0EEENS1_30default_config_static_selectorELNS0_4arch9wavefront6targetE1EEEvT1_ ; -- Begin function _ZN7rocprim17ROCPRIM_400000_NS6detail17trampoline_kernelINS0_14default_configENS1_35adjacent_difference_config_selectorILb1EaEEZNS1_24adjacent_difference_implIS3_Lb1ELb0EPKaPaN6thrust23THRUST_200600_302600_NS4plusIaEEEE10hipError_tPvRmT2_T3_mT4_P12ihipStream_tbEUlT_E_NS1_11comp_targetILNS1_3genE5ELNS1_11target_archE942ELNS1_3gpuE9ELNS1_3repE0EEENS1_30default_config_static_selectorELNS0_4arch9wavefront6targetE1EEEvT1_
	.globl	_ZN7rocprim17ROCPRIM_400000_NS6detail17trampoline_kernelINS0_14default_configENS1_35adjacent_difference_config_selectorILb1EaEEZNS1_24adjacent_difference_implIS3_Lb1ELb0EPKaPaN6thrust23THRUST_200600_302600_NS4plusIaEEEE10hipError_tPvRmT2_T3_mT4_P12ihipStream_tbEUlT_E_NS1_11comp_targetILNS1_3genE5ELNS1_11target_archE942ELNS1_3gpuE9ELNS1_3repE0EEENS1_30default_config_static_selectorELNS0_4arch9wavefront6targetE1EEEvT1_
	.p2align	8
	.type	_ZN7rocprim17ROCPRIM_400000_NS6detail17trampoline_kernelINS0_14default_configENS1_35adjacent_difference_config_selectorILb1EaEEZNS1_24adjacent_difference_implIS3_Lb1ELb0EPKaPaN6thrust23THRUST_200600_302600_NS4plusIaEEEE10hipError_tPvRmT2_T3_mT4_P12ihipStream_tbEUlT_E_NS1_11comp_targetILNS1_3genE5ELNS1_11target_archE942ELNS1_3gpuE9ELNS1_3repE0EEENS1_30default_config_static_selectorELNS0_4arch9wavefront6targetE1EEEvT1_,@function
_ZN7rocprim17ROCPRIM_400000_NS6detail17trampoline_kernelINS0_14default_configENS1_35adjacent_difference_config_selectorILb1EaEEZNS1_24adjacent_difference_implIS3_Lb1ELb0EPKaPaN6thrust23THRUST_200600_302600_NS4plusIaEEEE10hipError_tPvRmT2_T3_mT4_P12ihipStream_tbEUlT_E_NS1_11comp_targetILNS1_3genE5ELNS1_11target_archE942ELNS1_3gpuE9ELNS1_3repE0EEENS1_30default_config_static_selectorELNS0_4arch9wavefront6targetE1EEEvT1_: ; @_ZN7rocprim17ROCPRIM_400000_NS6detail17trampoline_kernelINS0_14default_configENS1_35adjacent_difference_config_selectorILb1EaEEZNS1_24adjacent_difference_implIS3_Lb1ELb0EPKaPaN6thrust23THRUST_200600_302600_NS4plusIaEEEE10hipError_tPvRmT2_T3_mT4_P12ihipStream_tbEUlT_E_NS1_11comp_targetILNS1_3genE5ELNS1_11target_archE942ELNS1_3gpuE9ELNS1_3repE0EEENS1_30default_config_static_selectorELNS0_4arch9wavefront6targetE1EEEvT1_
; %bb.0:
	.section	.rodata,"a",@progbits
	.p2align	6, 0x0
	.amdhsa_kernel _ZN7rocprim17ROCPRIM_400000_NS6detail17trampoline_kernelINS0_14default_configENS1_35adjacent_difference_config_selectorILb1EaEEZNS1_24adjacent_difference_implIS3_Lb1ELb0EPKaPaN6thrust23THRUST_200600_302600_NS4plusIaEEEE10hipError_tPvRmT2_T3_mT4_P12ihipStream_tbEUlT_E_NS1_11comp_targetILNS1_3genE5ELNS1_11target_archE942ELNS1_3gpuE9ELNS1_3repE0EEENS1_30default_config_static_selectorELNS0_4arch9wavefront6targetE1EEEvT1_
		.amdhsa_group_segment_fixed_size 0
		.amdhsa_private_segment_fixed_size 0
		.amdhsa_kernarg_size 56
		.amdhsa_user_sgpr_count 6
		.amdhsa_user_sgpr_private_segment_buffer 1
		.amdhsa_user_sgpr_dispatch_ptr 0
		.amdhsa_user_sgpr_queue_ptr 0
		.amdhsa_user_sgpr_kernarg_segment_ptr 1
		.amdhsa_user_sgpr_dispatch_id 0
		.amdhsa_user_sgpr_flat_scratch_init 0
		.amdhsa_user_sgpr_kernarg_preload_length 0
		.amdhsa_user_sgpr_kernarg_preload_offset 0
		.amdhsa_user_sgpr_private_segment_size 0
		.amdhsa_uses_dynamic_stack 0
		.amdhsa_system_sgpr_private_segment_wavefront_offset 0
		.amdhsa_system_sgpr_workgroup_id_x 1
		.amdhsa_system_sgpr_workgroup_id_y 0
		.amdhsa_system_sgpr_workgroup_id_z 0
		.amdhsa_system_sgpr_workgroup_info 0
		.amdhsa_system_vgpr_workitem_id 0
		.amdhsa_next_free_vgpr 1
		.amdhsa_next_free_sgpr 0
		.amdhsa_accum_offset 4
		.amdhsa_reserve_vcc 0
		.amdhsa_reserve_flat_scratch 0
		.amdhsa_float_round_mode_32 0
		.amdhsa_float_round_mode_16_64 0
		.amdhsa_float_denorm_mode_32 3
		.amdhsa_float_denorm_mode_16_64 3
		.amdhsa_dx10_clamp 1
		.amdhsa_ieee_mode 1
		.amdhsa_fp16_overflow 0
		.amdhsa_tg_split 0
		.amdhsa_exception_fp_ieee_invalid_op 0
		.amdhsa_exception_fp_denorm_src 0
		.amdhsa_exception_fp_ieee_div_zero 0
		.amdhsa_exception_fp_ieee_overflow 0
		.amdhsa_exception_fp_ieee_underflow 0
		.amdhsa_exception_fp_ieee_inexact 0
		.amdhsa_exception_int_div_zero 0
	.end_amdhsa_kernel
	.section	.text._ZN7rocprim17ROCPRIM_400000_NS6detail17trampoline_kernelINS0_14default_configENS1_35adjacent_difference_config_selectorILb1EaEEZNS1_24adjacent_difference_implIS3_Lb1ELb0EPKaPaN6thrust23THRUST_200600_302600_NS4plusIaEEEE10hipError_tPvRmT2_T3_mT4_P12ihipStream_tbEUlT_E_NS1_11comp_targetILNS1_3genE5ELNS1_11target_archE942ELNS1_3gpuE9ELNS1_3repE0EEENS1_30default_config_static_selectorELNS0_4arch9wavefront6targetE1EEEvT1_,"axG",@progbits,_ZN7rocprim17ROCPRIM_400000_NS6detail17trampoline_kernelINS0_14default_configENS1_35adjacent_difference_config_selectorILb1EaEEZNS1_24adjacent_difference_implIS3_Lb1ELb0EPKaPaN6thrust23THRUST_200600_302600_NS4plusIaEEEE10hipError_tPvRmT2_T3_mT4_P12ihipStream_tbEUlT_E_NS1_11comp_targetILNS1_3genE5ELNS1_11target_archE942ELNS1_3gpuE9ELNS1_3repE0EEENS1_30default_config_static_selectorELNS0_4arch9wavefront6targetE1EEEvT1_,comdat
.Lfunc_end485:
	.size	_ZN7rocprim17ROCPRIM_400000_NS6detail17trampoline_kernelINS0_14default_configENS1_35adjacent_difference_config_selectorILb1EaEEZNS1_24adjacent_difference_implIS3_Lb1ELb0EPKaPaN6thrust23THRUST_200600_302600_NS4plusIaEEEE10hipError_tPvRmT2_T3_mT4_P12ihipStream_tbEUlT_E_NS1_11comp_targetILNS1_3genE5ELNS1_11target_archE942ELNS1_3gpuE9ELNS1_3repE0EEENS1_30default_config_static_selectorELNS0_4arch9wavefront6targetE1EEEvT1_, .Lfunc_end485-_ZN7rocprim17ROCPRIM_400000_NS6detail17trampoline_kernelINS0_14default_configENS1_35adjacent_difference_config_selectorILb1EaEEZNS1_24adjacent_difference_implIS3_Lb1ELb0EPKaPaN6thrust23THRUST_200600_302600_NS4plusIaEEEE10hipError_tPvRmT2_T3_mT4_P12ihipStream_tbEUlT_E_NS1_11comp_targetILNS1_3genE5ELNS1_11target_archE942ELNS1_3gpuE9ELNS1_3repE0EEENS1_30default_config_static_selectorELNS0_4arch9wavefront6targetE1EEEvT1_
                                        ; -- End function
	.section	.AMDGPU.csdata,"",@progbits
; Kernel info:
; codeLenInByte = 0
; NumSgprs: 4
; NumVgprs: 0
; NumAgprs: 0
; TotalNumVgprs: 0
; ScratchSize: 0
; MemoryBound: 0
; FloatMode: 240
; IeeeMode: 1
; LDSByteSize: 0 bytes/workgroup (compile time only)
; SGPRBlocks: 0
; VGPRBlocks: 0
; NumSGPRsForWavesPerEU: 4
; NumVGPRsForWavesPerEU: 1
; AccumOffset: 4
; Occupancy: 8
; WaveLimiterHint : 0
; COMPUTE_PGM_RSRC2:SCRATCH_EN: 0
; COMPUTE_PGM_RSRC2:USER_SGPR: 6
; COMPUTE_PGM_RSRC2:TRAP_HANDLER: 0
; COMPUTE_PGM_RSRC2:TGID_X_EN: 1
; COMPUTE_PGM_RSRC2:TGID_Y_EN: 0
; COMPUTE_PGM_RSRC2:TGID_Z_EN: 0
; COMPUTE_PGM_RSRC2:TIDIG_COMP_CNT: 0
; COMPUTE_PGM_RSRC3_GFX90A:ACCUM_OFFSET: 0
; COMPUTE_PGM_RSRC3_GFX90A:TG_SPLIT: 0
	.section	.text._ZN7rocprim17ROCPRIM_400000_NS6detail17trampoline_kernelINS0_14default_configENS1_35adjacent_difference_config_selectorILb1EaEEZNS1_24adjacent_difference_implIS3_Lb1ELb0EPKaPaN6thrust23THRUST_200600_302600_NS4plusIaEEEE10hipError_tPvRmT2_T3_mT4_P12ihipStream_tbEUlT_E_NS1_11comp_targetILNS1_3genE4ELNS1_11target_archE910ELNS1_3gpuE8ELNS1_3repE0EEENS1_30default_config_static_selectorELNS0_4arch9wavefront6targetE1EEEvT1_,"axG",@progbits,_ZN7rocprim17ROCPRIM_400000_NS6detail17trampoline_kernelINS0_14default_configENS1_35adjacent_difference_config_selectorILb1EaEEZNS1_24adjacent_difference_implIS3_Lb1ELb0EPKaPaN6thrust23THRUST_200600_302600_NS4plusIaEEEE10hipError_tPvRmT2_T3_mT4_P12ihipStream_tbEUlT_E_NS1_11comp_targetILNS1_3genE4ELNS1_11target_archE910ELNS1_3gpuE8ELNS1_3repE0EEENS1_30default_config_static_selectorELNS0_4arch9wavefront6targetE1EEEvT1_,comdat
	.protected	_ZN7rocprim17ROCPRIM_400000_NS6detail17trampoline_kernelINS0_14default_configENS1_35adjacent_difference_config_selectorILb1EaEEZNS1_24adjacent_difference_implIS3_Lb1ELb0EPKaPaN6thrust23THRUST_200600_302600_NS4plusIaEEEE10hipError_tPvRmT2_T3_mT4_P12ihipStream_tbEUlT_E_NS1_11comp_targetILNS1_3genE4ELNS1_11target_archE910ELNS1_3gpuE8ELNS1_3repE0EEENS1_30default_config_static_selectorELNS0_4arch9wavefront6targetE1EEEvT1_ ; -- Begin function _ZN7rocprim17ROCPRIM_400000_NS6detail17trampoline_kernelINS0_14default_configENS1_35adjacent_difference_config_selectorILb1EaEEZNS1_24adjacent_difference_implIS3_Lb1ELb0EPKaPaN6thrust23THRUST_200600_302600_NS4plusIaEEEE10hipError_tPvRmT2_T3_mT4_P12ihipStream_tbEUlT_E_NS1_11comp_targetILNS1_3genE4ELNS1_11target_archE910ELNS1_3gpuE8ELNS1_3repE0EEENS1_30default_config_static_selectorELNS0_4arch9wavefront6targetE1EEEvT1_
	.globl	_ZN7rocprim17ROCPRIM_400000_NS6detail17trampoline_kernelINS0_14default_configENS1_35adjacent_difference_config_selectorILb1EaEEZNS1_24adjacent_difference_implIS3_Lb1ELb0EPKaPaN6thrust23THRUST_200600_302600_NS4plusIaEEEE10hipError_tPvRmT2_T3_mT4_P12ihipStream_tbEUlT_E_NS1_11comp_targetILNS1_3genE4ELNS1_11target_archE910ELNS1_3gpuE8ELNS1_3repE0EEENS1_30default_config_static_selectorELNS0_4arch9wavefront6targetE1EEEvT1_
	.p2align	8
	.type	_ZN7rocprim17ROCPRIM_400000_NS6detail17trampoline_kernelINS0_14default_configENS1_35adjacent_difference_config_selectorILb1EaEEZNS1_24adjacent_difference_implIS3_Lb1ELb0EPKaPaN6thrust23THRUST_200600_302600_NS4plusIaEEEE10hipError_tPvRmT2_T3_mT4_P12ihipStream_tbEUlT_E_NS1_11comp_targetILNS1_3genE4ELNS1_11target_archE910ELNS1_3gpuE8ELNS1_3repE0EEENS1_30default_config_static_selectorELNS0_4arch9wavefront6targetE1EEEvT1_,@function
_ZN7rocprim17ROCPRIM_400000_NS6detail17trampoline_kernelINS0_14default_configENS1_35adjacent_difference_config_selectorILb1EaEEZNS1_24adjacent_difference_implIS3_Lb1ELb0EPKaPaN6thrust23THRUST_200600_302600_NS4plusIaEEEE10hipError_tPvRmT2_T3_mT4_P12ihipStream_tbEUlT_E_NS1_11comp_targetILNS1_3genE4ELNS1_11target_archE910ELNS1_3gpuE8ELNS1_3repE0EEENS1_30default_config_static_selectorELNS0_4arch9wavefront6targetE1EEEvT1_: ; @_ZN7rocprim17ROCPRIM_400000_NS6detail17trampoline_kernelINS0_14default_configENS1_35adjacent_difference_config_selectorILb1EaEEZNS1_24adjacent_difference_implIS3_Lb1ELb0EPKaPaN6thrust23THRUST_200600_302600_NS4plusIaEEEE10hipError_tPvRmT2_T3_mT4_P12ihipStream_tbEUlT_E_NS1_11comp_targetILNS1_3genE4ELNS1_11target_archE910ELNS1_3gpuE8ELNS1_3repE0EEENS1_30default_config_static_selectorELNS0_4arch9wavefront6targetE1EEEvT1_
; %bb.0:
	s_load_dwordx8 s[40:47], s[4:5], 0x0
	s_mov_b32 s1, 0x5ca1aca0
	v_bfrev_b32_e32 v1, 6
	s_load_dwordx4 s[8:11], s[4:5], 0x28
	s_movk_i32 s0, 0x980
	s_waitcnt lgkmcnt(0)
	s_add_u32 s7, s40, s42
	s_addc_u32 s18, s41, s43
	s_add_u32 s1, 0x14a, s1
	s_addc_u32 s2, 0, 0
	v_add_co_u32_e32 v1, vcc, s1, v1
	s_cmp_lg_u64 vcc, 0
	v_readfirstlane_b32 s3, v1
	s_addc_u32 s1, s2, 0x1af286
	s_mul_hi_u32 s4, s3, 0xfffff680
	s_mul_i32 s2, s1, 0xfffff680
	s_sub_i32 s4, s4, s3
	s_add_i32 s4, s4, s2
	s_mul_i32 s12, s3, 0xfffff680
	s_mul_hi_u32 s2, s3, s4
	s_mul_i32 s5, s3, s4
	s_mul_hi_u32 s3, s3, s12
	s_add_u32 s3, s3, s5
	s_addc_u32 s2, 0, s2
	s_mul_hi_u32 s13, s1, s12
	s_mul_i32 s12, s1, s12
	s_add_u32 s3, s3, s12
	s_mul_hi_u32 s5, s1, s4
	s_addc_u32 s2, s2, s13
	s_addc_u32 s3, s5, 0
	s_mul_i32 s4, s1, s4
	s_add_u32 s2, s2, s4
	s_addc_u32 s3, 0, s3
	v_add_co_u32_e32 v1, vcc, s2, v1
	s_cmp_lg_u64 vcc, 0
	s_addc_u32 s1, s1, s3
	v_readfirstlane_b32 s4, v1
	s_mul_i32 s3, s46, s1
	s_mul_hi_u32 s5, s46, s4
	s_mul_hi_u32 s2, s46, s1
	s_add_u32 s3, s5, s3
	s_addc_u32 s2, 0, s2
	s_mul_hi_u32 s12, s47, s4
	s_mul_i32 s4, s47, s4
	s_add_u32 s3, s3, s4
	s_mul_hi_u32 s5, s47, s1
	s_addc_u32 s2, s2, s12
	s_addc_u32 s3, s5, 0
	s_mul_i32 s1, s47, s1
	s_add_u32 s1, s2, s1
	s_addc_u32 s2, 0, s3
	s_add_u32 s3, s1, 1
	s_addc_u32 s4, s2, 0
	s_add_u32 s5, s1, 2
	s_mul_i32 s13, s2, 0x980
	s_mul_hi_u32 s14, s1, 0x980
	s_addc_u32 s12, s2, 0
	s_add_i32 s14, s14, s13
	s_mul_i32 s13, s1, 0x980
	v_mov_b32_e32 v1, s13
	v_sub_co_u32_e32 v1, vcc, s46, v1
	s_cmp_lg_u64 vcc, 0
	s_subb_u32 s13, s47, s14
	v_subrev_co_u32_e32 v2, vcc, s0, v1
	s_cmp_lg_u64 vcc, 0
	s_subb_u32 s0, s13, 0
	v_readfirstlane_b32 s14, v2
	s_cmpk_gt_u32 s14, 0x97f
	s_cselect_b32 s14, -1, 0
	s_cmp_eq_u32 s0, 0
	s_cselect_b32 s0, s14, -1
	s_cmp_lg_u32 s0, 0
	s_cselect_b32 s0, s5, s3
	s_cselect_b32 s3, s12, s4
	v_readfirstlane_b32 s4, v1
	s_cmpk_gt_u32 s4, 0x97f
	s_cselect_b32 s4, -1, 0
	s_cmp_eq_u32 s13, 0
	s_cselect_b32 s4, s4, -1
	s_cmp_lg_u32 s4, 0
	s_cselect_b32 s3, s3, s2
	s_cselect_b32 s2, s0, s1
	s_mul_i32 s0, s3, 0x980
	s_mul_hi_u32 s1, s2, 0x980
	s_add_i32 s1, s1, s0
	s_mul_i32 s0, s2, 0x980
	s_sub_u32 s0, s46, s0
	s_subb_u32 s1, s47, s1
	s_cmp_lg_u64 s[0:1], 0
	s_cselect_b64 s[0:1], -1, 0
	v_cndmask_b32_e64 v1, 0, 1, s[0:1]
	v_readfirstlane_b32 s0, v1
	s_add_u32 s2, s2, s0
	s_addc_u32 s3, s3, 0
	s_add_u32 s4, s10, s6
	s_addc_u32 s5, s11, 0
	s_add_u32 s12, s2, -1
	s_addc_u32 s13, s3, -1
	v_pk_mov_b32 v[2:3], s[12:13], s[12:13] op_sel:[0,1]
	v_cmp_ge_u64_e64 s[0:1], s[4:5], v[2:3]
	s_mul_i32 s33, s6, 0x980
	s_mov_b64 s[14:15], -1
	s_and_b64 vcc, exec, s[0:1]
	s_mul_i32 s47, s12, 0xfffff680
	s_cbranch_vccz .LBB486_40
; %bb.1:
	s_add_i32 s19, s47, s46
	s_add_u32 s14, s7, s33
	s_addc_u32 s15, s18, 0
	v_cmp_gt_u32_e32 vcc, s19, v0
                                        ; implicit-def: $vgpr1
	s_and_saveexec_b64 s[16:17], vcc
	s_cbranch_execz .LBB486_3
; %bb.2:
	global_load_ubyte v1, v0, s[14:15]
.LBB486_3:
	s_or_b64 exec, exec, s[16:17]
	v_or_b32_e32 v2, 0x80, v0
	v_cmp_gt_u32_e32 vcc, s19, v2
                                        ; implicit-def: $vgpr2
	s_and_saveexec_b64 s[16:17], vcc
	s_cbranch_execz .LBB486_5
; %bb.4:
	global_load_ubyte v2, v0, s[14:15] offset:128
.LBB486_5:
	s_or_b64 exec, exec, s[16:17]
	v_or_b32_e32 v3, 0x100, v0
	v_cmp_gt_u32_e32 vcc, s19, v3
                                        ; implicit-def: $vgpr3
	s_and_saveexec_b64 s[16:17], vcc
	s_cbranch_execz .LBB486_7
; %bb.6:
	global_load_ubyte v3, v0, s[14:15] offset:256
.LBB486_7:
	s_or_b64 exec, exec, s[16:17]
	v_or_b32_e32 v4, 0x180, v0
	v_cmp_gt_u32_e32 vcc, s19, v4
                                        ; implicit-def: $vgpr4
	s_and_saveexec_b64 s[16:17], vcc
	s_cbranch_execz .LBB486_9
; %bb.8:
	global_load_ubyte v4, v0, s[14:15] offset:384
.LBB486_9:
	s_or_b64 exec, exec, s[16:17]
	v_or_b32_e32 v5, 0x200, v0
	v_cmp_gt_u32_e32 vcc, s19, v5
                                        ; implicit-def: $vgpr5
	s_and_saveexec_b64 s[16:17], vcc
	s_cbranch_execz .LBB486_11
; %bb.10:
	global_load_ubyte v5, v0, s[14:15] offset:512
.LBB486_11:
	s_or_b64 exec, exec, s[16:17]
	v_or_b32_e32 v6, 0x280, v0
	v_cmp_gt_u32_e32 vcc, s19, v6
                                        ; implicit-def: $vgpr6
	s_and_saveexec_b64 s[16:17], vcc
	s_cbranch_execz .LBB486_13
; %bb.12:
	global_load_ubyte v6, v0, s[14:15] offset:640
.LBB486_13:
	s_or_b64 exec, exec, s[16:17]
	v_or_b32_e32 v7, 0x300, v0
	v_cmp_gt_u32_e32 vcc, s19, v7
                                        ; implicit-def: $vgpr7
	s_and_saveexec_b64 s[16:17], vcc
	s_cbranch_execz .LBB486_15
; %bb.14:
	global_load_ubyte v7, v0, s[14:15] offset:768
.LBB486_15:
	s_or_b64 exec, exec, s[16:17]
	v_or_b32_e32 v8, 0x380, v0
	v_cmp_gt_u32_e32 vcc, s19, v8
                                        ; implicit-def: $vgpr8
	s_and_saveexec_b64 s[16:17], vcc
	s_cbranch_execz .LBB486_17
; %bb.16:
	global_load_ubyte v8, v0, s[14:15] offset:896
.LBB486_17:
	s_or_b64 exec, exec, s[16:17]
	v_or_b32_e32 v9, 0x400, v0
	v_cmp_gt_u32_e32 vcc, s19, v9
                                        ; implicit-def: $vgpr9
	s_and_saveexec_b64 s[16:17], vcc
	s_cbranch_execz .LBB486_19
; %bb.18:
	global_load_ubyte v9, v0, s[14:15] offset:1024
.LBB486_19:
	s_or_b64 exec, exec, s[16:17]
	v_or_b32_e32 v10, 0x480, v0
	v_cmp_gt_u32_e32 vcc, s19, v10
                                        ; implicit-def: $vgpr10
	s_and_saveexec_b64 s[16:17], vcc
	s_cbranch_execz .LBB486_21
; %bb.20:
	global_load_ubyte v10, v0, s[14:15] offset:1152
.LBB486_21:
	s_or_b64 exec, exec, s[16:17]
	v_or_b32_e32 v11, 0x500, v0
	v_cmp_gt_u32_e32 vcc, s19, v11
                                        ; implicit-def: $vgpr11
	s_and_saveexec_b64 s[16:17], vcc
	s_cbranch_execz .LBB486_23
; %bb.22:
	global_load_ubyte v11, v0, s[14:15] offset:1280
.LBB486_23:
	s_or_b64 exec, exec, s[16:17]
	v_or_b32_e32 v12, 0x580, v0
	v_cmp_gt_u32_e32 vcc, s19, v12
                                        ; implicit-def: $vgpr12
	s_and_saveexec_b64 s[16:17], vcc
	s_cbranch_execz .LBB486_25
; %bb.24:
	global_load_ubyte v12, v0, s[14:15] offset:1408
.LBB486_25:
	s_or_b64 exec, exec, s[16:17]
	v_or_b32_e32 v13, 0x600, v0
	v_cmp_gt_u32_e32 vcc, s19, v13
                                        ; implicit-def: $vgpr13
	s_and_saveexec_b64 s[16:17], vcc
	s_cbranch_execz .LBB486_27
; %bb.26:
	global_load_ubyte v13, v0, s[14:15] offset:1536
.LBB486_27:
	s_or_b64 exec, exec, s[16:17]
	v_or_b32_e32 v14, 0x680, v0
	v_cmp_gt_u32_e32 vcc, s19, v14
                                        ; implicit-def: $vgpr14
	s_and_saveexec_b64 s[16:17], vcc
	s_cbranch_execz .LBB486_29
; %bb.28:
	global_load_ubyte v14, v0, s[14:15] offset:1664
.LBB486_29:
	s_or_b64 exec, exec, s[16:17]
	v_or_b32_e32 v15, 0x700, v0
	v_cmp_gt_u32_e32 vcc, s19, v15
                                        ; implicit-def: $vgpr15
	s_and_saveexec_b64 s[16:17], vcc
	s_cbranch_execz .LBB486_31
; %bb.30:
	global_load_ubyte v15, v0, s[14:15] offset:1792
.LBB486_31:
	s_or_b64 exec, exec, s[16:17]
	v_or_b32_e32 v16, 0x780, v0
	v_cmp_gt_u32_e32 vcc, s19, v16
                                        ; implicit-def: $vgpr16
	s_and_saveexec_b64 s[16:17], vcc
	s_cbranch_execz .LBB486_33
; %bb.32:
	global_load_ubyte v16, v0, s[14:15] offset:1920
.LBB486_33:
	s_or_b64 exec, exec, s[16:17]
	v_or_b32_e32 v17, 0x800, v0
	v_cmp_gt_u32_e32 vcc, s19, v17
                                        ; implicit-def: $vgpr17
	s_and_saveexec_b64 s[16:17], vcc
	s_cbranch_execz .LBB486_35
; %bb.34:
	global_load_ubyte v17, v0, s[14:15] offset:2048
.LBB486_35:
	s_or_b64 exec, exec, s[16:17]
	v_or_b32_e32 v18, 0x880, v0
	v_cmp_gt_u32_e32 vcc, s19, v18
                                        ; implicit-def: $vgpr18
	s_and_saveexec_b64 s[16:17], vcc
	s_cbranch_execz .LBB486_37
; %bb.36:
	global_load_ubyte v18, v0, s[14:15] offset:2176
.LBB486_37:
	s_or_b64 exec, exec, s[16:17]
	v_or_b32_e32 v19, 0x900, v0
	v_cmp_gt_u32_e32 vcc, s19, v19
                                        ; implicit-def: $vgpr19
	s_and_saveexec_b64 s[16:17], vcc
	s_cbranch_execz .LBB486_39
; %bb.38:
	global_load_ubyte v19, v0, s[14:15] offset:2304
.LBB486_39:
	s_or_b64 exec, exec, s[16:17]
	s_mov_b64 s[14:15], 0
	s_waitcnt vmcnt(0)
	ds_write_b8 v0, v1
	ds_write_b8 v0, v2 offset:128
	ds_write_b8 v0, v3 offset:256
	;; [unrolled: 1-line block ×18, first 2 shown]
	s_waitcnt lgkmcnt(0)
	s_barrier
.LBB486_40:
	s_and_b64 vcc, exec, s[14:15]
	s_cbranch_vccz .LBB486_42
; %bb.41:
	s_add_u32 s14, s7, s33
	s_addc_u32 s15, s18, 0
	global_load_ubyte v1, v0, s[14:15]
	global_load_ubyte v2, v0, s[14:15] offset:128
	global_load_ubyte v3, v0, s[14:15] offset:256
	;; [unrolled: 1-line block ×18, first 2 shown]
	s_waitcnt vmcnt(18)
	ds_write_b8 v0, v1
	s_waitcnt vmcnt(17)
	ds_write_b8 v0, v2 offset:128
	s_waitcnt vmcnt(16)
	ds_write_b8 v0, v3 offset:256
	s_waitcnt vmcnt(15)
	ds_write_b8 v0, v4 offset:384
	s_waitcnt vmcnt(14)
	ds_write_b8 v0, v5 offset:512
	s_waitcnt vmcnt(13)
	ds_write_b8 v0, v6 offset:640
	s_waitcnt vmcnt(12)
	ds_write_b8 v0, v7 offset:768
	s_waitcnt vmcnt(11)
	ds_write_b8 v0, v8 offset:896
	s_waitcnt vmcnt(10)
	ds_write_b8 v0, v9 offset:1024
	s_waitcnt vmcnt(9)
	ds_write_b8 v0, v10 offset:1152
	s_waitcnt vmcnt(8)
	ds_write_b8 v0, v11 offset:1280
	s_waitcnt vmcnt(7)
	ds_write_b8 v0, v12 offset:1408
	s_waitcnt vmcnt(6)
	ds_write_b8 v0, v13 offset:1536
	s_waitcnt vmcnt(5)
	ds_write_b8 v0, v14 offset:1664
	s_waitcnt vmcnt(4)
	ds_write_b8 v0, v15 offset:1792
	s_waitcnt vmcnt(3)
	ds_write_b8 v0, v16 offset:1920
	s_waitcnt vmcnt(2)
	ds_write_b8 v0, v17 offset:2048
	s_waitcnt vmcnt(1)
	ds_write_b8 v0, v18 offset:2176
	s_waitcnt vmcnt(0)
	ds_write_b8 v0, v19 offset:2304
	s_waitcnt lgkmcnt(0)
	s_barrier
.LBB486_42:
	v_mul_u32_u24_e32 v1, 19, v0
	ds_read_b128 v[2:5], v1
	ds_read_u8 v6, v1 offset:16
	ds_read_u8 v7, v1 offset:17
	;; [unrolled: 1-line block ×3, first 2 shown]
	s_cmp_eq_u64 s[4:5], 0
	s_waitcnt lgkmcnt(3)
	v_lshrrev_b32_e32 v9, 8, v2
	v_lshrrev_b32_e32 v10, 16, v2
	v_lshrrev_b32_e32 v11, 24, v2
	v_lshrrev_b32_e32 v12, 8, v3
	v_lshrrev_b32_e32 v13, 16, v3
	v_lshrrev_b32_e32 v14, 24, v3
	v_lshrrev_b32_e32 v15, 8, v4
	v_lshrrev_b32_e32 v16, 16, v4
	v_lshrrev_b32_e32 v17, 24, v4
	v_lshrrev_b32_e32 v18, 8, v5
	v_lshrrev_b32_e32 v19, 16, v5
	v_lshrrev_b32_e32 v20, 24, v5
	s_waitcnt lgkmcnt(0)
	s_barrier
	s_cbranch_scc1 .LBB486_47
; %bb.43:
	s_add_u32 s7, s8, s10
	s_addc_u32 s8, s9, s11
	s_add_u32 s6, s7, s6
	s_addc_u32 s7, s8, 0
	v_mov_b32_e32 v1, 0
	global_load_ubyte v38, v1, s[6:7] offset:-1
	s_cmp_eq_u64 s[4:5], s[12:13]
	s_cbranch_scc1 .LBB486_48
; %bb.44:
	v_cmp_ne_u32_e32 vcc, 0, v0
	s_waitcnt vmcnt(0)
	v_mov_b32_e32 v1, v38
	ds_write_b8 v0, v8
	s_waitcnt lgkmcnt(0)
	s_barrier
	s_and_saveexec_b64 s[6:7], vcc
	s_cbranch_execz .LBB486_46
; %bb.45:
	v_add_u32_e32 v1, -1, v0
	ds_read_u8 v1, v1
.LBB486_46:
	s_or_b64 exec, exec, s[6:7]
	s_waitcnt lgkmcnt(0)
	v_add_u16_e32 v1, v1, v2
	s_mov_b64 s[6:7], 0
	s_branch .LBB486_49
.LBB486_47:
                                        ; implicit-def: $vgpr1
                                        ; implicit-def: $vgpr39
                                        ; implicit-def: $vgpr37
                                        ; implicit-def: $vgpr36
                                        ; implicit-def: $vgpr35
                                        ; implicit-def: $vgpr34
                                        ; implicit-def: $vgpr33
                                        ; implicit-def: $vgpr32
                                        ; implicit-def: $vgpr31
                                        ; implicit-def: $vgpr30
                                        ; implicit-def: $vgpr28
                                        ; implicit-def: $vgpr27
                                        ; implicit-def: $vgpr26
                                        ; implicit-def: $vgpr25
                                        ; implicit-def: $vgpr24
                                        ; implicit-def: $vgpr23
                                        ; implicit-def: $vgpr22
                                        ; implicit-def: $vgpr21
                                        ; implicit-def: $vgpr29
	s_branch .LBB486_54
.LBB486_48:
	s_mov_b64 s[6:7], -1
                                        ; implicit-def: $vgpr1
.LBB486_49:
	s_and_b64 vcc, exec, s[6:7]
	v_mov_b32_e32 v39, v2
	v_mov_b32_e32 v37, v9
	;; [unrolled: 1-line block ×18, first 2 shown]
	s_cbranch_vccz .LBB486_53
; %bb.50:
	v_mul_u32_u24_e32 v1, 19, v0
	v_cmp_ne_u32_e32 vcc, 0, v0
	ds_write_b8 v0, v8
	s_waitcnt lgkmcnt(0)
	s_barrier
	s_and_saveexec_b64 s[6:7], vcc
	s_cbranch_execz .LBB486_52
; %bb.51:
	v_add_u32_e32 v21, -1, v0
	s_waitcnt vmcnt(0)
	ds_read_u8 v38, v21
.LBB486_52:
	s_or_b64 exec, exec, s[6:7]
	s_mulk_i32 s4, 0xf680
	s_add_i32 s4, s4, s46
	v_add_u32_e32 v21, 18, v1
	v_cmp_gt_u32_e32 vcc, s4, v21
	v_add_u32_e32 v21, 17, v1
	v_cndmask_b32_e32 v29, 0, v7, vcc
	v_cmp_gt_u32_e32 vcc, s4, v21
	v_add_u32_e32 v22, 16, v1
	v_cndmask_b32_e32 v21, 0, v6, vcc
	;; [unrolled: 3-line block ×17, first 2 shown]
	v_cmp_gt_u32_e32 vcc, s4, v39
	v_cndmask_b32_e32 v39, 0, v2, vcc
	v_cmp_gt_u32_e32 vcc, s4, v1
	s_waitcnt vmcnt(0) lgkmcnt(0)
	v_cndmask_b32_e32 v1, 0, v38, vcc
	v_add_u16_e32 v1, v1, v2
.LBB486_53:
	s_cbranch_execnz .LBB486_64
.LBB486_54:
	s_cmp_eq_u64 s[2:3], 1
	v_cmp_ne_u32_e32 vcc, 0, v0
	s_cbranch_scc1 .LBB486_58
; %bb.55:
	v_mov_b32_e32 v1, v2
	ds_write_b8 v0, v8
	s_waitcnt lgkmcnt(0)
	s_barrier
	s_and_saveexec_b64 s[2:3], vcc
	s_cbranch_execz .LBB486_57
; %bb.56:
	v_add_u32_e32 v1, -1, v0
	ds_read_u8 v1, v1
	s_waitcnt lgkmcnt(0)
	v_add_u16_e32 v1, v1, v2
.LBB486_57:
	s_or_b64 exec, exec, s[2:3]
	s_mov_b64 s[2:3], 0
	s_branch .LBB486_59
.LBB486_58:
	s_mov_b64 s[2:3], -1
                                        ; implicit-def: $vgpr1
.LBB486_59:
	s_andn2_b64 vcc, exec, s[2:3]
	v_mov_b32_e32 v37, v9
	v_mov_b32_e32 v36, v10
	;; [unrolled: 1-line block ×17, first 2 shown]
	s_cbranch_vccnz .LBB486_63
; %bb.60:
	v_mad_u32_u24 v21, v0, 19, 18
	v_cmp_gt_u32_e32 vcc, s46, v21
	v_mad_u32_u24 v21, v0, 19, 17
	v_cmp_gt_u32_e64 s[2:3], s46, v21
	v_mad_u32_u24 v21, v0, 19, 16
	v_cmp_gt_u32_e64 s[4:5], s46, v21
	;; [unrolled: 2-line block ×14, first 2 shown]
	v_mad_u32_u24 v21, v0, 19, 3
	v_mul_u32_u24_e32 v1, 19, v0
	v_cmp_gt_u32_e64 s[30:31], s46, v21
	v_mad_u32_u24 v21, v0, 19, 2
	v_cmp_gt_u32_e64 s[34:35], s46, v21
	v_mad_u32_u24 v21, v0, 19, 1
	v_cmp_ne_u32_e64 s[38:39], 0, v0
	v_cmp_gt_u32_e64 s[40:41], s46, v1
	v_cmp_gt_u32_e64 s[36:37], s46, v21
	s_and_b64 s[40:41], s[38:39], s[40:41]
	v_mov_b32_e32 v1, v2
	ds_write_b8 v0, v8
	s_waitcnt lgkmcnt(0)
	s_barrier
	s_and_saveexec_b64 s[38:39], s[40:41]
	s_cbranch_execz .LBB486_62
; %bb.61:
	v_add_u32_e32 v1, -1, v0
	ds_read_u8 v1, v1
	s_waitcnt lgkmcnt(0)
	v_add_u16_e32 v1, v1, v2
.LBB486_62:
	s_or_b64 exec, exec, s[38:39]
	v_cndmask_b32_e32 v29, 0, v7, vcc
	v_cndmask_b32_e64 v21, 0, v6, s[2:3]
	v_cndmask_b32_e64 v22, 0, v20, s[4:5]
	;; [unrolled: 1-line block ×17, first 2 shown]
.LBB486_63:
	v_mov_b32_e32 v39, v2
.LBB486_64:
	s_add_u32 s4, s44, s42
	v_add_u16_e32 v8, v29, v8
	v_add_u16_e32 v2, v39, v9
	;; [unrolled: 1-line block ×13, first 2 shown]
	s_addc_u32 s5, s45, s43
	v_add_u16_e32 v12, v31, v4
	v_add_u16_e32 v14, v26, v5
	;; [unrolled: 1-line block ×5, first 2 shown]
	s_and_b64 vcc, exec, s[0:1]
	v_mul_u32_u24_e32 v6, 19, v0
	v_lshlrev_b16_e32 v21, 8, v17
	v_lshlrev_b16_e32 v22, 8, v18
	;; [unrolled: 1-line block ×8, first 2 shown]
	s_barrier
	s_cbranch_vccz .LBB486_102
; %bb.65:
	v_or_b32_sdwa v2, v14, v21 dst_sel:DWORD dst_unused:UNUSED_PAD src0_sel:BYTE_0 src1_sel:DWORD
	v_or_b32_sdwa v3, v15, v22 dst_sel:WORD_1 dst_unused:UNUSED_PAD src0_sel:BYTE_0 src1_sel:DWORD
	v_or_b32_sdwa v27, v2, v3 dst_sel:DWORD dst_unused:UNUSED_PAD src0_sel:WORD_0 src1_sel:DWORD
	v_or_b32_sdwa v2, v12, v19 dst_sel:DWORD dst_unused:UNUSED_PAD src0_sel:BYTE_0 src1_sel:DWORD
	v_or_b32_sdwa v3, v13, v20 dst_sel:WORD_1 dst_unused:UNUSED_PAD src0_sel:BYTE_0 src1_sel:DWORD
	v_or_b32_sdwa v26, v2, v3 dst_sel:DWORD dst_unused:UNUSED_PAD src0_sel:WORD_0 src1_sel:DWORD
	;; [unrolled: 3-line block ×4, first 2 shown]
	ds_write_b128 v6, v[24:27]
	ds_write_b8 v6, v4 offset:16
	ds_write_b8 v6, v5 offset:17
	;; [unrolled: 1-line block ×3, first 2 shown]
	s_waitcnt lgkmcnt(0)
	s_barrier
	ds_read_u8 v40, v0 offset:128
	ds_read_u8 v39, v0 offset:256
	s_waitcnt vmcnt(0)
	ds_read_u8 v38, v0 offset:384
	ds_read_u8 v37, v0 offset:512
	;; [unrolled: 1-line block ×16, first 2 shown]
	s_add_i32 s47, s47, s46
	s_add_u32 s0, s4, s33
	s_addc_u32 s1, s5, 0
	v_mov_b32_e32 v3, s1
	v_add_co_u32_e32 v2, vcc, s0, v0
	v_addc_co_u32_e32 v3, vcc, 0, v3, vcc
	v_cmp_gt_u32_e32 vcc, s47, v0
	s_and_saveexec_b64 s[0:1], vcc
	s_cbranch_execz .LBB486_67
; %bb.66:
	ds_read_u8 v41, v0
	s_waitcnt lgkmcnt(0)
	global_store_byte v[2:3], v41, off
.LBB486_67:
	s_or_b64 exec, exec, s[0:1]
	v_or_b32_e32 v41, 0x80, v0
	v_cmp_gt_u32_e32 vcc, s47, v41
	s_and_saveexec_b64 s[0:1], vcc
	s_cbranch_execz .LBB486_69
; %bb.68:
	s_waitcnt lgkmcnt(14)
	global_store_byte v[2:3], v40, off offset:128
.LBB486_69:
	s_or_b64 exec, exec, s[0:1]
	s_waitcnt lgkmcnt(14)
	v_or_b32_e32 v40, 0x100, v0
	v_cmp_gt_u32_e32 vcc, s47, v40
	s_and_saveexec_b64 s[0:1], vcc
	s_cbranch_execz .LBB486_71
; %bb.70:
	global_store_byte v[2:3], v39, off offset:256
.LBB486_71:
	s_or_b64 exec, exec, s[0:1]
	v_or_b32_e32 v39, 0x180, v0
	v_cmp_gt_u32_e32 vcc, s47, v39
	s_and_saveexec_b64 s[0:1], vcc
	s_cbranch_execz .LBB486_73
; %bb.72:
	global_store_byte v[2:3], v38, off offset:384
.LBB486_73:
	s_or_b64 exec, exec, s[0:1]
	;; [unrolled: 8-line block ×3, first 2 shown]
	v_or_b32_e32 v37, 0x280, v0
	v_cmp_gt_u32_e32 vcc, s47, v37
	s_and_saveexec_b64 s[0:1], vcc
	s_cbranch_execz .LBB486_77
; %bb.76:
	s_waitcnt lgkmcnt(13)
	global_store_byte v[2:3], v36, off offset:640
.LBB486_77:
	s_or_b64 exec, exec, s[0:1]
	s_waitcnt lgkmcnt(13)
	v_or_b32_e32 v36, 0x300, v0
	v_cmp_gt_u32_e32 vcc, s47, v36
	s_and_saveexec_b64 s[0:1], vcc
	s_cbranch_execz .LBB486_79
; %bb.78:
	s_waitcnt lgkmcnt(12)
	global_store_byte v[2:3], v35, off offset:768
.LBB486_79:
	s_or_b64 exec, exec, s[0:1]
	s_waitcnt lgkmcnt(12)
	;; [unrolled: 10-line block ×13, first 2 shown]
	v_or_b32_e32 v24, 0x900, v0
	v_cmp_gt_u32_e64 s[0:1], s47, v24
	s_branch .LBB486_104
.LBB486_102:
	s_mov_b64 s[0:1], 0
                                        ; implicit-def: $vgpr23
                                        ; implicit-def: $vgpr2_vgpr3
	s_cbranch_execz .LBB486_104
; %bb.103:
	v_or_b32_sdwa v2, v14, v21 dst_sel:DWORD dst_unused:UNUSED_PAD src0_sel:BYTE_0 src1_sel:DWORD
	v_or_b32_sdwa v3, v15, v22 dst_sel:WORD_1 dst_unused:UNUSED_PAD src0_sel:BYTE_0 src1_sel:DWORD
	v_or_b32_sdwa v15, v2, v3 dst_sel:DWORD dst_unused:UNUSED_PAD src0_sel:WORD_0 src1_sel:DWORD
	v_or_b32_sdwa v2, v12, v19 dst_sel:DWORD dst_unused:UNUSED_PAD src0_sel:BYTE_0 src1_sel:DWORD
	v_or_b32_sdwa v3, v13, v20 dst_sel:WORD_1 dst_unused:UNUSED_PAD src0_sel:BYTE_0 src1_sel:DWORD
	v_or_b32_sdwa v14, v2, v3 dst_sel:DWORD dst_unused:UNUSED_PAD src0_sel:WORD_0 src1_sel:DWORD
	v_or_b32_sdwa v2, v10, v17 dst_sel:DWORD dst_unused:UNUSED_PAD src0_sel:BYTE_0 src1_sel:DWORD
	v_or_b32_sdwa v3, v11, v18 dst_sel:WORD_1 dst_unused:UNUSED_PAD src0_sel:BYTE_0 src1_sel:DWORD
	v_or_b32_sdwa v13, v2, v3 dst_sel:DWORD dst_unused:UNUSED_PAD src0_sel:WORD_0 src1_sel:DWORD
	v_or_b32_sdwa v1, v1, v7 dst_sel:DWORD dst_unused:UNUSED_PAD src0_sel:BYTE_0 src1_sel:DWORD
	v_or_b32_sdwa v2, v9, v16 dst_sel:WORD_1 dst_unused:UNUSED_PAD src0_sel:BYTE_0 src1_sel:DWORD
	v_or_b32_sdwa v12, v1, v2 dst_sel:DWORD dst_unused:UNUSED_PAD src0_sel:WORD_0 src1_sel:DWORD
	s_add_u32 s2, s4, s33
	ds_write_b128 v6, v[12:15]
	ds_write_b8 v6, v4 offset:16
	ds_write_b8 v6, v5 offset:17
	;; [unrolled: 1-line block ×3, first 2 shown]
	s_waitcnt lgkmcnt(0)
	s_barrier
	ds_read_u8 v1, v0
	ds_read_u8 v4, v0 offset:128
	ds_read_u8 v5, v0 offset:256
	;; [unrolled: 1-line block ×18, first 2 shown]
	s_addc_u32 s3, s5, 0
	v_mov_b32_e32 v3, s3
	v_add_co_u32_e32 v2, vcc, s2, v0
	v_addc_co_u32_e32 v3, vcc, 0, v3, vcc
	s_or_b64 s[0:1], s[0:1], exec
	s_waitcnt lgkmcnt(14)
	global_store_byte v0, v1, s[2:3]
	global_store_byte v0, v4, s[2:3] offset:128
	global_store_byte v0, v5, s[2:3] offset:256
	;; [unrolled: 1-line block ×4, first 2 shown]
	s_waitcnt lgkmcnt(13)
	global_store_byte v0, v8, s[2:3] offset:640
	s_waitcnt lgkmcnt(12)
	global_store_byte v0, v9, s[2:3] offset:768
	s_waitcnt lgkmcnt(11)
	global_store_byte v0, v10, s[2:3] offset:896
	s_waitcnt lgkmcnt(10)
	global_store_byte v0, v11, s[2:3] offset:1024
	s_waitcnt lgkmcnt(9)
	global_store_byte v0, v12, s[2:3] offset:1152
	s_waitcnt lgkmcnt(8)
	global_store_byte v0, v13, s[2:3] offset:1280
	s_waitcnt lgkmcnt(7)
	global_store_byte v0, v14, s[2:3] offset:1408
	s_waitcnt lgkmcnt(6)
	global_store_byte v0, v15, s[2:3] offset:1536
	s_waitcnt lgkmcnt(5)
	global_store_byte v0, v16, s[2:3] offset:1664
	s_waitcnt lgkmcnt(4)
	global_store_byte v0, v17, s[2:3] offset:1792
	s_waitcnt lgkmcnt(3)
	global_store_byte v0, v18, s[2:3] offset:1920
	s_waitcnt lgkmcnt(2)
	global_store_byte v0, v19, s[2:3] offset:2048
	s_waitcnt lgkmcnt(1)
	global_store_byte v0, v20, s[2:3] offset:2176
.LBB486_104:
	s_and_saveexec_b64 s[2:3], s[0:1]
	s_cbranch_execnz .LBB486_106
; %bb.105:
	s_endpgm
.LBB486_106:
	s_waitcnt lgkmcnt(0)
	global_store_byte v[2:3], v23, off offset:2304
	s_endpgm
	.section	.rodata,"a",@progbits
	.p2align	6, 0x0
	.amdhsa_kernel _ZN7rocprim17ROCPRIM_400000_NS6detail17trampoline_kernelINS0_14default_configENS1_35adjacent_difference_config_selectorILb1EaEEZNS1_24adjacent_difference_implIS3_Lb1ELb0EPKaPaN6thrust23THRUST_200600_302600_NS4plusIaEEEE10hipError_tPvRmT2_T3_mT4_P12ihipStream_tbEUlT_E_NS1_11comp_targetILNS1_3genE4ELNS1_11target_archE910ELNS1_3gpuE8ELNS1_3repE0EEENS1_30default_config_static_selectorELNS0_4arch9wavefront6targetE1EEEvT1_
		.amdhsa_group_segment_fixed_size 2432
		.amdhsa_private_segment_fixed_size 0
		.amdhsa_kernarg_size 56
		.amdhsa_user_sgpr_count 6
		.amdhsa_user_sgpr_private_segment_buffer 1
		.amdhsa_user_sgpr_dispatch_ptr 0
		.amdhsa_user_sgpr_queue_ptr 0
		.amdhsa_user_sgpr_kernarg_segment_ptr 1
		.amdhsa_user_sgpr_dispatch_id 0
		.amdhsa_user_sgpr_flat_scratch_init 0
		.amdhsa_user_sgpr_kernarg_preload_length 0
		.amdhsa_user_sgpr_kernarg_preload_offset 0
		.amdhsa_user_sgpr_private_segment_size 0
		.amdhsa_uses_dynamic_stack 0
		.amdhsa_system_sgpr_private_segment_wavefront_offset 0
		.amdhsa_system_sgpr_workgroup_id_x 1
		.amdhsa_system_sgpr_workgroup_id_y 0
		.amdhsa_system_sgpr_workgroup_id_z 0
		.amdhsa_system_sgpr_workgroup_info 0
		.amdhsa_system_vgpr_workitem_id 0
		.amdhsa_next_free_vgpr 42
		.amdhsa_next_free_sgpr 48
		.amdhsa_accum_offset 44
		.amdhsa_reserve_vcc 1
		.amdhsa_reserve_flat_scratch 0
		.amdhsa_float_round_mode_32 0
		.amdhsa_float_round_mode_16_64 0
		.amdhsa_float_denorm_mode_32 3
		.amdhsa_float_denorm_mode_16_64 3
		.amdhsa_dx10_clamp 1
		.amdhsa_ieee_mode 1
		.amdhsa_fp16_overflow 0
		.amdhsa_tg_split 0
		.amdhsa_exception_fp_ieee_invalid_op 0
		.amdhsa_exception_fp_denorm_src 0
		.amdhsa_exception_fp_ieee_div_zero 0
		.amdhsa_exception_fp_ieee_overflow 0
		.amdhsa_exception_fp_ieee_underflow 0
		.amdhsa_exception_fp_ieee_inexact 0
		.amdhsa_exception_int_div_zero 0
	.end_amdhsa_kernel
	.section	.text._ZN7rocprim17ROCPRIM_400000_NS6detail17trampoline_kernelINS0_14default_configENS1_35adjacent_difference_config_selectorILb1EaEEZNS1_24adjacent_difference_implIS3_Lb1ELb0EPKaPaN6thrust23THRUST_200600_302600_NS4plusIaEEEE10hipError_tPvRmT2_T3_mT4_P12ihipStream_tbEUlT_E_NS1_11comp_targetILNS1_3genE4ELNS1_11target_archE910ELNS1_3gpuE8ELNS1_3repE0EEENS1_30default_config_static_selectorELNS0_4arch9wavefront6targetE1EEEvT1_,"axG",@progbits,_ZN7rocprim17ROCPRIM_400000_NS6detail17trampoline_kernelINS0_14default_configENS1_35adjacent_difference_config_selectorILb1EaEEZNS1_24adjacent_difference_implIS3_Lb1ELb0EPKaPaN6thrust23THRUST_200600_302600_NS4plusIaEEEE10hipError_tPvRmT2_T3_mT4_P12ihipStream_tbEUlT_E_NS1_11comp_targetILNS1_3genE4ELNS1_11target_archE910ELNS1_3gpuE8ELNS1_3repE0EEENS1_30default_config_static_selectorELNS0_4arch9wavefront6targetE1EEEvT1_,comdat
.Lfunc_end486:
	.size	_ZN7rocprim17ROCPRIM_400000_NS6detail17trampoline_kernelINS0_14default_configENS1_35adjacent_difference_config_selectorILb1EaEEZNS1_24adjacent_difference_implIS3_Lb1ELb0EPKaPaN6thrust23THRUST_200600_302600_NS4plusIaEEEE10hipError_tPvRmT2_T3_mT4_P12ihipStream_tbEUlT_E_NS1_11comp_targetILNS1_3genE4ELNS1_11target_archE910ELNS1_3gpuE8ELNS1_3repE0EEENS1_30default_config_static_selectorELNS0_4arch9wavefront6targetE1EEEvT1_, .Lfunc_end486-_ZN7rocprim17ROCPRIM_400000_NS6detail17trampoline_kernelINS0_14default_configENS1_35adjacent_difference_config_selectorILb1EaEEZNS1_24adjacent_difference_implIS3_Lb1ELb0EPKaPaN6thrust23THRUST_200600_302600_NS4plusIaEEEE10hipError_tPvRmT2_T3_mT4_P12ihipStream_tbEUlT_E_NS1_11comp_targetILNS1_3genE4ELNS1_11target_archE910ELNS1_3gpuE8ELNS1_3repE0EEENS1_30default_config_static_selectorELNS0_4arch9wavefront6targetE1EEEvT1_
                                        ; -- End function
	.section	.AMDGPU.csdata,"",@progbits
; Kernel info:
; codeLenInByte = 4624
; NumSgprs: 52
; NumVgprs: 42
; NumAgprs: 0
; TotalNumVgprs: 42
; ScratchSize: 0
; MemoryBound: 0
; FloatMode: 240
; IeeeMode: 1
; LDSByteSize: 2432 bytes/workgroup (compile time only)
; SGPRBlocks: 6
; VGPRBlocks: 5
; NumSGPRsForWavesPerEU: 52
; NumVGPRsForWavesPerEU: 42
; AccumOffset: 44
; Occupancy: 8
; WaveLimiterHint : 1
; COMPUTE_PGM_RSRC2:SCRATCH_EN: 0
; COMPUTE_PGM_RSRC2:USER_SGPR: 6
; COMPUTE_PGM_RSRC2:TRAP_HANDLER: 0
; COMPUTE_PGM_RSRC2:TGID_X_EN: 1
; COMPUTE_PGM_RSRC2:TGID_Y_EN: 0
; COMPUTE_PGM_RSRC2:TGID_Z_EN: 0
; COMPUTE_PGM_RSRC2:TIDIG_COMP_CNT: 0
; COMPUTE_PGM_RSRC3_GFX90A:ACCUM_OFFSET: 10
; COMPUTE_PGM_RSRC3_GFX90A:TG_SPLIT: 0
	.section	.text._ZN7rocprim17ROCPRIM_400000_NS6detail17trampoline_kernelINS0_14default_configENS1_35adjacent_difference_config_selectorILb1EaEEZNS1_24adjacent_difference_implIS3_Lb1ELb0EPKaPaN6thrust23THRUST_200600_302600_NS4plusIaEEEE10hipError_tPvRmT2_T3_mT4_P12ihipStream_tbEUlT_E_NS1_11comp_targetILNS1_3genE3ELNS1_11target_archE908ELNS1_3gpuE7ELNS1_3repE0EEENS1_30default_config_static_selectorELNS0_4arch9wavefront6targetE1EEEvT1_,"axG",@progbits,_ZN7rocprim17ROCPRIM_400000_NS6detail17trampoline_kernelINS0_14default_configENS1_35adjacent_difference_config_selectorILb1EaEEZNS1_24adjacent_difference_implIS3_Lb1ELb0EPKaPaN6thrust23THRUST_200600_302600_NS4plusIaEEEE10hipError_tPvRmT2_T3_mT4_P12ihipStream_tbEUlT_E_NS1_11comp_targetILNS1_3genE3ELNS1_11target_archE908ELNS1_3gpuE7ELNS1_3repE0EEENS1_30default_config_static_selectorELNS0_4arch9wavefront6targetE1EEEvT1_,comdat
	.protected	_ZN7rocprim17ROCPRIM_400000_NS6detail17trampoline_kernelINS0_14default_configENS1_35adjacent_difference_config_selectorILb1EaEEZNS1_24adjacent_difference_implIS3_Lb1ELb0EPKaPaN6thrust23THRUST_200600_302600_NS4plusIaEEEE10hipError_tPvRmT2_T3_mT4_P12ihipStream_tbEUlT_E_NS1_11comp_targetILNS1_3genE3ELNS1_11target_archE908ELNS1_3gpuE7ELNS1_3repE0EEENS1_30default_config_static_selectorELNS0_4arch9wavefront6targetE1EEEvT1_ ; -- Begin function _ZN7rocprim17ROCPRIM_400000_NS6detail17trampoline_kernelINS0_14default_configENS1_35adjacent_difference_config_selectorILb1EaEEZNS1_24adjacent_difference_implIS3_Lb1ELb0EPKaPaN6thrust23THRUST_200600_302600_NS4plusIaEEEE10hipError_tPvRmT2_T3_mT4_P12ihipStream_tbEUlT_E_NS1_11comp_targetILNS1_3genE3ELNS1_11target_archE908ELNS1_3gpuE7ELNS1_3repE0EEENS1_30default_config_static_selectorELNS0_4arch9wavefront6targetE1EEEvT1_
	.globl	_ZN7rocprim17ROCPRIM_400000_NS6detail17trampoline_kernelINS0_14default_configENS1_35adjacent_difference_config_selectorILb1EaEEZNS1_24adjacent_difference_implIS3_Lb1ELb0EPKaPaN6thrust23THRUST_200600_302600_NS4plusIaEEEE10hipError_tPvRmT2_T3_mT4_P12ihipStream_tbEUlT_E_NS1_11comp_targetILNS1_3genE3ELNS1_11target_archE908ELNS1_3gpuE7ELNS1_3repE0EEENS1_30default_config_static_selectorELNS0_4arch9wavefront6targetE1EEEvT1_
	.p2align	8
	.type	_ZN7rocprim17ROCPRIM_400000_NS6detail17trampoline_kernelINS0_14default_configENS1_35adjacent_difference_config_selectorILb1EaEEZNS1_24adjacent_difference_implIS3_Lb1ELb0EPKaPaN6thrust23THRUST_200600_302600_NS4plusIaEEEE10hipError_tPvRmT2_T3_mT4_P12ihipStream_tbEUlT_E_NS1_11comp_targetILNS1_3genE3ELNS1_11target_archE908ELNS1_3gpuE7ELNS1_3repE0EEENS1_30default_config_static_selectorELNS0_4arch9wavefront6targetE1EEEvT1_,@function
_ZN7rocprim17ROCPRIM_400000_NS6detail17trampoline_kernelINS0_14default_configENS1_35adjacent_difference_config_selectorILb1EaEEZNS1_24adjacent_difference_implIS3_Lb1ELb0EPKaPaN6thrust23THRUST_200600_302600_NS4plusIaEEEE10hipError_tPvRmT2_T3_mT4_P12ihipStream_tbEUlT_E_NS1_11comp_targetILNS1_3genE3ELNS1_11target_archE908ELNS1_3gpuE7ELNS1_3repE0EEENS1_30default_config_static_selectorELNS0_4arch9wavefront6targetE1EEEvT1_: ; @_ZN7rocprim17ROCPRIM_400000_NS6detail17trampoline_kernelINS0_14default_configENS1_35adjacent_difference_config_selectorILb1EaEEZNS1_24adjacent_difference_implIS3_Lb1ELb0EPKaPaN6thrust23THRUST_200600_302600_NS4plusIaEEEE10hipError_tPvRmT2_T3_mT4_P12ihipStream_tbEUlT_E_NS1_11comp_targetILNS1_3genE3ELNS1_11target_archE908ELNS1_3gpuE7ELNS1_3repE0EEENS1_30default_config_static_selectorELNS0_4arch9wavefront6targetE1EEEvT1_
; %bb.0:
	.section	.rodata,"a",@progbits
	.p2align	6, 0x0
	.amdhsa_kernel _ZN7rocprim17ROCPRIM_400000_NS6detail17trampoline_kernelINS0_14default_configENS1_35adjacent_difference_config_selectorILb1EaEEZNS1_24adjacent_difference_implIS3_Lb1ELb0EPKaPaN6thrust23THRUST_200600_302600_NS4plusIaEEEE10hipError_tPvRmT2_T3_mT4_P12ihipStream_tbEUlT_E_NS1_11comp_targetILNS1_3genE3ELNS1_11target_archE908ELNS1_3gpuE7ELNS1_3repE0EEENS1_30default_config_static_selectorELNS0_4arch9wavefront6targetE1EEEvT1_
		.amdhsa_group_segment_fixed_size 0
		.amdhsa_private_segment_fixed_size 0
		.amdhsa_kernarg_size 56
		.amdhsa_user_sgpr_count 6
		.amdhsa_user_sgpr_private_segment_buffer 1
		.amdhsa_user_sgpr_dispatch_ptr 0
		.amdhsa_user_sgpr_queue_ptr 0
		.amdhsa_user_sgpr_kernarg_segment_ptr 1
		.amdhsa_user_sgpr_dispatch_id 0
		.amdhsa_user_sgpr_flat_scratch_init 0
		.amdhsa_user_sgpr_kernarg_preload_length 0
		.amdhsa_user_sgpr_kernarg_preload_offset 0
		.amdhsa_user_sgpr_private_segment_size 0
		.amdhsa_uses_dynamic_stack 0
		.amdhsa_system_sgpr_private_segment_wavefront_offset 0
		.amdhsa_system_sgpr_workgroup_id_x 1
		.amdhsa_system_sgpr_workgroup_id_y 0
		.amdhsa_system_sgpr_workgroup_id_z 0
		.amdhsa_system_sgpr_workgroup_info 0
		.amdhsa_system_vgpr_workitem_id 0
		.amdhsa_next_free_vgpr 1
		.amdhsa_next_free_sgpr 0
		.amdhsa_accum_offset 4
		.amdhsa_reserve_vcc 0
		.amdhsa_reserve_flat_scratch 0
		.amdhsa_float_round_mode_32 0
		.amdhsa_float_round_mode_16_64 0
		.amdhsa_float_denorm_mode_32 3
		.amdhsa_float_denorm_mode_16_64 3
		.amdhsa_dx10_clamp 1
		.amdhsa_ieee_mode 1
		.amdhsa_fp16_overflow 0
		.amdhsa_tg_split 0
		.amdhsa_exception_fp_ieee_invalid_op 0
		.amdhsa_exception_fp_denorm_src 0
		.amdhsa_exception_fp_ieee_div_zero 0
		.amdhsa_exception_fp_ieee_overflow 0
		.amdhsa_exception_fp_ieee_underflow 0
		.amdhsa_exception_fp_ieee_inexact 0
		.amdhsa_exception_int_div_zero 0
	.end_amdhsa_kernel
	.section	.text._ZN7rocprim17ROCPRIM_400000_NS6detail17trampoline_kernelINS0_14default_configENS1_35adjacent_difference_config_selectorILb1EaEEZNS1_24adjacent_difference_implIS3_Lb1ELb0EPKaPaN6thrust23THRUST_200600_302600_NS4plusIaEEEE10hipError_tPvRmT2_T3_mT4_P12ihipStream_tbEUlT_E_NS1_11comp_targetILNS1_3genE3ELNS1_11target_archE908ELNS1_3gpuE7ELNS1_3repE0EEENS1_30default_config_static_selectorELNS0_4arch9wavefront6targetE1EEEvT1_,"axG",@progbits,_ZN7rocprim17ROCPRIM_400000_NS6detail17trampoline_kernelINS0_14default_configENS1_35adjacent_difference_config_selectorILb1EaEEZNS1_24adjacent_difference_implIS3_Lb1ELb0EPKaPaN6thrust23THRUST_200600_302600_NS4plusIaEEEE10hipError_tPvRmT2_T3_mT4_P12ihipStream_tbEUlT_E_NS1_11comp_targetILNS1_3genE3ELNS1_11target_archE908ELNS1_3gpuE7ELNS1_3repE0EEENS1_30default_config_static_selectorELNS0_4arch9wavefront6targetE1EEEvT1_,comdat
.Lfunc_end487:
	.size	_ZN7rocprim17ROCPRIM_400000_NS6detail17trampoline_kernelINS0_14default_configENS1_35adjacent_difference_config_selectorILb1EaEEZNS1_24adjacent_difference_implIS3_Lb1ELb0EPKaPaN6thrust23THRUST_200600_302600_NS4plusIaEEEE10hipError_tPvRmT2_T3_mT4_P12ihipStream_tbEUlT_E_NS1_11comp_targetILNS1_3genE3ELNS1_11target_archE908ELNS1_3gpuE7ELNS1_3repE0EEENS1_30default_config_static_selectorELNS0_4arch9wavefront6targetE1EEEvT1_, .Lfunc_end487-_ZN7rocprim17ROCPRIM_400000_NS6detail17trampoline_kernelINS0_14default_configENS1_35adjacent_difference_config_selectorILb1EaEEZNS1_24adjacent_difference_implIS3_Lb1ELb0EPKaPaN6thrust23THRUST_200600_302600_NS4plusIaEEEE10hipError_tPvRmT2_T3_mT4_P12ihipStream_tbEUlT_E_NS1_11comp_targetILNS1_3genE3ELNS1_11target_archE908ELNS1_3gpuE7ELNS1_3repE0EEENS1_30default_config_static_selectorELNS0_4arch9wavefront6targetE1EEEvT1_
                                        ; -- End function
	.section	.AMDGPU.csdata,"",@progbits
; Kernel info:
; codeLenInByte = 0
; NumSgprs: 4
; NumVgprs: 0
; NumAgprs: 0
; TotalNumVgprs: 0
; ScratchSize: 0
; MemoryBound: 0
; FloatMode: 240
; IeeeMode: 1
; LDSByteSize: 0 bytes/workgroup (compile time only)
; SGPRBlocks: 0
; VGPRBlocks: 0
; NumSGPRsForWavesPerEU: 4
; NumVGPRsForWavesPerEU: 1
; AccumOffset: 4
; Occupancy: 8
; WaveLimiterHint : 0
; COMPUTE_PGM_RSRC2:SCRATCH_EN: 0
; COMPUTE_PGM_RSRC2:USER_SGPR: 6
; COMPUTE_PGM_RSRC2:TRAP_HANDLER: 0
; COMPUTE_PGM_RSRC2:TGID_X_EN: 1
; COMPUTE_PGM_RSRC2:TGID_Y_EN: 0
; COMPUTE_PGM_RSRC2:TGID_Z_EN: 0
; COMPUTE_PGM_RSRC2:TIDIG_COMP_CNT: 0
; COMPUTE_PGM_RSRC3_GFX90A:ACCUM_OFFSET: 0
; COMPUTE_PGM_RSRC3_GFX90A:TG_SPLIT: 0
	.section	.text._ZN7rocprim17ROCPRIM_400000_NS6detail17trampoline_kernelINS0_14default_configENS1_35adjacent_difference_config_selectorILb1EaEEZNS1_24adjacent_difference_implIS3_Lb1ELb0EPKaPaN6thrust23THRUST_200600_302600_NS4plusIaEEEE10hipError_tPvRmT2_T3_mT4_P12ihipStream_tbEUlT_E_NS1_11comp_targetILNS1_3genE2ELNS1_11target_archE906ELNS1_3gpuE6ELNS1_3repE0EEENS1_30default_config_static_selectorELNS0_4arch9wavefront6targetE1EEEvT1_,"axG",@progbits,_ZN7rocprim17ROCPRIM_400000_NS6detail17trampoline_kernelINS0_14default_configENS1_35adjacent_difference_config_selectorILb1EaEEZNS1_24adjacent_difference_implIS3_Lb1ELb0EPKaPaN6thrust23THRUST_200600_302600_NS4plusIaEEEE10hipError_tPvRmT2_T3_mT4_P12ihipStream_tbEUlT_E_NS1_11comp_targetILNS1_3genE2ELNS1_11target_archE906ELNS1_3gpuE6ELNS1_3repE0EEENS1_30default_config_static_selectorELNS0_4arch9wavefront6targetE1EEEvT1_,comdat
	.protected	_ZN7rocprim17ROCPRIM_400000_NS6detail17trampoline_kernelINS0_14default_configENS1_35adjacent_difference_config_selectorILb1EaEEZNS1_24adjacent_difference_implIS3_Lb1ELb0EPKaPaN6thrust23THRUST_200600_302600_NS4plusIaEEEE10hipError_tPvRmT2_T3_mT4_P12ihipStream_tbEUlT_E_NS1_11comp_targetILNS1_3genE2ELNS1_11target_archE906ELNS1_3gpuE6ELNS1_3repE0EEENS1_30default_config_static_selectorELNS0_4arch9wavefront6targetE1EEEvT1_ ; -- Begin function _ZN7rocprim17ROCPRIM_400000_NS6detail17trampoline_kernelINS0_14default_configENS1_35adjacent_difference_config_selectorILb1EaEEZNS1_24adjacent_difference_implIS3_Lb1ELb0EPKaPaN6thrust23THRUST_200600_302600_NS4plusIaEEEE10hipError_tPvRmT2_T3_mT4_P12ihipStream_tbEUlT_E_NS1_11comp_targetILNS1_3genE2ELNS1_11target_archE906ELNS1_3gpuE6ELNS1_3repE0EEENS1_30default_config_static_selectorELNS0_4arch9wavefront6targetE1EEEvT1_
	.globl	_ZN7rocprim17ROCPRIM_400000_NS6detail17trampoline_kernelINS0_14default_configENS1_35adjacent_difference_config_selectorILb1EaEEZNS1_24adjacent_difference_implIS3_Lb1ELb0EPKaPaN6thrust23THRUST_200600_302600_NS4plusIaEEEE10hipError_tPvRmT2_T3_mT4_P12ihipStream_tbEUlT_E_NS1_11comp_targetILNS1_3genE2ELNS1_11target_archE906ELNS1_3gpuE6ELNS1_3repE0EEENS1_30default_config_static_selectorELNS0_4arch9wavefront6targetE1EEEvT1_
	.p2align	8
	.type	_ZN7rocprim17ROCPRIM_400000_NS6detail17trampoline_kernelINS0_14default_configENS1_35adjacent_difference_config_selectorILb1EaEEZNS1_24adjacent_difference_implIS3_Lb1ELb0EPKaPaN6thrust23THRUST_200600_302600_NS4plusIaEEEE10hipError_tPvRmT2_T3_mT4_P12ihipStream_tbEUlT_E_NS1_11comp_targetILNS1_3genE2ELNS1_11target_archE906ELNS1_3gpuE6ELNS1_3repE0EEENS1_30default_config_static_selectorELNS0_4arch9wavefront6targetE1EEEvT1_,@function
_ZN7rocprim17ROCPRIM_400000_NS6detail17trampoline_kernelINS0_14default_configENS1_35adjacent_difference_config_selectorILb1EaEEZNS1_24adjacent_difference_implIS3_Lb1ELb0EPKaPaN6thrust23THRUST_200600_302600_NS4plusIaEEEE10hipError_tPvRmT2_T3_mT4_P12ihipStream_tbEUlT_E_NS1_11comp_targetILNS1_3genE2ELNS1_11target_archE906ELNS1_3gpuE6ELNS1_3repE0EEENS1_30default_config_static_selectorELNS0_4arch9wavefront6targetE1EEEvT1_: ; @_ZN7rocprim17ROCPRIM_400000_NS6detail17trampoline_kernelINS0_14default_configENS1_35adjacent_difference_config_selectorILb1EaEEZNS1_24adjacent_difference_implIS3_Lb1ELb0EPKaPaN6thrust23THRUST_200600_302600_NS4plusIaEEEE10hipError_tPvRmT2_T3_mT4_P12ihipStream_tbEUlT_E_NS1_11comp_targetILNS1_3genE2ELNS1_11target_archE906ELNS1_3gpuE6ELNS1_3repE0EEENS1_30default_config_static_selectorELNS0_4arch9wavefront6targetE1EEEvT1_
; %bb.0:
	.section	.rodata,"a",@progbits
	.p2align	6, 0x0
	.amdhsa_kernel _ZN7rocprim17ROCPRIM_400000_NS6detail17trampoline_kernelINS0_14default_configENS1_35adjacent_difference_config_selectorILb1EaEEZNS1_24adjacent_difference_implIS3_Lb1ELb0EPKaPaN6thrust23THRUST_200600_302600_NS4plusIaEEEE10hipError_tPvRmT2_T3_mT4_P12ihipStream_tbEUlT_E_NS1_11comp_targetILNS1_3genE2ELNS1_11target_archE906ELNS1_3gpuE6ELNS1_3repE0EEENS1_30default_config_static_selectorELNS0_4arch9wavefront6targetE1EEEvT1_
		.amdhsa_group_segment_fixed_size 0
		.amdhsa_private_segment_fixed_size 0
		.amdhsa_kernarg_size 56
		.amdhsa_user_sgpr_count 6
		.amdhsa_user_sgpr_private_segment_buffer 1
		.amdhsa_user_sgpr_dispatch_ptr 0
		.amdhsa_user_sgpr_queue_ptr 0
		.amdhsa_user_sgpr_kernarg_segment_ptr 1
		.amdhsa_user_sgpr_dispatch_id 0
		.amdhsa_user_sgpr_flat_scratch_init 0
		.amdhsa_user_sgpr_kernarg_preload_length 0
		.amdhsa_user_sgpr_kernarg_preload_offset 0
		.amdhsa_user_sgpr_private_segment_size 0
		.amdhsa_uses_dynamic_stack 0
		.amdhsa_system_sgpr_private_segment_wavefront_offset 0
		.amdhsa_system_sgpr_workgroup_id_x 1
		.amdhsa_system_sgpr_workgroup_id_y 0
		.amdhsa_system_sgpr_workgroup_id_z 0
		.amdhsa_system_sgpr_workgroup_info 0
		.amdhsa_system_vgpr_workitem_id 0
		.amdhsa_next_free_vgpr 1
		.amdhsa_next_free_sgpr 0
		.amdhsa_accum_offset 4
		.amdhsa_reserve_vcc 0
		.amdhsa_reserve_flat_scratch 0
		.amdhsa_float_round_mode_32 0
		.amdhsa_float_round_mode_16_64 0
		.amdhsa_float_denorm_mode_32 3
		.amdhsa_float_denorm_mode_16_64 3
		.amdhsa_dx10_clamp 1
		.amdhsa_ieee_mode 1
		.amdhsa_fp16_overflow 0
		.amdhsa_tg_split 0
		.amdhsa_exception_fp_ieee_invalid_op 0
		.amdhsa_exception_fp_denorm_src 0
		.amdhsa_exception_fp_ieee_div_zero 0
		.amdhsa_exception_fp_ieee_overflow 0
		.amdhsa_exception_fp_ieee_underflow 0
		.amdhsa_exception_fp_ieee_inexact 0
		.amdhsa_exception_int_div_zero 0
	.end_amdhsa_kernel
	.section	.text._ZN7rocprim17ROCPRIM_400000_NS6detail17trampoline_kernelINS0_14default_configENS1_35adjacent_difference_config_selectorILb1EaEEZNS1_24adjacent_difference_implIS3_Lb1ELb0EPKaPaN6thrust23THRUST_200600_302600_NS4plusIaEEEE10hipError_tPvRmT2_T3_mT4_P12ihipStream_tbEUlT_E_NS1_11comp_targetILNS1_3genE2ELNS1_11target_archE906ELNS1_3gpuE6ELNS1_3repE0EEENS1_30default_config_static_selectorELNS0_4arch9wavefront6targetE1EEEvT1_,"axG",@progbits,_ZN7rocprim17ROCPRIM_400000_NS6detail17trampoline_kernelINS0_14default_configENS1_35adjacent_difference_config_selectorILb1EaEEZNS1_24adjacent_difference_implIS3_Lb1ELb0EPKaPaN6thrust23THRUST_200600_302600_NS4plusIaEEEE10hipError_tPvRmT2_T3_mT4_P12ihipStream_tbEUlT_E_NS1_11comp_targetILNS1_3genE2ELNS1_11target_archE906ELNS1_3gpuE6ELNS1_3repE0EEENS1_30default_config_static_selectorELNS0_4arch9wavefront6targetE1EEEvT1_,comdat
.Lfunc_end488:
	.size	_ZN7rocprim17ROCPRIM_400000_NS6detail17trampoline_kernelINS0_14default_configENS1_35adjacent_difference_config_selectorILb1EaEEZNS1_24adjacent_difference_implIS3_Lb1ELb0EPKaPaN6thrust23THRUST_200600_302600_NS4plusIaEEEE10hipError_tPvRmT2_T3_mT4_P12ihipStream_tbEUlT_E_NS1_11comp_targetILNS1_3genE2ELNS1_11target_archE906ELNS1_3gpuE6ELNS1_3repE0EEENS1_30default_config_static_selectorELNS0_4arch9wavefront6targetE1EEEvT1_, .Lfunc_end488-_ZN7rocprim17ROCPRIM_400000_NS6detail17trampoline_kernelINS0_14default_configENS1_35adjacent_difference_config_selectorILb1EaEEZNS1_24adjacent_difference_implIS3_Lb1ELb0EPKaPaN6thrust23THRUST_200600_302600_NS4plusIaEEEE10hipError_tPvRmT2_T3_mT4_P12ihipStream_tbEUlT_E_NS1_11comp_targetILNS1_3genE2ELNS1_11target_archE906ELNS1_3gpuE6ELNS1_3repE0EEENS1_30default_config_static_selectorELNS0_4arch9wavefront6targetE1EEEvT1_
                                        ; -- End function
	.section	.AMDGPU.csdata,"",@progbits
; Kernel info:
; codeLenInByte = 0
; NumSgprs: 4
; NumVgprs: 0
; NumAgprs: 0
; TotalNumVgprs: 0
; ScratchSize: 0
; MemoryBound: 0
; FloatMode: 240
; IeeeMode: 1
; LDSByteSize: 0 bytes/workgroup (compile time only)
; SGPRBlocks: 0
; VGPRBlocks: 0
; NumSGPRsForWavesPerEU: 4
; NumVGPRsForWavesPerEU: 1
; AccumOffset: 4
; Occupancy: 8
; WaveLimiterHint : 0
; COMPUTE_PGM_RSRC2:SCRATCH_EN: 0
; COMPUTE_PGM_RSRC2:USER_SGPR: 6
; COMPUTE_PGM_RSRC2:TRAP_HANDLER: 0
; COMPUTE_PGM_RSRC2:TGID_X_EN: 1
; COMPUTE_PGM_RSRC2:TGID_Y_EN: 0
; COMPUTE_PGM_RSRC2:TGID_Z_EN: 0
; COMPUTE_PGM_RSRC2:TIDIG_COMP_CNT: 0
; COMPUTE_PGM_RSRC3_GFX90A:ACCUM_OFFSET: 0
; COMPUTE_PGM_RSRC3_GFX90A:TG_SPLIT: 0
	.section	.text._ZN7rocprim17ROCPRIM_400000_NS6detail17trampoline_kernelINS0_14default_configENS1_35adjacent_difference_config_selectorILb1EaEEZNS1_24adjacent_difference_implIS3_Lb1ELb0EPKaPaN6thrust23THRUST_200600_302600_NS4plusIaEEEE10hipError_tPvRmT2_T3_mT4_P12ihipStream_tbEUlT_E_NS1_11comp_targetILNS1_3genE9ELNS1_11target_archE1100ELNS1_3gpuE3ELNS1_3repE0EEENS1_30default_config_static_selectorELNS0_4arch9wavefront6targetE1EEEvT1_,"axG",@progbits,_ZN7rocprim17ROCPRIM_400000_NS6detail17trampoline_kernelINS0_14default_configENS1_35adjacent_difference_config_selectorILb1EaEEZNS1_24adjacent_difference_implIS3_Lb1ELb0EPKaPaN6thrust23THRUST_200600_302600_NS4plusIaEEEE10hipError_tPvRmT2_T3_mT4_P12ihipStream_tbEUlT_E_NS1_11comp_targetILNS1_3genE9ELNS1_11target_archE1100ELNS1_3gpuE3ELNS1_3repE0EEENS1_30default_config_static_selectorELNS0_4arch9wavefront6targetE1EEEvT1_,comdat
	.protected	_ZN7rocprim17ROCPRIM_400000_NS6detail17trampoline_kernelINS0_14default_configENS1_35adjacent_difference_config_selectorILb1EaEEZNS1_24adjacent_difference_implIS3_Lb1ELb0EPKaPaN6thrust23THRUST_200600_302600_NS4plusIaEEEE10hipError_tPvRmT2_T3_mT4_P12ihipStream_tbEUlT_E_NS1_11comp_targetILNS1_3genE9ELNS1_11target_archE1100ELNS1_3gpuE3ELNS1_3repE0EEENS1_30default_config_static_selectorELNS0_4arch9wavefront6targetE1EEEvT1_ ; -- Begin function _ZN7rocprim17ROCPRIM_400000_NS6detail17trampoline_kernelINS0_14default_configENS1_35adjacent_difference_config_selectorILb1EaEEZNS1_24adjacent_difference_implIS3_Lb1ELb0EPKaPaN6thrust23THRUST_200600_302600_NS4plusIaEEEE10hipError_tPvRmT2_T3_mT4_P12ihipStream_tbEUlT_E_NS1_11comp_targetILNS1_3genE9ELNS1_11target_archE1100ELNS1_3gpuE3ELNS1_3repE0EEENS1_30default_config_static_selectorELNS0_4arch9wavefront6targetE1EEEvT1_
	.globl	_ZN7rocprim17ROCPRIM_400000_NS6detail17trampoline_kernelINS0_14default_configENS1_35adjacent_difference_config_selectorILb1EaEEZNS1_24adjacent_difference_implIS3_Lb1ELb0EPKaPaN6thrust23THRUST_200600_302600_NS4plusIaEEEE10hipError_tPvRmT2_T3_mT4_P12ihipStream_tbEUlT_E_NS1_11comp_targetILNS1_3genE9ELNS1_11target_archE1100ELNS1_3gpuE3ELNS1_3repE0EEENS1_30default_config_static_selectorELNS0_4arch9wavefront6targetE1EEEvT1_
	.p2align	8
	.type	_ZN7rocprim17ROCPRIM_400000_NS6detail17trampoline_kernelINS0_14default_configENS1_35adjacent_difference_config_selectorILb1EaEEZNS1_24adjacent_difference_implIS3_Lb1ELb0EPKaPaN6thrust23THRUST_200600_302600_NS4plusIaEEEE10hipError_tPvRmT2_T3_mT4_P12ihipStream_tbEUlT_E_NS1_11comp_targetILNS1_3genE9ELNS1_11target_archE1100ELNS1_3gpuE3ELNS1_3repE0EEENS1_30default_config_static_selectorELNS0_4arch9wavefront6targetE1EEEvT1_,@function
_ZN7rocprim17ROCPRIM_400000_NS6detail17trampoline_kernelINS0_14default_configENS1_35adjacent_difference_config_selectorILb1EaEEZNS1_24adjacent_difference_implIS3_Lb1ELb0EPKaPaN6thrust23THRUST_200600_302600_NS4plusIaEEEE10hipError_tPvRmT2_T3_mT4_P12ihipStream_tbEUlT_E_NS1_11comp_targetILNS1_3genE9ELNS1_11target_archE1100ELNS1_3gpuE3ELNS1_3repE0EEENS1_30default_config_static_selectorELNS0_4arch9wavefront6targetE1EEEvT1_: ; @_ZN7rocprim17ROCPRIM_400000_NS6detail17trampoline_kernelINS0_14default_configENS1_35adjacent_difference_config_selectorILb1EaEEZNS1_24adjacent_difference_implIS3_Lb1ELb0EPKaPaN6thrust23THRUST_200600_302600_NS4plusIaEEEE10hipError_tPvRmT2_T3_mT4_P12ihipStream_tbEUlT_E_NS1_11comp_targetILNS1_3genE9ELNS1_11target_archE1100ELNS1_3gpuE3ELNS1_3repE0EEENS1_30default_config_static_selectorELNS0_4arch9wavefront6targetE1EEEvT1_
; %bb.0:
	.section	.rodata,"a",@progbits
	.p2align	6, 0x0
	.amdhsa_kernel _ZN7rocprim17ROCPRIM_400000_NS6detail17trampoline_kernelINS0_14default_configENS1_35adjacent_difference_config_selectorILb1EaEEZNS1_24adjacent_difference_implIS3_Lb1ELb0EPKaPaN6thrust23THRUST_200600_302600_NS4plusIaEEEE10hipError_tPvRmT2_T3_mT4_P12ihipStream_tbEUlT_E_NS1_11comp_targetILNS1_3genE9ELNS1_11target_archE1100ELNS1_3gpuE3ELNS1_3repE0EEENS1_30default_config_static_selectorELNS0_4arch9wavefront6targetE1EEEvT1_
		.amdhsa_group_segment_fixed_size 0
		.amdhsa_private_segment_fixed_size 0
		.amdhsa_kernarg_size 56
		.amdhsa_user_sgpr_count 6
		.amdhsa_user_sgpr_private_segment_buffer 1
		.amdhsa_user_sgpr_dispatch_ptr 0
		.amdhsa_user_sgpr_queue_ptr 0
		.amdhsa_user_sgpr_kernarg_segment_ptr 1
		.amdhsa_user_sgpr_dispatch_id 0
		.amdhsa_user_sgpr_flat_scratch_init 0
		.amdhsa_user_sgpr_kernarg_preload_length 0
		.amdhsa_user_sgpr_kernarg_preload_offset 0
		.amdhsa_user_sgpr_private_segment_size 0
		.amdhsa_uses_dynamic_stack 0
		.amdhsa_system_sgpr_private_segment_wavefront_offset 0
		.amdhsa_system_sgpr_workgroup_id_x 1
		.amdhsa_system_sgpr_workgroup_id_y 0
		.amdhsa_system_sgpr_workgroup_id_z 0
		.amdhsa_system_sgpr_workgroup_info 0
		.amdhsa_system_vgpr_workitem_id 0
		.amdhsa_next_free_vgpr 1
		.amdhsa_next_free_sgpr 0
		.amdhsa_accum_offset 4
		.amdhsa_reserve_vcc 0
		.amdhsa_reserve_flat_scratch 0
		.amdhsa_float_round_mode_32 0
		.amdhsa_float_round_mode_16_64 0
		.amdhsa_float_denorm_mode_32 3
		.amdhsa_float_denorm_mode_16_64 3
		.amdhsa_dx10_clamp 1
		.amdhsa_ieee_mode 1
		.amdhsa_fp16_overflow 0
		.amdhsa_tg_split 0
		.amdhsa_exception_fp_ieee_invalid_op 0
		.amdhsa_exception_fp_denorm_src 0
		.amdhsa_exception_fp_ieee_div_zero 0
		.amdhsa_exception_fp_ieee_overflow 0
		.amdhsa_exception_fp_ieee_underflow 0
		.amdhsa_exception_fp_ieee_inexact 0
		.amdhsa_exception_int_div_zero 0
	.end_amdhsa_kernel
	.section	.text._ZN7rocprim17ROCPRIM_400000_NS6detail17trampoline_kernelINS0_14default_configENS1_35adjacent_difference_config_selectorILb1EaEEZNS1_24adjacent_difference_implIS3_Lb1ELb0EPKaPaN6thrust23THRUST_200600_302600_NS4plusIaEEEE10hipError_tPvRmT2_T3_mT4_P12ihipStream_tbEUlT_E_NS1_11comp_targetILNS1_3genE9ELNS1_11target_archE1100ELNS1_3gpuE3ELNS1_3repE0EEENS1_30default_config_static_selectorELNS0_4arch9wavefront6targetE1EEEvT1_,"axG",@progbits,_ZN7rocprim17ROCPRIM_400000_NS6detail17trampoline_kernelINS0_14default_configENS1_35adjacent_difference_config_selectorILb1EaEEZNS1_24adjacent_difference_implIS3_Lb1ELb0EPKaPaN6thrust23THRUST_200600_302600_NS4plusIaEEEE10hipError_tPvRmT2_T3_mT4_P12ihipStream_tbEUlT_E_NS1_11comp_targetILNS1_3genE9ELNS1_11target_archE1100ELNS1_3gpuE3ELNS1_3repE0EEENS1_30default_config_static_selectorELNS0_4arch9wavefront6targetE1EEEvT1_,comdat
.Lfunc_end489:
	.size	_ZN7rocprim17ROCPRIM_400000_NS6detail17trampoline_kernelINS0_14default_configENS1_35adjacent_difference_config_selectorILb1EaEEZNS1_24adjacent_difference_implIS3_Lb1ELb0EPKaPaN6thrust23THRUST_200600_302600_NS4plusIaEEEE10hipError_tPvRmT2_T3_mT4_P12ihipStream_tbEUlT_E_NS1_11comp_targetILNS1_3genE9ELNS1_11target_archE1100ELNS1_3gpuE3ELNS1_3repE0EEENS1_30default_config_static_selectorELNS0_4arch9wavefront6targetE1EEEvT1_, .Lfunc_end489-_ZN7rocprim17ROCPRIM_400000_NS6detail17trampoline_kernelINS0_14default_configENS1_35adjacent_difference_config_selectorILb1EaEEZNS1_24adjacent_difference_implIS3_Lb1ELb0EPKaPaN6thrust23THRUST_200600_302600_NS4plusIaEEEE10hipError_tPvRmT2_T3_mT4_P12ihipStream_tbEUlT_E_NS1_11comp_targetILNS1_3genE9ELNS1_11target_archE1100ELNS1_3gpuE3ELNS1_3repE0EEENS1_30default_config_static_selectorELNS0_4arch9wavefront6targetE1EEEvT1_
                                        ; -- End function
	.section	.AMDGPU.csdata,"",@progbits
; Kernel info:
; codeLenInByte = 0
; NumSgprs: 4
; NumVgprs: 0
; NumAgprs: 0
; TotalNumVgprs: 0
; ScratchSize: 0
; MemoryBound: 0
; FloatMode: 240
; IeeeMode: 1
; LDSByteSize: 0 bytes/workgroup (compile time only)
; SGPRBlocks: 0
; VGPRBlocks: 0
; NumSGPRsForWavesPerEU: 4
; NumVGPRsForWavesPerEU: 1
; AccumOffset: 4
; Occupancy: 8
; WaveLimiterHint : 0
; COMPUTE_PGM_RSRC2:SCRATCH_EN: 0
; COMPUTE_PGM_RSRC2:USER_SGPR: 6
; COMPUTE_PGM_RSRC2:TRAP_HANDLER: 0
; COMPUTE_PGM_RSRC2:TGID_X_EN: 1
; COMPUTE_PGM_RSRC2:TGID_Y_EN: 0
; COMPUTE_PGM_RSRC2:TGID_Z_EN: 0
; COMPUTE_PGM_RSRC2:TIDIG_COMP_CNT: 0
; COMPUTE_PGM_RSRC3_GFX90A:ACCUM_OFFSET: 0
; COMPUTE_PGM_RSRC3_GFX90A:TG_SPLIT: 0
	.section	.text._ZN7rocprim17ROCPRIM_400000_NS6detail17trampoline_kernelINS0_14default_configENS1_35adjacent_difference_config_selectorILb1EaEEZNS1_24adjacent_difference_implIS3_Lb1ELb0EPKaPaN6thrust23THRUST_200600_302600_NS4plusIaEEEE10hipError_tPvRmT2_T3_mT4_P12ihipStream_tbEUlT_E_NS1_11comp_targetILNS1_3genE8ELNS1_11target_archE1030ELNS1_3gpuE2ELNS1_3repE0EEENS1_30default_config_static_selectorELNS0_4arch9wavefront6targetE1EEEvT1_,"axG",@progbits,_ZN7rocprim17ROCPRIM_400000_NS6detail17trampoline_kernelINS0_14default_configENS1_35adjacent_difference_config_selectorILb1EaEEZNS1_24adjacent_difference_implIS3_Lb1ELb0EPKaPaN6thrust23THRUST_200600_302600_NS4plusIaEEEE10hipError_tPvRmT2_T3_mT4_P12ihipStream_tbEUlT_E_NS1_11comp_targetILNS1_3genE8ELNS1_11target_archE1030ELNS1_3gpuE2ELNS1_3repE0EEENS1_30default_config_static_selectorELNS0_4arch9wavefront6targetE1EEEvT1_,comdat
	.protected	_ZN7rocprim17ROCPRIM_400000_NS6detail17trampoline_kernelINS0_14default_configENS1_35adjacent_difference_config_selectorILb1EaEEZNS1_24adjacent_difference_implIS3_Lb1ELb0EPKaPaN6thrust23THRUST_200600_302600_NS4plusIaEEEE10hipError_tPvRmT2_T3_mT4_P12ihipStream_tbEUlT_E_NS1_11comp_targetILNS1_3genE8ELNS1_11target_archE1030ELNS1_3gpuE2ELNS1_3repE0EEENS1_30default_config_static_selectorELNS0_4arch9wavefront6targetE1EEEvT1_ ; -- Begin function _ZN7rocprim17ROCPRIM_400000_NS6detail17trampoline_kernelINS0_14default_configENS1_35adjacent_difference_config_selectorILb1EaEEZNS1_24adjacent_difference_implIS3_Lb1ELb0EPKaPaN6thrust23THRUST_200600_302600_NS4plusIaEEEE10hipError_tPvRmT2_T3_mT4_P12ihipStream_tbEUlT_E_NS1_11comp_targetILNS1_3genE8ELNS1_11target_archE1030ELNS1_3gpuE2ELNS1_3repE0EEENS1_30default_config_static_selectorELNS0_4arch9wavefront6targetE1EEEvT1_
	.globl	_ZN7rocprim17ROCPRIM_400000_NS6detail17trampoline_kernelINS0_14default_configENS1_35adjacent_difference_config_selectorILb1EaEEZNS1_24adjacent_difference_implIS3_Lb1ELb0EPKaPaN6thrust23THRUST_200600_302600_NS4plusIaEEEE10hipError_tPvRmT2_T3_mT4_P12ihipStream_tbEUlT_E_NS1_11comp_targetILNS1_3genE8ELNS1_11target_archE1030ELNS1_3gpuE2ELNS1_3repE0EEENS1_30default_config_static_selectorELNS0_4arch9wavefront6targetE1EEEvT1_
	.p2align	8
	.type	_ZN7rocprim17ROCPRIM_400000_NS6detail17trampoline_kernelINS0_14default_configENS1_35adjacent_difference_config_selectorILb1EaEEZNS1_24adjacent_difference_implIS3_Lb1ELb0EPKaPaN6thrust23THRUST_200600_302600_NS4plusIaEEEE10hipError_tPvRmT2_T3_mT4_P12ihipStream_tbEUlT_E_NS1_11comp_targetILNS1_3genE8ELNS1_11target_archE1030ELNS1_3gpuE2ELNS1_3repE0EEENS1_30default_config_static_selectorELNS0_4arch9wavefront6targetE1EEEvT1_,@function
_ZN7rocprim17ROCPRIM_400000_NS6detail17trampoline_kernelINS0_14default_configENS1_35adjacent_difference_config_selectorILb1EaEEZNS1_24adjacent_difference_implIS3_Lb1ELb0EPKaPaN6thrust23THRUST_200600_302600_NS4plusIaEEEE10hipError_tPvRmT2_T3_mT4_P12ihipStream_tbEUlT_E_NS1_11comp_targetILNS1_3genE8ELNS1_11target_archE1030ELNS1_3gpuE2ELNS1_3repE0EEENS1_30default_config_static_selectorELNS0_4arch9wavefront6targetE1EEEvT1_: ; @_ZN7rocprim17ROCPRIM_400000_NS6detail17trampoline_kernelINS0_14default_configENS1_35adjacent_difference_config_selectorILb1EaEEZNS1_24adjacent_difference_implIS3_Lb1ELb0EPKaPaN6thrust23THRUST_200600_302600_NS4plusIaEEEE10hipError_tPvRmT2_T3_mT4_P12ihipStream_tbEUlT_E_NS1_11comp_targetILNS1_3genE8ELNS1_11target_archE1030ELNS1_3gpuE2ELNS1_3repE0EEENS1_30default_config_static_selectorELNS0_4arch9wavefront6targetE1EEEvT1_
; %bb.0:
	.section	.rodata,"a",@progbits
	.p2align	6, 0x0
	.amdhsa_kernel _ZN7rocprim17ROCPRIM_400000_NS6detail17trampoline_kernelINS0_14default_configENS1_35adjacent_difference_config_selectorILb1EaEEZNS1_24adjacent_difference_implIS3_Lb1ELb0EPKaPaN6thrust23THRUST_200600_302600_NS4plusIaEEEE10hipError_tPvRmT2_T3_mT4_P12ihipStream_tbEUlT_E_NS1_11comp_targetILNS1_3genE8ELNS1_11target_archE1030ELNS1_3gpuE2ELNS1_3repE0EEENS1_30default_config_static_selectorELNS0_4arch9wavefront6targetE1EEEvT1_
		.amdhsa_group_segment_fixed_size 0
		.amdhsa_private_segment_fixed_size 0
		.amdhsa_kernarg_size 56
		.amdhsa_user_sgpr_count 6
		.amdhsa_user_sgpr_private_segment_buffer 1
		.amdhsa_user_sgpr_dispatch_ptr 0
		.amdhsa_user_sgpr_queue_ptr 0
		.amdhsa_user_sgpr_kernarg_segment_ptr 1
		.amdhsa_user_sgpr_dispatch_id 0
		.amdhsa_user_sgpr_flat_scratch_init 0
		.amdhsa_user_sgpr_kernarg_preload_length 0
		.amdhsa_user_sgpr_kernarg_preload_offset 0
		.amdhsa_user_sgpr_private_segment_size 0
		.amdhsa_uses_dynamic_stack 0
		.amdhsa_system_sgpr_private_segment_wavefront_offset 0
		.amdhsa_system_sgpr_workgroup_id_x 1
		.amdhsa_system_sgpr_workgroup_id_y 0
		.amdhsa_system_sgpr_workgroup_id_z 0
		.amdhsa_system_sgpr_workgroup_info 0
		.amdhsa_system_vgpr_workitem_id 0
		.amdhsa_next_free_vgpr 1
		.amdhsa_next_free_sgpr 0
		.amdhsa_accum_offset 4
		.amdhsa_reserve_vcc 0
		.amdhsa_reserve_flat_scratch 0
		.amdhsa_float_round_mode_32 0
		.amdhsa_float_round_mode_16_64 0
		.amdhsa_float_denorm_mode_32 3
		.amdhsa_float_denorm_mode_16_64 3
		.amdhsa_dx10_clamp 1
		.amdhsa_ieee_mode 1
		.amdhsa_fp16_overflow 0
		.amdhsa_tg_split 0
		.amdhsa_exception_fp_ieee_invalid_op 0
		.amdhsa_exception_fp_denorm_src 0
		.amdhsa_exception_fp_ieee_div_zero 0
		.amdhsa_exception_fp_ieee_overflow 0
		.amdhsa_exception_fp_ieee_underflow 0
		.amdhsa_exception_fp_ieee_inexact 0
		.amdhsa_exception_int_div_zero 0
	.end_amdhsa_kernel
	.section	.text._ZN7rocprim17ROCPRIM_400000_NS6detail17trampoline_kernelINS0_14default_configENS1_35adjacent_difference_config_selectorILb1EaEEZNS1_24adjacent_difference_implIS3_Lb1ELb0EPKaPaN6thrust23THRUST_200600_302600_NS4plusIaEEEE10hipError_tPvRmT2_T3_mT4_P12ihipStream_tbEUlT_E_NS1_11comp_targetILNS1_3genE8ELNS1_11target_archE1030ELNS1_3gpuE2ELNS1_3repE0EEENS1_30default_config_static_selectorELNS0_4arch9wavefront6targetE1EEEvT1_,"axG",@progbits,_ZN7rocprim17ROCPRIM_400000_NS6detail17trampoline_kernelINS0_14default_configENS1_35adjacent_difference_config_selectorILb1EaEEZNS1_24adjacent_difference_implIS3_Lb1ELb0EPKaPaN6thrust23THRUST_200600_302600_NS4plusIaEEEE10hipError_tPvRmT2_T3_mT4_P12ihipStream_tbEUlT_E_NS1_11comp_targetILNS1_3genE8ELNS1_11target_archE1030ELNS1_3gpuE2ELNS1_3repE0EEENS1_30default_config_static_selectorELNS0_4arch9wavefront6targetE1EEEvT1_,comdat
.Lfunc_end490:
	.size	_ZN7rocprim17ROCPRIM_400000_NS6detail17trampoline_kernelINS0_14default_configENS1_35adjacent_difference_config_selectorILb1EaEEZNS1_24adjacent_difference_implIS3_Lb1ELb0EPKaPaN6thrust23THRUST_200600_302600_NS4plusIaEEEE10hipError_tPvRmT2_T3_mT4_P12ihipStream_tbEUlT_E_NS1_11comp_targetILNS1_3genE8ELNS1_11target_archE1030ELNS1_3gpuE2ELNS1_3repE0EEENS1_30default_config_static_selectorELNS0_4arch9wavefront6targetE1EEEvT1_, .Lfunc_end490-_ZN7rocprim17ROCPRIM_400000_NS6detail17trampoline_kernelINS0_14default_configENS1_35adjacent_difference_config_selectorILb1EaEEZNS1_24adjacent_difference_implIS3_Lb1ELb0EPKaPaN6thrust23THRUST_200600_302600_NS4plusIaEEEE10hipError_tPvRmT2_T3_mT4_P12ihipStream_tbEUlT_E_NS1_11comp_targetILNS1_3genE8ELNS1_11target_archE1030ELNS1_3gpuE2ELNS1_3repE0EEENS1_30default_config_static_selectorELNS0_4arch9wavefront6targetE1EEEvT1_
                                        ; -- End function
	.section	.AMDGPU.csdata,"",@progbits
; Kernel info:
; codeLenInByte = 0
; NumSgprs: 4
; NumVgprs: 0
; NumAgprs: 0
; TotalNumVgprs: 0
; ScratchSize: 0
; MemoryBound: 0
; FloatMode: 240
; IeeeMode: 1
; LDSByteSize: 0 bytes/workgroup (compile time only)
; SGPRBlocks: 0
; VGPRBlocks: 0
; NumSGPRsForWavesPerEU: 4
; NumVGPRsForWavesPerEU: 1
; AccumOffset: 4
; Occupancy: 8
; WaveLimiterHint : 0
; COMPUTE_PGM_RSRC2:SCRATCH_EN: 0
; COMPUTE_PGM_RSRC2:USER_SGPR: 6
; COMPUTE_PGM_RSRC2:TRAP_HANDLER: 0
; COMPUTE_PGM_RSRC2:TGID_X_EN: 1
; COMPUTE_PGM_RSRC2:TGID_Y_EN: 0
; COMPUTE_PGM_RSRC2:TGID_Z_EN: 0
; COMPUTE_PGM_RSRC2:TIDIG_COMP_CNT: 0
; COMPUTE_PGM_RSRC3_GFX90A:ACCUM_OFFSET: 0
; COMPUTE_PGM_RSRC3_GFX90A:TG_SPLIT: 0
	.section	.text._ZN7rocprim17ROCPRIM_400000_NS6detail17trampoline_kernelINS0_14default_configENS1_35adjacent_difference_config_selectorILb0EhEEZNS1_24adjacent_difference_implIS3_Lb0ELb0EPKhPhN6thrust23THRUST_200600_302600_NS4plusIhEEEE10hipError_tPvRmT2_T3_mT4_P12ihipStream_tbEUlT_E_NS1_11comp_targetILNS1_3genE0ELNS1_11target_archE4294967295ELNS1_3gpuE0ELNS1_3repE0EEENS1_30default_config_static_selectorELNS0_4arch9wavefront6targetE1EEEvT1_,"axG",@progbits,_ZN7rocprim17ROCPRIM_400000_NS6detail17trampoline_kernelINS0_14default_configENS1_35adjacent_difference_config_selectorILb0EhEEZNS1_24adjacent_difference_implIS3_Lb0ELb0EPKhPhN6thrust23THRUST_200600_302600_NS4plusIhEEEE10hipError_tPvRmT2_T3_mT4_P12ihipStream_tbEUlT_E_NS1_11comp_targetILNS1_3genE0ELNS1_11target_archE4294967295ELNS1_3gpuE0ELNS1_3repE0EEENS1_30default_config_static_selectorELNS0_4arch9wavefront6targetE1EEEvT1_,comdat
	.protected	_ZN7rocprim17ROCPRIM_400000_NS6detail17trampoline_kernelINS0_14default_configENS1_35adjacent_difference_config_selectorILb0EhEEZNS1_24adjacent_difference_implIS3_Lb0ELb0EPKhPhN6thrust23THRUST_200600_302600_NS4plusIhEEEE10hipError_tPvRmT2_T3_mT4_P12ihipStream_tbEUlT_E_NS1_11comp_targetILNS1_3genE0ELNS1_11target_archE4294967295ELNS1_3gpuE0ELNS1_3repE0EEENS1_30default_config_static_selectorELNS0_4arch9wavefront6targetE1EEEvT1_ ; -- Begin function _ZN7rocprim17ROCPRIM_400000_NS6detail17trampoline_kernelINS0_14default_configENS1_35adjacent_difference_config_selectorILb0EhEEZNS1_24adjacent_difference_implIS3_Lb0ELb0EPKhPhN6thrust23THRUST_200600_302600_NS4plusIhEEEE10hipError_tPvRmT2_T3_mT4_P12ihipStream_tbEUlT_E_NS1_11comp_targetILNS1_3genE0ELNS1_11target_archE4294967295ELNS1_3gpuE0ELNS1_3repE0EEENS1_30default_config_static_selectorELNS0_4arch9wavefront6targetE1EEEvT1_
	.globl	_ZN7rocprim17ROCPRIM_400000_NS6detail17trampoline_kernelINS0_14default_configENS1_35adjacent_difference_config_selectorILb0EhEEZNS1_24adjacent_difference_implIS3_Lb0ELb0EPKhPhN6thrust23THRUST_200600_302600_NS4plusIhEEEE10hipError_tPvRmT2_T3_mT4_P12ihipStream_tbEUlT_E_NS1_11comp_targetILNS1_3genE0ELNS1_11target_archE4294967295ELNS1_3gpuE0ELNS1_3repE0EEENS1_30default_config_static_selectorELNS0_4arch9wavefront6targetE1EEEvT1_
	.p2align	8
	.type	_ZN7rocprim17ROCPRIM_400000_NS6detail17trampoline_kernelINS0_14default_configENS1_35adjacent_difference_config_selectorILb0EhEEZNS1_24adjacent_difference_implIS3_Lb0ELb0EPKhPhN6thrust23THRUST_200600_302600_NS4plusIhEEEE10hipError_tPvRmT2_T3_mT4_P12ihipStream_tbEUlT_E_NS1_11comp_targetILNS1_3genE0ELNS1_11target_archE4294967295ELNS1_3gpuE0ELNS1_3repE0EEENS1_30default_config_static_selectorELNS0_4arch9wavefront6targetE1EEEvT1_,@function
_ZN7rocprim17ROCPRIM_400000_NS6detail17trampoline_kernelINS0_14default_configENS1_35adjacent_difference_config_selectorILb0EhEEZNS1_24adjacent_difference_implIS3_Lb0ELb0EPKhPhN6thrust23THRUST_200600_302600_NS4plusIhEEEE10hipError_tPvRmT2_T3_mT4_P12ihipStream_tbEUlT_E_NS1_11comp_targetILNS1_3genE0ELNS1_11target_archE4294967295ELNS1_3gpuE0ELNS1_3repE0EEENS1_30default_config_static_selectorELNS0_4arch9wavefront6targetE1EEEvT1_: ; @_ZN7rocprim17ROCPRIM_400000_NS6detail17trampoline_kernelINS0_14default_configENS1_35adjacent_difference_config_selectorILb0EhEEZNS1_24adjacent_difference_implIS3_Lb0ELb0EPKhPhN6thrust23THRUST_200600_302600_NS4plusIhEEEE10hipError_tPvRmT2_T3_mT4_P12ihipStream_tbEUlT_E_NS1_11comp_targetILNS1_3genE0ELNS1_11target_archE4294967295ELNS1_3gpuE0ELNS1_3repE0EEENS1_30default_config_static_selectorELNS0_4arch9wavefront6targetE1EEEvT1_
; %bb.0:
	.section	.rodata,"a",@progbits
	.p2align	6, 0x0
	.amdhsa_kernel _ZN7rocprim17ROCPRIM_400000_NS6detail17trampoline_kernelINS0_14default_configENS1_35adjacent_difference_config_selectorILb0EhEEZNS1_24adjacent_difference_implIS3_Lb0ELb0EPKhPhN6thrust23THRUST_200600_302600_NS4plusIhEEEE10hipError_tPvRmT2_T3_mT4_P12ihipStream_tbEUlT_E_NS1_11comp_targetILNS1_3genE0ELNS1_11target_archE4294967295ELNS1_3gpuE0ELNS1_3repE0EEENS1_30default_config_static_selectorELNS0_4arch9wavefront6targetE1EEEvT1_
		.amdhsa_group_segment_fixed_size 0
		.amdhsa_private_segment_fixed_size 0
		.amdhsa_kernarg_size 56
		.amdhsa_user_sgpr_count 6
		.amdhsa_user_sgpr_private_segment_buffer 1
		.amdhsa_user_sgpr_dispatch_ptr 0
		.amdhsa_user_sgpr_queue_ptr 0
		.amdhsa_user_sgpr_kernarg_segment_ptr 1
		.amdhsa_user_sgpr_dispatch_id 0
		.amdhsa_user_sgpr_flat_scratch_init 0
		.amdhsa_user_sgpr_kernarg_preload_length 0
		.amdhsa_user_sgpr_kernarg_preload_offset 0
		.amdhsa_user_sgpr_private_segment_size 0
		.amdhsa_uses_dynamic_stack 0
		.amdhsa_system_sgpr_private_segment_wavefront_offset 0
		.amdhsa_system_sgpr_workgroup_id_x 1
		.amdhsa_system_sgpr_workgroup_id_y 0
		.amdhsa_system_sgpr_workgroup_id_z 0
		.amdhsa_system_sgpr_workgroup_info 0
		.amdhsa_system_vgpr_workitem_id 0
		.amdhsa_next_free_vgpr 1
		.amdhsa_next_free_sgpr 0
		.amdhsa_accum_offset 4
		.amdhsa_reserve_vcc 0
		.amdhsa_reserve_flat_scratch 0
		.amdhsa_float_round_mode_32 0
		.amdhsa_float_round_mode_16_64 0
		.amdhsa_float_denorm_mode_32 3
		.amdhsa_float_denorm_mode_16_64 3
		.amdhsa_dx10_clamp 1
		.amdhsa_ieee_mode 1
		.amdhsa_fp16_overflow 0
		.amdhsa_tg_split 0
		.amdhsa_exception_fp_ieee_invalid_op 0
		.amdhsa_exception_fp_denorm_src 0
		.amdhsa_exception_fp_ieee_div_zero 0
		.amdhsa_exception_fp_ieee_overflow 0
		.amdhsa_exception_fp_ieee_underflow 0
		.amdhsa_exception_fp_ieee_inexact 0
		.amdhsa_exception_int_div_zero 0
	.end_amdhsa_kernel
	.section	.text._ZN7rocprim17ROCPRIM_400000_NS6detail17trampoline_kernelINS0_14default_configENS1_35adjacent_difference_config_selectorILb0EhEEZNS1_24adjacent_difference_implIS3_Lb0ELb0EPKhPhN6thrust23THRUST_200600_302600_NS4plusIhEEEE10hipError_tPvRmT2_T3_mT4_P12ihipStream_tbEUlT_E_NS1_11comp_targetILNS1_3genE0ELNS1_11target_archE4294967295ELNS1_3gpuE0ELNS1_3repE0EEENS1_30default_config_static_selectorELNS0_4arch9wavefront6targetE1EEEvT1_,"axG",@progbits,_ZN7rocprim17ROCPRIM_400000_NS6detail17trampoline_kernelINS0_14default_configENS1_35adjacent_difference_config_selectorILb0EhEEZNS1_24adjacent_difference_implIS3_Lb0ELb0EPKhPhN6thrust23THRUST_200600_302600_NS4plusIhEEEE10hipError_tPvRmT2_T3_mT4_P12ihipStream_tbEUlT_E_NS1_11comp_targetILNS1_3genE0ELNS1_11target_archE4294967295ELNS1_3gpuE0ELNS1_3repE0EEENS1_30default_config_static_selectorELNS0_4arch9wavefront6targetE1EEEvT1_,comdat
.Lfunc_end491:
	.size	_ZN7rocprim17ROCPRIM_400000_NS6detail17trampoline_kernelINS0_14default_configENS1_35adjacent_difference_config_selectorILb0EhEEZNS1_24adjacent_difference_implIS3_Lb0ELb0EPKhPhN6thrust23THRUST_200600_302600_NS4plusIhEEEE10hipError_tPvRmT2_T3_mT4_P12ihipStream_tbEUlT_E_NS1_11comp_targetILNS1_3genE0ELNS1_11target_archE4294967295ELNS1_3gpuE0ELNS1_3repE0EEENS1_30default_config_static_selectorELNS0_4arch9wavefront6targetE1EEEvT1_, .Lfunc_end491-_ZN7rocprim17ROCPRIM_400000_NS6detail17trampoline_kernelINS0_14default_configENS1_35adjacent_difference_config_selectorILb0EhEEZNS1_24adjacent_difference_implIS3_Lb0ELb0EPKhPhN6thrust23THRUST_200600_302600_NS4plusIhEEEE10hipError_tPvRmT2_T3_mT4_P12ihipStream_tbEUlT_E_NS1_11comp_targetILNS1_3genE0ELNS1_11target_archE4294967295ELNS1_3gpuE0ELNS1_3repE0EEENS1_30default_config_static_selectorELNS0_4arch9wavefront6targetE1EEEvT1_
                                        ; -- End function
	.section	.AMDGPU.csdata,"",@progbits
; Kernel info:
; codeLenInByte = 0
; NumSgprs: 4
; NumVgprs: 0
; NumAgprs: 0
; TotalNumVgprs: 0
; ScratchSize: 0
; MemoryBound: 0
; FloatMode: 240
; IeeeMode: 1
; LDSByteSize: 0 bytes/workgroup (compile time only)
; SGPRBlocks: 0
; VGPRBlocks: 0
; NumSGPRsForWavesPerEU: 4
; NumVGPRsForWavesPerEU: 1
; AccumOffset: 4
; Occupancy: 8
; WaveLimiterHint : 0
; COMPUTE_PGM_RSRC2:SCRATCH_EN: 0
; COMPUTE_PGM_RSRC2:USER_SGPR: 6
; COMPUTE_PGM_RSRC2:TRAP_HANDLER: 0
; COMPUTE_PGM_RSRC2:TGID_X_EN: 1
; COMPUTE_PGM_RSRC2:TGID_Y_EN: 0
; COMPUTE_PGM_RSRC2:TGID_Z_EN: 0
; COMPUTE_PGM_RSRC2:TIDIG_COMP_CNT: 0
; COMPUTE_PGM_RSRC3_GFX90A:ACCUM_OFFSET: 0
; COMPUTE_PGM_RSRC3_GFX90A:TG_SPLIT: 0
	.section	.text._ZN7rocprim17ROCPRIM_400000_NS6detail17trampoline_kernelINS0_14default_configENS1_35adjacent_difference_config_selectorILb0EhEEZNS1_24adjacent_difference_implIS3_Lb0ELb0EPKhPhN6thrust23THRUST_200600_302600_NS4plusIhEEEE10hipError_tPvRmT2_T3_mT4_P12ihipStream_tbEUlT_E_NS1_11comp_targetILNS1_3genE10ELNS1_11target_archE1201ELNS1_3gpuE5ELNS1_3repE0EEENS1_30default_config_static_selectorELNS0_4arch9wavefront6targetE1EEEvT1_,"axG",@progbits,_ZN7rocprim17ROCPRIM_400000_NS6detail17trampoline_kernelINS0_14default_configENS1_35adjacent_difference_config_selectorILb0EhEEZNS1_24adjacent_difference_implIS3_Lb0ELb0EPKhPhN6thrust23THRUST_200600_302600_NS4plusIhEEEE10hipError_tPvRmT2_T3_mT4_P12ihipStream_tbEUlT_E_NS1_11comp_targetILNS1_3genE10ELNS1_11target_archE1201ELNS1_3gpuE5ELNS1_3repE0EEENS1_30default_config_static_selectorELNS0_4arch9wavefront6targetE1EEEvT1_,comdat
	.protected	_ZN7rocprim17ROCPRIM_400000_NS6detail17trampoline_kernelINS0_14default_configENS1_35adjacent_difference_config_selectorILb0EhEEZNS1_24adjacent_difference_implIS3_Lb0ELb0EPKhPhN6thrust23THRUST_200600_302600_NS4plusIhEEEE10hipError_tPvRmT2_T3_mT4_P12ihipStream_tbEUlT_E_NS1_11comp_targetILNS1_3genE10ELNS1_11target_archE1201ELNS1_3gpuE5ELNS1_3repE0EEENS1_30default_config_static_selectorELNS0_4arch9wavefront6targetE1EEEvT1_ ; -- Begin function _ZN7rocprim17ROCPRIM_400000_NS6detail17trampoline_kernelINS0_14default_configENS1_35adjacent_difference_config_selectorILb0EhEEZNS1_24adjacent_difference_implIS3_Lb0ELb0EPKhPhN6thrust23THRUST_200600_302600_NS4plusIhEEEE10hipError_tPvRmT2_T3_mT4_P12ihipStream_tbEUlT_E_NS1_11comp_targetILNS1_3genE10ELNS1_11target_archE1201ELNS1_3gpuE5ELNS1_3repE0EEENS1_30default_config_static_selectorELNS0_4arch9wavefront6targetE1EEEvT1_
	.globl	_ZN7rocprim17ROCPRIM_400000_NS6detail17trampoline_kernelINS0_14default_configENS1_35adjacent_difference_config_selectorILb0EhEEZNS1_24adjacent_difference_implIS3_Lb0ELb0EPKhPhN6thrust23THRUST_200600_302600_NS4plusIhEEEE10hipError_tPvRmT2_T3_mT4_P12ihipStream_tbEUlT_E_NS1_11comp_targetILNS1_3genE10ELNS1_11target_archE1201ELNS1_3gpuE5ELNS1_3repE0EEENS1_30default_config_static_selectorELNS0_4arch9wavefront6targetE1EEEvT1_
	.p2align	8
	.type	_ZN7rocprim17ROCPRIM_400000_NS6detail17trampoline_kernelINS0_14default_configENS1_35adjacent_difference_config_selectorILb0EhEEZNS1_24adjacent_difference_implIS3_Lb0ELb0EPKhPhN6thrust23THRUST_200600_302600_NS4plusIhEEEE10hipError_tPvRmT2_T3_mT4_P12ihipStream_tbEUlT_E_NS1_11comp_targetILNS1_3genE10ELNS1_11target_archE1201ELNS1_3gpuE5ELNS1_3repE0EEENS1_30default_config_static_selectorELNS0_4arch9wavefront6targetE1EEEvT1_,@function
_ZN7rocprim17ROCPRIM_400000_NS6detail17trampoline_kernelINS0_14default_configENS1_35adjacent_difference_config_selectorILb0EhEEZNS1_24adjacent_difference_implIS3_Lb0ELb0EPKhPhN6thrust23THRUST_200600_302600_NS4plusIhEEEE10hipError_tPvRmT2_T3_mT4_P12ihipStream_tbEUlT_E_NS1_11comp_targetILNS1_3genE10ELNS1_11target_archE1201ELNS1_3gpuE5ELNS1_3repE0EEENS1_30default_config_static_selectorELNS0_4arch9wavefront6targetE1EEEvT1_: ; @_ZN7rocprim17ROCPRIM_400000_NS6detail17trampoline_kernelINS0_14default_configENS1_35adjacent_difference_config_selectorILb0EhEEZNS1_24adjacent_difference_implIS3_Lb0ELb0EPKhPhN6thrust23THRUST_200600_302600_NS4plusIhEEEE10hipError_tPvRmT2_T3_mT4_P12ihipStream_tbEUlT_E_NS1_11comp_targetILNS1_3genE10ELNS1_11target_archE1201ELNS1_3gpuE5ELNS1_3repE0EEENS1_30default_config_static_selectorELNS0_4arch9wavefront6targetE1EEEvT1_
; %bb.0:
	.section	.rodata,"a",@progbits
	.p2align	6, 0x0
	.amdhsa_kernel _ZN7rocprim17ROCPRIM_400000_NS6detail17trampoline_kernelINS0_14default_configENS1_35adjacent_difference_config_selectorILb0EhEEZNS1_24adjacent_difference_implIS3_Lb0ELb0EPKhPhN6thrust23THRUST_200600_302600_NS4plusIhEEEE10hipError_tPvRmT2_T3_mT4_P12ihipStream_tbEUlT_E_NS1_11comp_targetILNS1_3genE10ELNS1_11target_archE1201ELNS1_3gpuE5ELNS1_3repE0EEENS1_30default_config_static_selectorELNS0_4arch9wavefront6targetE1EEEvT1_
		.amdhsa_group_segment_fixed_size 0
		.amdhsa_private_segment_fixed_size 0
		.amdhsa_kernarg_size 56
		.amdhsa_user_sgpr_count 6
		.amdhsa_user_sgpr_private_segment_buffer 1
		.amdhsa_user_sgpr_dispatch_ptr 0
		.amdhsa_user_sgpr_queue_ptr 0
		.amdhsa_user_sgpr_kernarg_segment_ptr 1
		.amdhsa_user_sgpr_dispatch_id 0
		.amdhsa_user_sgpr_flat_scratch_init 0
		.amdhsa_user_sgpr_kernarg_preload_length 0
		.amdhsa_user_sgpr_kernarg_preload_offset 0
		.amdhsa_user_sgpr_private_segment_size 0
		.amdhsa_uses_dynamic_stack 0
		.amdhsa_system_sgpr_private_segment_wavefront_offset 0
		.amdhsa_system_sgpr_workgroup_id_x 1
		.amdhsa_system_sgpr_workgroup_id_y 0
		.amdhsa_system_sgpr_workgroup_id_z 0
		.amdhsa_system_sgpr_workgroup_info 0
		.amdhsa_system_vgpr_workitem_id 0
		.amdhsa_next_free_vgpr 1
		.amdhsa_next_free_sgpr 0
		.amdhsa_accum_offset 4
		.amdhsa_reserve_vcc 0
		.amdhsa_reserve_flat_scratch 0
		.amdhsa_float_round_mode_32 0
		.amdhsa_float_round_mode_16_64 0
		.amdhsa_float_denorm_mode_32 3
		.amdhsa_float_denorm_mode_16_64 3
		.amdhsa_dx10_clamp 1
		.amdhsa_ieee_mode 1
		.amdhsa_fp16_overflow 0
		.amdhsa_tg_split 0
		.amdhsa_exception_fp_ieee_invalid_op 0
		.amdhsa_exception_fp_denorm_src 0
		.amdhsa_exception_fp_ieee_div_zero 0
		.amdhsa_exception_fp_ieee_overflow 0
		.amdhsa_exception_fp_ieee_underflow 0
		.amdhsa_exception_fp_ieee_inexact 0
		.amdhsa_exception_int_div_zero 0
	.end_amdhsa_kernel
	.section	.text._ZN7rocprim17ROCPRIM_400000_NS6detail17trampoline_kernelINS0_14default_configENS1_35adjacent_difference_config_selectorILb0EhEEZNS1_24adjacent_difference_implIS3_Lb0ELb0EPKhPhN6thrust23THRUST_200600_302600_NS4plusIhEEEE10hipError_tPvRmT2_T3_mT4_P12ihipStream_tbEUlT_E_NS1_11comp_targetILNS1_3genE10ELNS1_11target_archE1201ELNS1_3gpuE5ELNS1_3repE0EEENS1_30default_config_static_selectorELNS0_4arch9wavefront6targetE1EEEvT1_,"axG",@progbits,_ZN7rocprim17ROCPRIM_400000_NS6detail17trampoline_kernelINS0_14default_configENS1_35adjacent_difference_config_selectorILb0EhEEZNS1_24adjacent_difference_implIS3_Lb0ELb0EPKhPhN6thrust23THRUST_200600_302600_NS4plusIhEEEE10hipError_tPvRmT2_T3_mT4_P12ihipStream_tbEUlT_E_NS1_11comp_targetILNS1_3genE10ELNS1_11target_archE1201ELNS1_3gpuE5ELNS1_3repE0EEENS1_30default_config_static_selectorELNS0_4arch9wavefront6targetE1EEEvT1_,comdat
.Lfunc_end492:
	.size	_ZN7rocprim17ROCPRIM_400000_NS6detail17trampoline_kernelINS0_14default_configENS1_35adjacent_difference_config_selectorILb0EhEEZNS1_24adjacent_difference_implIS3_Lb0ELb0EPKhPhN6thrust23THRUST_200600_302600_NS4plusIhEEEE10hipError_tPvRmT2_T3_mT4_P12ihipStream_tbEUlT_E_NS1_11comp_targetILNS1_3genE10ELNS1_11target_archE1201ELNS1_3gpuE5ELNS1_3repE0EEENS1_30default_config_static_selectorELNS0_4arch9wavefront6targetE1EEEvT1_, .Lfunc_end492-_ZN7rocprim17ROCPRIM_400000_NS6detail17trampoline_kernelINS0_14default_configENS1_35adjacent_difference_config_selectorILb0EhEEZNS1_24adjacent_difference_implIS3_Lb0ELb0EPKhPhN6thrust23THRUST_200600_302600_NS4plusIhEEEE10hipError_tPvRmT2_T3_mT4_P12ihipStream_tbEUlT_E_NS1_11comp_targetILNS1_3genE10ELNS1_11target_archE1201ELNS1_3gpuE5ELNS1_3repE0EEENS1_30default_config_static_selectorELNS0_4arch9wavefront6targetE1EEEvT1_
                                        ; -- End function
	.section	.AMDGPU.csdata,"",@progbits
; Kernel info:
; codeLenInByte = 0
; NumSgprs: 4
; NumVgprs: 0
; NumAgprs: 0
; TotalNumVgprs: 0
; ScratchSize: 0
; MemoryBound: 0
; FloatMode: 240
; IeeeMode: 1
; LDSByteSize: 0 bytes/workgroup (compile time only)
; SGPRBlocks: 0
; VGPRBlocks: 0
; NumSGPRsForWavesPerEU: 4
; NumVGPRsForWavesPerEU: 1
; AccumOffset: 4
; Occupancy: 8
; WaveLimiterHint : 0
; COMPUTE_PGM_RSRC2:SCRATCH_EN: 0
; COMPUTE_PGM_RSRC2:USER_SGPR: 6
; COMPUTE_PGM_RSRC2:TRAP_HANDLER: 0
; COMPUTE_PGM_RSRC2:TGID_X_EN: 1
; COMPUTE_PGM_RSRC2:TGID_Y_EN: 0
; COMPUTE_PGM_RSRC2:TGID_Z_EN: 0
; COMPUTE_PGM_RSRC2:TIDIG_COMP_CNT: 0
; COMPUTE_PGM_RSRC3_GFX90A:ACCUM_OFFSET: 0
; COMPUTE_PGM_RSRC3_GFX90A:TG_SPLIT: 0
	.section	.text._ZN7rocprim17ROCPRIM_400000_NS6detail17trampoline_kernelINS0_14default_configENS1_35adjacent_difference_config_selectorILb0EhEEZNS1_24adjacent_difference_implIS3_Lb0ELb0EPKhPhN6thrust23THRUST_200600_302600_NS4plusIhEEEE10hipError_tPvRmT2_T3_mT4_P12ihipStream_tbEUlT_E_NS1_11comp_targetILNS1_3genE5ELNS1_11target_archE942ELNS1_3gpuE9ELNS1_3repE0EEENS1_30default_config_static_selectorELNS0_4arch9wavefront6targetE1EEEvT1_,"axG",@progbits,_ZN7rocprim17ROCPRIM_400000_NS6detail17trampoline_kernelINS0_14default_configENS1_35adjacent_difference_config_selectorILb0EhEEZNS1_24adjacent_difference_implIS3_Lb0ELb0EPKhPhN6thrust23THRUST_200600_302600_NS4plusIhEEEE10hipError_tPvRmT2_T3_mT4_P12ihipStream_tbEUlT_E_NS1_11comp_targetILNS1_3genE5ELNS1_11target_archE942ELNS1_3gpuE9ELNS1_3repE0EEENS1_30default_config_static_selectorELNS0_4arch9wavefront6targetE1EEEvT1_,comdat
	.protected	_ZN7rocprim17ROCPRIM_400000_NS6detail17trampoline_kernelINS0_14default_configENS1_35adjacent_difference_config_selectorILb0EhEEZNS1_24adjacent_difference_implIS3_Lb0ELb0EPKhPhN6thrust23THRUST_200600_302600_NS4plusIhEEEE10hipError_tPvRmT2_T3_mT4_P12ihipStream_tbEUlT_E_NS1_11comp_targetILNS1_3genE5ELNS1_11target_archE942ELNS1_3gpuE9ELNS1_3repE0EEENS1_30default_config_static_selectorELNS0_4arch9wavefront6targetE1EEEvT1_ ; -- Begin function _ZN7rocprim17ROCPRIM_400000_NS6detail17trampoline_kernelINS0_14default_configENS1_35adjacent_difference_config_selectorILb0EhEEZNS1_24adjacent_difference_implIS3_Lb0ELb0EPKhPhN6thrust23THRUST_200600_302600_NS4plusIhEEEE10hipError_tPvRmT2_T3_mT4_P12ihipStream_tbEUlT_E_NS1_11comp_targetILNS1_3genE5ELNS1_11target_archE942ELNS1_3gpuE9ELNS1_3repE0EEENS1_30default_config_static_selectorELNS0_4arch9wavefront6targetE1EEEvT1_
	.globl	_ZN7rocprim17ROCPRIM_400000_NS6detail17trampoline_kernelINS0_14default_configENS1_35adjacent_difference_config_selectorILb0EhEEZNS1_24adjacent_difference_implIS3_Lb0ELb0EPKhPhN6thrust23THRUST_200600_302600_NS4plusIhEEEE10hipError_tPvRmT2_T3_mT4_P12ihipStream_tbEUlT_E_NS1_11comp_targetILNS1_3genE5ELNS1_11target_archE942ELNS1_3gpuE9ELNS1_3repE0EEENS1_30default_config_static_selectorELNS0_4arch9wavefront6targetE1EEEvT1_
	.p2align	8
	.type	_ZN7rocprim17ROCPRIM_400000_NS6detail17trampoline_kernelINS0_14default_configENS1_35adjacent_difference_config_selectorILb0EhEEZNS1_24adjacent_difference_implIS3_Lb0ELb0EPKhPhN6thrust23THRUST_200600_302600_NS4plusIhEEEE10hipError_tPvRmT2_T3_mT4_P12ihipStream_tbEUlT_E_NS1_11comp_targetILNS1_3genE5ELNS1_11target_archE942ELNS1_3gpuE9ELNS1_3repE0EEENS1_30default_config_static_selectorELNS0_4arch9wavefront6targetE1EEEvT1_,@function
_ZN7rocprim17ROCPRIM_400000_NS6detail17trampoline_kernelINS0_14default_configENS1_35adjacent_difference_config_selectorILb0EhEEZNS1_24adjacent_difference_implIS3_Lb0ELb0EPKhPhN6thrust23THRUST_200600_302600_NS4plusIhEEEE10hipError_tPvRmT2_T3_mT4_P12ihipStream_tbEUlT_E_NS1_11comp_targetILNS1_3genE5ELNS1_11target_archE942ELNS1_3gpuE9ELNS1_3repE0EEENS1_30default_config_static_selectorELNS0_4arch9wavefront6targetE1EEEvT1_: ; @_ZN7rocprim17ROCPRIM_400000_NS6detail17trampoline_kernelINS0_14default_configENS1_35adjacent_difference_config_selectorILb0EhEEZNS1_24adjacent_difference_implIS3_Lb0ELb0EPKhPhN6thrust23THRUST_200600_302600_NS4plusIhEEEE10hipError_tPvRmT2_T3_mT4_P12ihipStream_tbEUlT_E_NS1_11comp_targetILNS1_3genE5ELNS1_11target_archE942ELNS1_3gpuE9ELNS1_3repE0EEENS1_30default_config_static_selectorELNS0_4arch9wavefront6targetE1EEEvT1_
; %bb.0:
	.section	.rodata,"a",@progbits
	.p2align	6, 0x0
	.amdhsa_kernel _ZN7rocprim17ROCPRIM_400000_NS6detail17trampoline_kernelINS0_14default_configENS1_35adjacent_difference_config_selectorILb0EhEEZNS1_24adjacent_difference_implIS3_Lb0ELb0EPKhPhN6thrust23THRUST_200600_302600_NS4plusIhEEEE10hipError_tPvRmT2_T3_mT4_P12ihipStream_tbEUlT_E_NS1_11comp_targetILNS1_3genE5ELNS1_11target_archE942ELNS1_3gpuE9ELNS1_3repE0EEENS1_30default_config_static_selectorELNS0_4arch9wavefront6targetE1EEEvT1_
		.amdhsa_group_segment_fixed_size 0
		.amdhsa_private_segment_fixed_size 0
		.amdhsa_kernarg_size 56
		.amdhsa_user_sgpr_count 6
		.amdhsa_user_sgpr_private_segment_buffer 1
		.amdhsa_user_sgpr_dispatch_ptr 0
		.amdhsa_user_sgpr_queue_ptr 0
		.amdhsa_user_sgpr_kernarg_segment_ptr 1
		.amdhsa_user_sgpr_dispatch_id 0
		.amdhsa_user_sgpr_flat_scratch_init 0
		.amdhsa_user_sgpr_kernarg_preload_length 0
		.amdhsa_user_sgpr_kernarg_preload_offset 0
		.amdhsa_user_sgpr_private_segment_size 0
		.amdhsa_uses_dynamic_stack 0
		.amdhsa_system_sgpr_private_segment_wavefront_offset 0
		.amdhsa_system_sgpr_workgroup_id_x 1
		.amdhsa_system_sgpr_workgroup_id_y 0
		.amdhsa_system_sgpr_workgroup_id_z 0
		.amdhsa_system_sgpr_workgroup_info 0
		.amdhsa_system_vgpr_workitem_id 0
		.amdhsa_next_free_vgpr 1
		.amdhsa_next_free_sgpr 0
		.amdhsa_accum_offset 4
		.amdhsa_reserve_vcc 0
		.amdhsa_reserve_flat_scratch 0
		.amdhsa_float_round_mode_32 0
		.amdhsa_float_round_mode_16_64 0
		.amdhsa_float_denorm_mode_32 3
		.amdhsa_float_denorm_mode_16_64 3
		.amdhsa_dx10_clamp 1
		.amdhsa_ieee_mode 1
		.amdhsa_fp16_overflow 0
		.amdhsa_tg_split 0
		.amdhsa_exception_fp_ieee_invalid_op 0
		.amdhsa_exception_fp_denorm_src 0
		.amdhsa_exception_fp_ieee_div_zero 0
		.amdhsa_exception_fp_ieee_overflow 0
		.amdhsa_exception_fp_ieee_underflow 0
		.amdhsa_exception_fp_ieee_inexact 0
		.amdhsa_exception_int_div_zero 0
	.end_amdhsa_kernel
	.section	.text._ZN7rocprim17ROCPRIM_400000_NS6detail17trampoline_kernelINS0_14default_configENS1_35adjacent_difference_config_selectorILb0EhEEZNS1_24adjacent_difference_implIS3_Lb0ELb0EPKhPhN6thrust23THRUST_200600_302600_NS4plusIhEEEE10hipError_tPvRmT2_T3_mT4_P12ihipStream_tbEUlT_E_NS1_11comp_targetILNS1_3genE5ELNS1_11target_archE942ELNS1_3gpuE9ELNS1_3repE0EEENS1_30default_config_static_selectorELNS0_4arch9wavefront6targetE1EEEvT1_,"axG",@progbits,_ZN7rocprim17ROCPRIM_400000_NS6detail17trampoline_kernelINS0_14default_configENS1_35adjacent_difference_config_selectorILb0EhEEZNS1_24adjacent_difference_implIS3_Lb0ELb0EPKhPhN6thrust23THRUST_200600_302600_NS4plusIhEEEE10hipError_tPvRmT2_T3_mT4_P12ihipStream_tbEUlT_E_NS1_11comp_targetILNS1_3genE5ELNS1_11target_archE942ELNS1_3gpuE9ELNS1_3repE0EEENS1_30default_config_static_selectorELNS0_4arch9wavefront6targetE1EEEvT1_,comdat
.Lfunc_end493:
	.size	_ZN7rocprim17ROCPRIM_400000_NS6detail17trampoline_kernelINS0_14default_configENS1_35adjacent_difference_config_selectorILb0EhEEZNS1_24adjacent_difference_implIS3_Lb0ELb0EPKhPhN6thrust23THRUST_200600_302600_NS4plusIhEEEE10hipError_tPvRmT2_T3_mT4_P12ihipStream_tbEUlT_E_NS1_11comp_targetILNS1_3genE5ELNS1_11target_archE942ELNS1_3gpuE9ELNS1_3repE0EEENS1_30default_config_static_selectorELNS0_4arch9wavefront6targetE1EEEvT1_, .Lfunc_end493-_ZN7rocprim17ROCPRIM_400000_NS6detail17trampoline_kernelINS0_14default_configENS1_35adjacent_difference_config_selectorILb0EhEEZNS1_24adjacent_difference_implIS3_Lb0ELb0EPKhPhN6thrust23THRUST_200600_302600_NS4plusIhEEEE10hipError_tPvRmT2_T3_mT4_P12ihipStream_tbEUlT_E_NS1_11comp_targetILNS1_3genE5ELNS1_11target_archE942ELNS1_3gpuE9ELNS1_3repE0EEENS1_30default_config_static_selectorELNS0_4arch9wavefront6targetE1EEEvT1_
                                        ; -- End function
	.section	.AMDGPU.csdata,"",@progbits
; Kernel info:
; codeLenInByte = 0
; NumSgprs: 4
; NumVgprs: 0
; NumAgprs: 0
; TotalNumVgprs: 0
; ScratchSize: 0
; MemoryBound: 0
; FloatMode: 240
; IeeeMode: 1
; LDSByteSize: 0 bytes/workgroup (compile time only)
; SGPRBlocks: 0
; VGPRBlocks: 0
; NumSGPRsForWavesPerEU: 4
; NumVGPRsForWavesPerEU: 1
; AccumOffset: 4
; Occupancy: 8
; WaveLimiterHint : 0
; COMPUTE_PGM_RSRC2:SCRATCH_EN: 0
; COMPUTE_PGM_RSRC2:USER_SGPR: 6
; COMPUTE_PGM_RSRC2:TRAP_HANDLER: 0
; COMPUTE_PGM_RSRC2:TGID_X_EN: 1
; COMPUTE_PGM_RSRC2:TGID_Y_EN: 0
; COMPUTE_PGM_RSRC2:TGID_Z_EN: 0
; COMPUTE_PGM_RSRC2:TIDIG_COMP_CNT: 0
; COMPUTE_PGM_RSRC3_GFX90A:ACCUM_OFFSET: 0
; COMPUTE_PGM_RSRC3_GFX90A:TG_SPLIT: 0
	.section	.text._ZN7rocprim17ROCPRIM_400000_NS6detail17trampoline_kernelINS0_14default_configENS1_35adjacent_difference_config_selectorILb0EhEEZNS1_24adjacent_difference_implIS3_Lb0ELb0EPKhPhN6thrust23THRUST_200600_302600_NS4plusIhEEEE10hipError_tPvRmT2_T3_mT4_P12ihipStream_tbEUlT_E_NS1_11comp_targetILNS1_3genE4ELNS1_11target_archE910ELNS1_3gpuE8ELNS1_3repE0EEENS1_30default_config_static_selectorELNS0_4arch9wavefront6targetE1EEEvT1_,"axG",@progbits,_ZN7rocprim17ROCPRIM_400000_NS6detail17trampoline_kernelINS0_14default_configENS1_35adjacent_difference_config_selectorILb0EhEEZNS1_24adjacent_difference_implIS3_Lb0ELb0EPKhPhN6thrust23THRUST_200600_302600_NS4plusIhEEEE10hipError_tPvRmT2_T3_mT4_P12ihipStream_tbEUlT_E_NS1_11comp_targetILNS1_3genE4ELNS1_11target_archE910ELNS1_3gpuE8ELNS1_3repE0EEENS1_30default_config_static_selectorELNS0_4arch9wavefront6targetE1EEEvT1_,comdat
	.protected	_ZN7rocprim17ROCPRIM_400000_NS6detail17trampoline_kernelINS0_14default_configENS1_35adjacent_difference_config_selectorILb0EhEEZNS1_24adjacent_difference_implIS3_Lb0ELb0EPKhPhN6thrust23THRUST_200600_302600_NS4plusIhEEEE10hipError_tPvRmT2_T3_mT4_P12ihipStream_tbEUlT_E_NS1_11comp_targetILNS1_3genE4ELNS1_11target_archE910ELNS1_3gpuE8ELNS1_3repE0EEENS1_30default_config_static_selectorELNS0_4arch9wavefront6targetE1EEEvT1_ ; -- Begin function _ZN7rocprim17ROCPRIM_400000_NS6detail17trampoline_kernelINS0_14default_configENS1_35adjacent_difference_config_selectorILb0EhEEZNS1_24adjacent_difference_implIS3_Lb0ELb0EPKhPhN6thrust23THRUST_200600_302600_NS4plusIhEEEE10hipError_tPvRmT2_T3_mT4_P12ihipStream_tbEUlT_E_NS1_11comp_targetILNS1_3genE4ELNS1_11target_archE910ELNS1_3gpuE8ELNS1_3repE0EEENS1_30default_config_static_selectorELNS0_4arch9wavefront6targetE1EEEvT1_
	.globl	_ZN7rocprim17ROCPRIM_400000_NS6detail17trampoline_kernelINS0_14default_configENS1_35adjacent_difference_config_selectorILb0EhEEZNS1_24adjacent_difference_implIS3_Lb0ELb0EPKhPhN6thrust23THRUST_200600_302600_NS4plusIhEEEE10hipError_tPvRmT2_T3_mT4_P12ihipStream_tbEUlT_E_NS1_11comp_targetILNS1_3genE4ELNS1_11target_archE910ELNS1_3gpuE8ELNS1_3repE0EEENS1_30default_config_static_selectorELNS0_4arch9wavefront6targetE1EEEvT1_
	.p2align	8
	.type	_ZN7rocprim17ROCPRIM_400000_NS6detail17trampoline_kernelINS0_14default_configENS1_35adjacent_difference_config_selectorILb0EhEEZNS1_24adjacent_difference_implIS3_Lb0ELb0EPKhPhN6thrust23THRUST_200600_302600_NS4plusIhEEEE10hipError_tPvRmT2_T3_mT4_P12ihipStream_tbEUlT_E_NS1_11comp_targetILNS1_3genE4ELNS1_11target_archE910ELNS1_3gpuE8ELNS1_3repE0EEENS1_30default_config_static_selectorELNS0_4arch9wavefront6targetE1EEEvT1_,@function
_ZN7rocprim17ROCPRIM_400000_NS6detail17trampoline_kernelINS0_14default_configENS1_35adjacent_difference_config_selectorILb0EhEEZNS1_24adjacent_difference_implIS3_Lb0ELb0EPKhPhN6thrust23THRUST_200600_302600_NS4plusIhEEEE10hipError_tPvRmT2_T3_mT4_P12ihipStream_tbEUlT_E_NS1_11comp_targetILNS1_3genE4ELNS1_11target_archE910ELNS1_3gpuE8ELNS1_3repE0EEENS1_30default_config_static_selectorELNS0_4arch9wavefront6targetE1EEEvT1_: ; @_ZN7rocprim17ROCPRIM_400000_NS6detail17trampoline_kernelINS0_14default_configENS1_35adjacent_difference_config_selectorILb0EhEEZNS1_24adjacent_difference_implIS3_Lb0ELb0EPKhPhN6thrust23THRUST_200600_302600_NS4plusIhEEEE10hipError_tPvRmT2_T3_mT4_P12ihipStream_tbEUlT_E_NS1_11comp_targetILNS1_3genE4ELNS1_11target_archE910ELNS1_3gpuE8ELNS1_3repE0EEENS1_30default_config_static_selectorELNS0_4arch9wavefront6targetE1EEEvT1_
; %bb.0:
	s_load_dwordx8 s[40:47], s[4:5], 0x0
	s_mov_b32 s2, 0xb9435940
	s_load_dwordx2 s[0:1], s[4:5], 0x30
	s_movk_i32 s7, 0x4c0
	s_mul_i32 s33, s6, 0x4c0
	s_waitcnt lgkmcnt(0)
	s_add_u32 s8, s40, s42
	s_addc_u32 s9, s41, s43
	s_add_u32 s2, 0x294, s2
	s_addc_u32 s4, 0, 0
	v_add_co_u32_e64 v1, s[2:3], s2, -2.0
	s_cmp_lg_u64 s[2:3], 0
	s_addc_u32 s2, s4, 0x35e50c
	v_readfirstlane_b32 s4, v1
	s_mul_hi_u32 s5, s4, 0xfffffb40
	s_mul_i32 s3, s2, 0xfffffb40
	s_sub_i32 s5, s5, s4
	s_add_i32 s5, s5, s3
	s_mul_i32 s11, s4, 0xfffffb40
	s_mul_hi_u32 s3, s4, s5
	s_mul_i32 s10, s4, s5
	s_mul_hi_u32 s4, s4, s11
	s_add_u32 s4, s4, s10
	s_addc_u32 s3, 0, s3
	s_mul_hi_u32 s12, s2, s11
	s_mul_i32 s11, s2, s11
	s_add_u32 s4, s4, s11
	s_mul_hi_u32 s10, s2, s5
	s_addc_u32 s3, s3, s12
	s_addc_u32 s4, s10, 0
	s_mul_i32 s5, s2, s5
	s_add_u32 s3, s3, s5
	s_addc_u32 s4, 0, s4
	v_add_co_u32_e32 v1, vcc, s3, v1
	s_cmp_lg_u64 vcc, 0
	s_addc_u32 s2, s2, s4
	v_readfirstlane_b32 s5, v1
	s_mul_i32 s4, s46, s2
	s_mul_hi_u32 s10, s46, s5
	s_mul_hi_u32 s3, s46, s2
	s_add_u32 s4, s10, s4
	s_addc_u32 s3, 0, s3
	s_mul_hi_u32 s11, s47, s5
	s_mul_i32 s5, s47, s5
	s_add_u32 s4, s4, s5
	s_mul_hi_u32 s10, s47, s2
	s_addc_u32 s3, s3, s11
	s_addc_u32 s4, s10, 0
	s_mul_i32 s2, s47, s2
	s_add_u32 s2, s3, s2
	s_addc_u32 s3, 0, s4
	s_add_u32 s4, s2, 1
	s_addc_u32 s5, s3, 0
	s_add_u32 s10, s2, 2
	s_mul_i32 s12, s3, 0x4c0
	s_mul_hi_u32 s13, s2, 0x4c0
	s_addc_u32 s11, s3, 0
	s_add_i32 s13, s13, s12
	s_mul_i32 s12, s2, 0x4c0
	v_mov_b32_e32 v1, s12
	v_sub_co_u32_e32 v1, vcc, s46, v1
	s_cmp_lg_u64 vcc, 0
	s_subb_u32 s12, s47, s13
	v_subrev_co_u32_e32 v2, vcc, s7, v1
	s_cmp_lg_u64 vcc, 0
	s_subb_u32 s7, s12, 0
	v_readfirstlane_b32 s13, v2
	s_cmpk_gt_u32 s13, 0x4bf
	s_cselect_b32 s13, -1, 0
	s_cmp_eq_u32 s7, 0
	s_cselect_b32 s7, s13, -1
	s_cmp_lg_u32 s7, 0
	v_readfirstlane_b32 s7, v1
	s_cselect_b32 s4, s10, s4
	s_cselect_b32 s5, s11, s5
	s_cmpk_gt_u32 s7, 0x4bf
	s_cselect_b32 s7, -1, 0
	s_cmp_eq_u32 s12, 0
	s_cselect_b32 s7, s7, -1
	s_cmp_lg_u32 s7, 0
	s_cselect_b32 s5, s5, s3
	s_cselect_b32 s4, s4, s2
	s_mul_i32 s2, s5, 0x4c0
	s_mul_hi_u32 s3, s4, 0x4c0
	s_add_i32 s3, s3, s2
	s_mul_i32 s2, s4, 0x4c0
	s_sub_u32 s2, s46, s2
	s_subb_u32 s3, s47, s3
	s_cmp_lg_u64 s[2:3], 0
	s_cselect_b64 s[2:3], -1, 0
	v_cndmask_b32_e64 v1, 0, 1, s[2:3]
	v_readfirstlane_b32 s2, v1
	s_add_u32 s2, s4, s2
	s_addc_u32 s3, s5, 0
	s_add_u32 s4, s0, s6
	s_addc_u32 s5, s1, 0
	s_add_u32 s6, s2, -1
	s_addc_u32 s7, s3, -1
	v_pk_mov_b32 v[2:3], s[6:7], s[6:7] op_sel:[0,1]
	v_cmp_ge_u64_e64 s[0:1], s[4:5], v[2:3]
	s_mov_b64 s[10:11], -1
	s_and_b64 vcc, exec, s[0:1]
	s_mul_i32 s47, s6, 0xfffffb40
	s_cbranch_vccz .LBB494_40
; %bb.1:
	s_add_i32 s14, s47, s46
	s_add_u32 s10, s8, s33
	s_addc_u32 s11, s9, 0
	v_cmp_gt_u32_e32 vcc, s14, v0
                                        ; implicit-def: $vgpr1
	s_and_saveexec_b64 s[12:13], vcc
	s_cbranch_execz .LBB494_3
; %bb.2:
	global_load_ubyte v1, v0, s[10:11]
.LBB494_3:
	s_or_b64 exec, exec, s[12:13]
	v_or_b32_e32 v2, 64, v0
	v_cmp_gt_u32_e32 vcc, s14, v2
                                        ; implicit-def: $vgpr2
	s_and_saveexec_b64 s[12:13], vcc
	s_cbranch_execz .LBB494_5
; %bb.4:
	global_load_ubyte v2, v0, s[10:11] offset:64
.LBB494_5:
	s_or_b64 exec, exec, s[12:13]
	v_or_b32_e32 v3, 0x80, v0
	v_cmp_gt_u32_e32 vcc, s14, v3
                                        ; implicit-def: $vgpr3
	s_and_saveexec_b64 s[12:13], vcc
	s_cbranch_execz .LBB494_7
; %bb.6:
	global_load_ubyte v3, v0, s[10:11] offset:128
.LBB494_7:
	s_or_b64 exec, exec, s[12:13]
	v_or_b32_e32 v4, 0xc0, v0
	v_cmp_gt_u32_e32 vcc, s14, v4
                                        ; implicit-def: $vgpr4
	s_and_saveexec_b64 s[12:13], vcc
	s_cbranch_execz .LBB494_9
; %bb.8:
	global_load_ubyte v4, v0, s[10:11] offset:192
.LBB494_9:
	s_or_b64 exec, exec, s[12:13]
	v_or_b32_e32 v5, 0x100, v0
	v_cmp_gt_u32_e32 vcc, s14, v5
                                        ; implicit-def: $vgpr5
	s_and_saveexec_b64 s[12:13], vcc
	s_cbranch_execz .LBB494_11
; %bb.10:
	global_load_ubyte v5, v0, s[10:11] offset:256
.LBB494_11:
	s_or_b64 exec, exec, s[12:13]
	v_or_b32_e32 v6, 0x140, v0
	v_cmp_gt_u32_e32 vcc, s14, v6
                                        ; implicit-def: $vgpr6
	s_and_saveexec_b64 s[12:13], vcc
	s_cbranch_execz .LBB494_13
; %bb.12:
	global_load_ubyte v6, v0, s[10:11] offset:320
.LBB494_13:
	s_or_b64 exec, exec, s[12:13]
	v_or_b32_e32 v7, 0x180, v0
	v_cmp_gt_u32_e32 vcc, s14, v7
                                        ; implicit-def: $vgpr7
	s_and_saveexec_b64 s[12:13], vcc
	s_cbranch_execz .LBB494_15
; %bb.14:
	global_load_ubyte v7, v0, s[10:11] offset:384
.LBB494_15:
	s_or_b64 exec, exec, s[12:13]
	v_or_b32_e32 v8, 0x1c0, v0
	v_cmp_gt_u32_e32 vcc, s14, v8
                                        ; implicit-def: $vgpr8
	s_and_saveexec_b64 s[12:13], vcc
	s_cbranch_execz .LBB494_17
; %bb.16:
	global_load_ubyte v8, v0, s[10:11] offset:448
.LBB494_17:
	s_or_b64 exec, exec, s[12:13]
	v_or_b32_e32 v9, 0x200, v0
	v_cmp_gt_u32_e32 vcc, s14, v9
                                        ; implicit-def: $vgpr9
	s_and_saveexec_b64 s[12:13], vcc
	s_cbranch_execz .LBB494_19
; %bb.18:
	global_load_ubyte v9, v0, s[10:11] offset:512
.LBB494_19:
	s_or_b64 exec, exec, s[12:13]
	v_or_b32_e32 v10, 0x240, v0
	v_cmp_gt_u32_e32 vcc, s14, v10
                                        ; implicit-def: $vgpr10
	s_and_saveexec_b64 s[12:13], vcc
	s_cbranch_execz .LBB494_21
; %bb.20:
	global_load_ubyte v10, v0, s[10:11] offset:576
.LBB494_21:
	s_or_b64 exec, exec, s[12:13]
	v_or_b32_e32 v11, 0x280, v0
	v_cmp_gt_u32_e32 vcc, s14, v11
                                        ; implicit-def: $vgpr11
	s_and_saveexec_b64 s[12:13], vcc
	s_cbranch_execz .LBB494_23
; %bb.22:
	global_load_ubyte v11, v0, s[10:11] offset:640
.LBB494_23:
	s_or_b64 exec, exec, s[12:13]
	v_or_b32_e32 v12, 0x2c0, v0
	v_cmp_gt_u32_e32 vcc, s14, v12
                                        ; implicit-def: $vgpr12
	s_and_saveexec_b64 s[12:13], vcc
	s_cbranch_execz .LBB494_25
; %bb.24:
	global_load_ubyte v12, v0, s[10:11] offset:704
.LBB494_25:
	s_or_b64 exec, exec, s[12:13]
	v_or_b32_e32 v13, 0x300, v0
	v_cmp_gt_u32_e32 vcc, s14, v13
                                        ; implicit-def: $vgpr13
	s_and_saveexec_b64 s[12:13], vcc
	s_cbranch_execz .LBB494_27
; %bb.26:
	global_load_ubyte v13, v0, s[10:11] offset:768
.LBB494_27:
	s_or_b64 exec, exec, s[12:13]
	v_or_b32_e32 v14, 0x340, v0
	v_cmp_gt_u32_e32 vcc, s14, v14
                                        ; implicit-def: $vgpr14
	s_and_saveexec_b64 s[12:13], vcc
	s_cbranch_execz .LBB494_29
; %bb.28:
	global_load_ubyte v14, v0, s[10:11] offset:832
.LBB494_29:
	s_or_b64 exec, exec, s[12:13]
	v_or_b32_e32 v15, 0x380, v0
	v_cmp_gt_u32_e32 vcc, s14, v15
                                        ; implicit-def: $vgpr15
	s_and_saveexec_b64 s[12:13], vcc
	s_cbranch_execz .LBB494_31
; %bb.30:
	global_load_ubyte v15, v0, s[10:11] offset:896
.LBB494_31:
	s_or_b64 exec, exec, s[12:13]
	v_or_b32_e32 v16, 0x3c0, v0
	v_cmp_gt_u32_e32 vcc, s14, v16
                                        ; implicit-def: $vgpr16
	s_and_saveexec_b64 s[12:13], vcc
	s_cbranch_execz .LBB494_33
; %bb.32:
	global_load_ubyte v16, v0, s[10:11] offset:960
.LBB494_33:
	s_or_b64 exec, exec, s[12:13]
	v_or_b32_e32 v17, 0x400, v0
	v_cmp_gt_u32_e32 vcc, s14, v17
                                        ; implicit-def: $vgpr17
	s_and_saveexec_b64 s[12:13], vcc
	s_cbranch_execz .LBB494_35
; %bb.34:
	global_load_ubyte v17, v0, s[10:11] offset:1024
.LBB494_35:
	s_or_b64 exec, exec, s[12:13]
	v_or_b32_e32 v18, 0x440, v0
	v_cmp_gt_u32_e32 vcc, s14, v18
                                        ; implicit-def: $vgpr18
	s_and_saveexec_b64 s[12:13], vcc
	s_cbranch_execz .LBB494_37
; %bb.36:
	global_load_ubyte v18, v0, s[10:11] offset:1088
.LBB494_37:
	s_or_b64 exec, exec, s[12:13]
	v_or_b32_e32 v19, 0x480, v0
	v_cmp_gt_u32_e32 vcc, s14, v19
                                        ; implicit-def: $vgpr19
	s_and_saveexec_b64 s[12:13], vcc
	s_cbranch_execz .LBB494_39
; %bb.38:
	global_load_ubyte v19, v0, s[10:11] offset:1152
.LBB494_39:
	s_or_b64 exec, exec, s[12:13]
	s_mov_b64 s[10:11], 0
	s_waitcnt vmcnt(0)
	ds_write_b8 v0, v1
	ds_write_b8 v0, v2 offset:64
	ds_write_b8 v0, v3 offset:128
	;; [unrolled: 1-line block ×18, first 2 shown]
	s_waitcnt lgkmcnt(0)
	; wave barrier
.LBB494_40:
	s_and_b64 vcc, exec, s[10:11]
	s_cbranch_vccz .LBB494_42
; %bb.41:
	s_add_u32 s10, s8, s33
	s_addc_u32 s11, s9, 0
	global_load_ubyte v1, v0, s[10:11]
	global_load_ubyte v2, v0, s[10:11] offset:64
	global_load_ubyte v3, v0, s[10:11] offset:128
	;; [unrolled: 1-line block ×18, first 2 shown]
	s_waitcnt vmcnt(18)
	ds_write_b8 v0, v1
	s_waitcnt vmcnt(17)
	ds_write_b8 v0, v2 offset:64
	s_waitcnt vmcnt(16)
	ds_write_b8 v0, v3 offset:128
	;; [unrolled: 2-line block ×18, first 2 shown]
	s_waitcnt lgkmcnt(0)
	; wave barrier
.LBB494_42:
	v_mul_u32_u24_e32 v1, 19, v0
	s_waitcnt lgkmcnt(0)
	ds_read_b128 v[2:5], v1
	ds_read_u8 v6, v1 offset:16
	ds_read_u8 v7, v1 offset:17
	;; [unrolled: 1-line block ×3, first 2 shown]
	s_cmp_eq_u64 s[4:5], 0
	s_waitcnt lgkmcnt(3)
	v_lshrrev_b32_e32 v9, 8, v2
	v_lshrrev_b32_e32 v10, 16, v2
	;; [unrolled: 1-line block ×12, first 2 shown]
	s_waitcnt lgkmcnt(0)
	; wave barrier
	s_waitcnt lgkmcnt(0)
	s_cbranch_scc1 .LBB494_47
; %bb.43:
	v_mov_b32_e32 v1, s33
	global_load_ubyte v38, v1, s[8:9] offset:-1
	s_cmp_eq_u64 s[4:5], s[6:7]
	s_cbranch_scc1 .LBB494_48
; %bb.44:
	v_cmp_ne_u32_e32 vcc, 0, v0
	s_waitcnt vmcnt(0)
	v_mov_b32_e32 v1, v38
	ds_write_b8 v0, v8
	s_waitcnt lgkmcnt(0)
	; wave barrier
	s_waitcnt lgkmcnt(0)
	s_and_saveexec_b64 s[6:7], vcc
	s_cbranch_execz .LBB494_46
; %bb.45:
	v_add_u32_e32 v1, -1, v0
	ds_read_u8 v1, v1
.LBB494_46:
	s_or_b64 exec, exec, s[6:7]
	s_waitcnt lgkmcnt(0)
	v_add_u16_e32 v1, v1, v2
	s_mov_b64 s[6:7], 0
	s_branch .LBB494_49
.LBB494_47:
                                        ; implicit-def: $vgpr1
                                        ; implicit-def: $vgpr39
                                        ; implicit-def: $vgpr37
                                        ; implicit-def: $vgpr36
                                        ; implicit-def: $vgpr35
                                        ; implicit-def: $vgpr34
                                        ; implicit-def: $vgpr33
                                        ; implicit-def: $vgpr32
                                        ; implicit-def: $vgpr31
                                        ; implicit-def: $vgpr30
                                        ; implicit-def: $vgpr28
                                        ; implicit-def: $vgpr27
                                        ; implicit-def: $vgpr26
                                        ; implicit-def: $vgpr25
                                        ; implicit-def: $vgpr24
                                        ; implicit-def: $vgpr23
                                        ; implicit-def: $vgpr22
                                        ; implicit-def: $vgpr21
                                        ; implicit-def: $vgpr29
	s_branch .LBB494_54
.LBB494_48:
	s_mov_b64 s[6:7], -1
                                        ; implicit-def: $vgpr1
.LBB494_49:
	s_and_b64 vcc, exec, s[6:7]
	v_mov_b32_e32 v39, v2
	v_mov_b32_e32 v37, v9
	;; [unrolled: 1-line block ×18, first 2 shown]
	s_cbranch_vccz .LBB494_53
; %bb.50:
	v_mul_u32_u24_e32 v1, 19, v0
	v_cmp_ne_u32_e32 vcc, 0, v0
	ds_write_b8 v0, v8
	s_waitcnt lgkmcnt(0)
	; wave barrier
	s_waitcnt lgkmcnt(0)
	s_and_saveexec_b64 s[6:7], vcc
	s_cbranch_execz .LBB494_52
; %bb.51:
	v_add_u32_e32 v21, -1, v0
	s_waitcnt vmcnt(0)
	ds_read_u8 v38, v21
.LBB494_52:
	s_or_b64 exec, exec, s[6:7]
	s_mulk_i32 s4, 0xfb40
	s_add_i32 s4, s4, s46
	v_add_u32_e32 v21, 18, v1
	v_cmp_gt_u32_e32 vcc, s4, v21
	v_add_u32_e32 v21, 17, v1
	v_cndmask_b32_e32 v29, 0, v7, vcc
	v_cmp_gt_u32_e32 vcc, s4, v21
	v_add_u32_e32 v22, 16, v1
	v_cndmask_b32_e32 v21, 0, v6, vcc
	;; [unrolled: 3-line block ×17, first 2 shown]
	v_cmp_gt_u32_e32 vcc, s4, v39
	v_cndmask_b32_e32 v39, 0, v2, vcc
	v_cmp_gt_u32_e32 vcc, s4, v1
	s_waitcnt vmcnt(0) lgkmcnt(0)
	v_cndmask_b32_e32 v1, 0, v38, vcc
	v_add_u16_e32 v1, v1, v2
.LBB494_53:
	s_cbranch_execnz .LBB494_64
.LBB494_54:
	s_cmp_eq_u64 s[2:3], 1
	v_cmp_ne_u32_e32 vcc, 0, v0
	s_cbranch_scc1 .LBB494_58
; %bb.55:
	v_mov_b32_e32 v1, v2
	ds_write_b8 v0, v8
	s_waitcnt lgkmcnt(0)
	; wave barrier
	s_waitcnt lgkmcnt(0)
	s_and_saveexec_b64 s[2:3], vcc
	s_cbranch_execz .LBB494_57
; %bb.56:
	v_add_u32_e32 v1, -1, v0
	ds_read_u8 v1, v1
	s_waitcnt lgkmcnt(0)
	v_add_u16_e32 v1, v1, v2
.LBB494_57:
	s_or_b64 exec, exec, s[2:3]
	s_mov_b64 s[2:3], 0
	s_branch .LBB494_59
.LBB494_58:
	s_mov_b64 s[2:3], -1
                                        ; implicit-def: $vgpr1
.LBB494_59:
	s_andn2_b64 vcc, exec, s[2:3]
	v_mov_b32_e32 v37, v9
	v_mov_b32_e32 v36, v10
	;; [unrolled: 1-line block ×17, first 2 shown]
	s_cbranch_vccnz .LBB494_63
; %bb.60:
	v_mad_u32_u24 v21, v0, 19, 18
	v_cmp_gt_u32_e32 vcc, s46, v21
	v_mad_u32_u24 v21, v0, 19, 17
	v_cmp_gt_u32_e64 s[2:3], s46, v21
	v_mad_u32_u24 v21, v0, 19, 16
	v_cmp_gt_u32_e64 s[4:5], s46, v21
	;; [unrolled: 2-line block ×14, first 2 shown]
	v_mad_u32_u24 v21, v0, 19, 3
	v_mul_u32_u24_e32 v1, 19, v0
	v_cmp_gt_u32_e64 s[30:31], s46, v21
	v_mad_u32_u24 v21, v0, 19, 2
	v_cmp_gt_u32_e64 s[34:35], s46, v21
	v_mad_u32_u24 v21, v0, 19, 1
	v_cmp_ne_u32_e64 s[38:39], 0, v0
	v_cmp_gt_u32_e64 s[40:41], s46, v1
	v_cmp_gt_u32_e64 s[36:37], s46, v21
	s_and_b64 s[40:41], s[38:39], s[40:41]
	v_mov_b32_e32 v1, v2
	ds_write_b8 v0, v8
	s_waitcnt lgkmcnt(0)
	; wave barrier
	s_waitcnt lgkmcnt(0)
	s_and_saveexec_b64 s[38:39], s[40:41]
	s_cbranch_execz .LBB494_62
; %bb.61:
	v_add_u32_e32 v1, -1, v0
	ds_read_u8 v1, v1
	s_waitcnt lgkmcnt(0)
	v_add_u16_e32 v1, v1, v2
.LBB494_62:
	s_or_b64 exec, exec, s[38:39]
	v_cndmask_b32_e32 v29, 0, v7, vcc
	v_cndmask_b32_e64 v21, 0, v6, s[2:3]
	v_cndmask_b32_e64 v22, 0, v20, s[4:5]
	;; [unrolled: 1-line block ×17, first 2 shown]
.LBB494_63:
	v_mov_b32_e32 v39, v2
.LBB494_64:
	s_add_u32 s4, s44, s42
	v_add_u16_e32 v8, v29, v8
	v_add_u16_e32 v2, v39, v9
	;; [unrolled: 1-line block ×13, first 2 shown]
	s_addc_u32 s5, s45, s43
	v_add_u16_e32 v12, v31, v4
	v_add_u16_e32 v14, v26, v5
	;; [unrolled: 1-line block ×5, first 2 shown]
	s_and_b64 vcc, exec, s[0:1]
	v_mul_u32_u24_e32 v6, 19, v0
	v_lshlrev_b16_e32 v21, 8, v17
	v_lshlrev_b16_e32 v22, 8, v18
	;; [unrolled: 1-line block ×8, first 2 shown]
	s_waitcnt lgkmcnt(0)
	; wave barrier
	s_cbranch_vccz .LBB494_102
; %bb.65:
	v_or_b32_sdwa v2, v14, v21 dst_sel:DWORD dst_unused:UNUSED_PAD src0_sel:BYTE_0 src1_sel:DWORD
	v_or_b32_sdwa v3, v15, v22 dst_sel:WORD_1 dst_unused:UNUSED_PAD src0_sel:BYTE_0 src1_sel:DWORD
	v_or_b32_sdwa v27, v2, v3 dst_sel:DWORD dst_unused:UNUSED_PAD src0_sel:WORD_0 src1_sel:DWORD
	v_or_b32_sdwa v2, v12, v19 dst_sel:DWORD dst_unused:UNUSED_PAD src0_sel:BYTE_0 src1_sel:DWORD
	v_or_b32_sdwa v3, v13, v20 dst_sel:WORD_1 dst_unused:UNUSED_PAD src0_sel:BYTE_0 src1_sel:DWORD
	v_or_b32_sdwa v26, v2, v3 dst_sel:DWORD dst_unused:UNUSED_PAD src0_sel:WORD_0 src1_sel:DWORD
	;; [unrolled: 3-line block ×4, first 2 shown]
	ds_write_b128 v6, v[24:27]
	ds_write_b8 v6, v4 offset:16
	ds_write_b8 v6, v5 offset:17
	ds_write_b8 v6, v8 offset:18
	s_waitcnt lgkmcnt(0)
	; wave barrier
	s_waitcnt lgkmcnt(0)
	ds_read_u8 v40, v0 offset:64
	ds_read_u8 v39, v0 offset:128
	s_waitcnt vmcnt(0)
	ds_read_u8 v38, v0 offset:192
	ds_read_u8 v37, v0 offset:256
	;; [unrolled: 1-line block ×16, first 2 shown]
	s_add_i32 s47, s47, s46
	s_add_u32 s0, s4, s33
	s_addc_u32 s1, s5, 0
	v_mov_b32_e32 v3, s1
	v_add_co_u32_e32 v2, vcc, s0, v0
	v_addc_co_u32_e32 v3, vcc, 0, v3, vcc
	v_cmp_gt_u32_e32 vcc, s47, v0
	s_and_saveexec_b64 s[0:1], vcc
	s_cbranch_execz .LBB494_67
; %bb.66:
	ds_read_u8 v41, v0
	s_waitcnt lgkmcnt(0)
	global_store_byte v[2:3], v41, off
.LBB494_67:
	s_or_b64 exec, exec, s[0:1]
	v_or_b32_e32 v41, 64, v0
	v_cmp_gt_u32_e32 vcc, s47, v41
	s_and_saveexec_b64 s[0:1], vcc
	s_cbranch_execz .LBB494_69
; %bb.68:
	s_waitcnt lgkmcnt(14)
	global_store_byte v[2:3], v40, off offset:64
.LBB494_69:
	s_or_b64 exec, exec, s[0:1]
	s_waitcnt lgkmcnt(14)
	v_or_b32_e32 v40, 0x80, v0
	v_cmp_gt_u32_e32 vcc, s47, v40
	s_and_saveexec_b64 s[0:1], vcc
	s_cbranch_execz .LBB494_71
; %bb.70:
	global_store_byte v[2:3], v39, off offset:128
.LBB494_71:
	s_or_b64 exec, exec, s[0:1]
	v_or_b32_e32 v39, 0xc0, v0
	v_cmp_gt_u32_e32 vcc, s47, v39
	s_and_saveexec_b64 s[0:1], vcc
	s_cbranch_execz .LBB494_73
; %bb.72:
	global_store_byte v[2:3], v38, off offset:192
.LBB494_73:
	s_or_b64 exec, exec, s[0:1]
	;; [unrolled: 8-line block ×3, first 2 shown]
	v_or_b32_e32 v37, 0x140, v0
	v_cmp_gt_u32_e32 vcc, s47, v37
	s_and_saveexec_b64 s[0:1], vcc
	s_cbranch_execz .LBB494_77
; %bb.76:
	s_waitcnt lgkmcnt(13)
	global_store_byte v[2:3], v36, off offset:320
.LBB494_77:
	s_or_b64 exec, exec, s[0:1]
	s_waitcnt lgkmcnt(13)
	v_or_b32_e32 v36, 0x180, v0
	v_cmp_gt_u32_e32 vcc, s47, v36
	s_and_saveexec_b64 s[0:1], vcc
	s_cbranch_execz .LBB494_79
; %bb.78:
	s_waitcnt lgkmcnt(12)
	global_store_byte v[2:3], v35, off offset:384
.LBB494_79:
	s_or_b64 exec, exec, s[0:1]
	s_waitcnt lgkmcnt(12)
	;; [unrolled: 10-line block ×13, first 2 shown]
	v_or_b32_e32 v24, 0x480, v0
	v_cmp_gt_u32_e64 s[0:1], s47, v24
	s_branch .LBB494_104
.LBB494_102:
	s_mov_b64 s[0:1], 0
                                        ; implicit-def: $vgpr23
                                        ; implicit-def: $vgpr2_vgpr3
	s_cbranch_execz .LBB494_104
; %bb.103:
	v_or_b32_sdwa v2, v14, v21 dst_sel:DWORD dst_unused:UNUSED_PAD src0_sel:BYTE_0 src1_sel:DWORD
	v_or_b32_sdwa v3, v15, v22 dst_sel:WORD_1 dst_unused:UNUSED_PAD src0_sel:BYTE_0 src1_sel:DWORD
	v_or_b32_sdwa v15, v2, v3 dst_sel:DWORD dst_unused:UNUSED_PAD src0_sel:WORD_0 src1_sel:DWORD
	v_or_b32_sdwa v2, v12, v19 dst_sel:DWORD dst_unused:UNUSED_PAD src0_sel:BYTE_0 src1_sel:DWORD
	v_or_b32_sdwa v3, v13, v20 dst_sel:WORD_1 dst_unused:UNUSED_PAD src0_sel:BYTE_0 src1_sel:DWORD
	v_or_b32_sdwa v14, v2, v3 dst_sel:DWORD dst_unused:UNUSED_PAD src0_sel:WORD_0 src1_sel:DWORD
	;; [unrolled: 3-line block ×4, first 2 shown]
	s_add_u32 s2, s4, s33
	ds_write_b128 v6, v[12:15]
	ds_write_b8 v6, v4 offset:16
	ds_write_b8 v6, v5 offset:17
	;; [unrolled: 1-line block ×3, first 2 shown]
	s_waitcnt lgkmcnt(0)
	; wave barrier
	s_waitcnt lgkmcnt(0)
	ds_read_u8 v1, v0
	ds_read_u8 v4, v0 offset:64
	ds_read_u8 v5, v0 offset:128
	;; [unrolled: 1-line block ×18, first 2 shown]
	s_addc_u32 s3, s5, 0
	v_mov_b32_e32 v3, s3
	v_add_co_u32_e32 v2, vcc, s2, v0
	v_addc_co_u32_e32 v3, vcc, 0, v3, vcc
	s_or_b64 s[0:1], s[0:1], exec
	s_waitcnt lgkmcnt(14)
	global_store_byte v0, v1, s[2:3]
	global_store_byte v0, v4, s[2:3] offset:64
	global_store_byte v0, v5, s[2:3] offset:128
	;; [unrolled: 1-line block ×4, first 2 shown]
	s_waitcnt lgkmcnt(13)
	global_store_byte v0, v8, s[2:3] offset:320
	s_waitcnt lgkmcnt(12)
	global_store_byte v0, v9, s[2:3] offset:384
	;; [unrolled: 2-line block ×13, first 2 shown]
.LBB494_104:
	s_and_saveexec_b64 s[2:3], s[0:1]
	s_cbranch_execnz .LBB494_106
; %bb.105:
	s_endpgm
.LBB494_106:
	s_waitcnt lgkmcnt(0)
	global_store_byte v[2:3], v23, off offset:1152
	s_endpgm
	.section	.rodata,"a",@progbits
	.p2align	6, 0x0
	.amdhsa_kernel _ZN7rocprim17ROCPRIM_400000_NS6detail17trampoline_kernelINS0_14default_configENS1_35adjacent_difference_config_selectorILb0EhEEZNS1_24adjacent_difference_implIS3_Lb0ELb0EPKhPhN6thrust23THRUST_200600_302600_NS4plusIhEEEE10hipError_tPvRmT2_T3_mT4_P12ihipStream_tbEUlT_E_NS1_11comp_targetILNS1_3genE4ELNS1_11target_archE910ELNS1_3gpuE8ELNS1_3repE0EEENS1_30default_config_static_selectorELNS0_4arch9wavefront6targetE1EEEvT1_
		.amdhsa_group_segment_fixed_size 1216
		.amdhsa_private_segment_fixed_size 0
		.amdhsa_kernarg_size 56
		.amdhsa_user_sgpr_count 6
		.amdhsa_user_sgpr_private_segment_buffer 1
		.amdhsa_user_sgpr_dispatch_ptr 0
		.amdhsa_user_sgpr_queue_ptr 0
		.amdhsa_user_sgpr_kernarg_segment_ptr 1
		.amdhsa_user_sgpr_dispatch_id 0
		.amdhsa_user_sgpr_flat_scratch_init 0
		.amdhsa_user_sgpr_kernarg_preload_length 0
		.amdhsa_user_sgpr_kernarg_preload_offset 0
		.amdhsa_user_sgpr_private_segment_size 0
		.amdhsa_uses_dynamic_stack 0
		.amdhsa_system_sgpr_private_segment_wavefront_offset 0
		.amdhsa_system_sgpr_workgroup_id_x 1
		.amdhsa_system_sgpr_workgroup_id_y 0
		.amdhsa_system_sgpr_workgroup_id_z 0
		.amdhsa_system_sgpr_workgroup_info 0
		.amdhsa_system_vgpr_workitem_id 0
		.amdhsa_next_free_vgpr 42
		.amdhsa_next_free_sgpr 48
		.amdhsa_accum_offset 44
		.amdhsa_reserve_vcc 1
		.amdhsa_reserve_flat_scratch 0
		.amdhsa_float_round_mode_32 0
		.amdhsa_float_round_mode_16_64 0
		.amdhsa_float_denorm_mode_32 3
		.amdhsa_float_denorm_mode_16_64 3
		.amdhsa_dx10_clamp 1
		.amdhsa_ieee_mode 1
		.amdhsa_fp16_overflow 0
		.amdhsa_tg_split 0
		.amdhsa_exception_fp_ieee_invalid_op 0
		.amdhsa_exception_fp_denorm_src 0
		.amdhsa_exception_fp_ieee_div_zero 0
		.amdhsa_exception_fp_ieee_overflow 0
		.amdhsa_exception_fp_ieee_underflow 0
		.amdhsa_exception_fp_ieee_inexact 0
		.amdhsa_exception_int_div_zero 0
	.end_amdhsa_kernel
	.section	.text._ZN7rocprim17ROCPRIM_400000_NS6detail17trampoline_kernelINS0_14default_configENS1_35adjacent_difference_config_selectorILb0EhEEZNS1_24adjacent_difference_implIS3_Lb0ELb0EPKhPhN6thrust23THRUST_200600_302600_NS4plusIhEEEE10hipError_tPvRmT2_T3_mT4_P12ihipStream_tbEUlT_E_NS1_11comp_targetILNS1_3genE4ELNS1_11target_archE910ELNS1_3gpuE8ELNS1_3repE0EEENS1_30default_config_static_selectorELNS0_4arch9wavefront6targetE1EEEvT1_,"axG",@progbits,_ZN7rocprim17ROCPRIM_400000_NS6detail17trampoline_kernelINS0_14default_configENS1_35adjacent_difference_config_selectorILb0EhEEZNS1_24adjacent_difference_implIS3_Lb0ELb0EPKhPhN6thrust23THRUST_200600_302600_NS4plusIhEEEE10hipError_tPvRmT2_T3_mT4_P12ihipStream_tbEUlT_E_NS1_11comp_targetILNS1_3genE4ELNS1_11target_archE910ELNS1_3gpuE8ELNS1_3repE0EEENS1_30default_config_static_selectorELNS0_4arch9wavefront6targetE1EEEvT1_,comdat
.Lfunc_end494:
	.size	_ZN7rocprim17ROCPRIM_400000_NS6detail17trampoline_kernelINS0_14default_configENS1_35adjacent_difference_config_selectorILb0EhEEZNS1_24adjacent_difference_implIS3_Lb0ELb0EPKhPhN6thrust23THRUST_200600_302600_NS4plusIhEEEE10hipError_tPvRmT2_T3_mT4_P12ihipStream_tbEUlT_E_NS1_11comp_targetILNS1_3genE4ELNS1_11target_archE910ELNS1_3gpuE8ELNS1_3repE0EEENS1_30default_config_static_selectorELNS0_4arch9wavefront6targetE1EEEvT1_, .Lfunc_end494-_ZN7rocprim17ROCPRIM_400000_NS6detail17trampoline_kernelINS0_14default_configENS1_35adjacent_difference_config_selectorILb0EhEEZNS1_24adjacent_difference_implIS3_Lb0ELb0EPKhPhN6thrust23THRUST_200600_302600_NS4plusIhEEEE10hipError_tPvRmT2_T3_mT4_P12ihipStream_tbEUlT_E_NS1_11comp_targetILNS1_3genE4ELNS1_11target_archE910ELNS1_3gpuE8ELNS1_3repE0EEENS1_30default_config_static_selectorELNS0_4arch9wavefront6targetE1EEEvT1_
                                        ; -- End function
	.section	.AMDGPU.csdata,"",@progbits
; Kernel info:
; codeLenInByte = 4596
; NumSgprs: 52
; NumVgprs: 42
; NumAgprs: 0
; TotalNumVgprs: 42
; ScratchSize: 0
; MemoryBound: 0
; FloatMode: 240
; IeeeMode: 1
; LDSByteSize: 1216 bytes/workgroup (compile time only)
; SGPRBlocks: 6
; VGPRBlocks: 5
; NumSGPRsForWavesPerEU: 52
; NumVGPRsForWavesPerEU: 42
; AccumOffset: 44
; Occupancy: 8
; WaveLimiterHint : 0
; COMPUTE_PGM_RSRC2:SCRATCH_EN: 0
; COMPUTE_PGM_RSRC2:USER_SGPR: 6
; COMPUTE_PGM_RSRC2:TRAP_HANDLER: 0
; COMPUTE_PGM_RSRC2:TGID_X_EN: 1
; COMPUTE_PGM_RSRC2:TGID_Y_EN: 0
; COMPUTE_PGM_RSRC2:TGID_Z_EN: 0
; COMPUTE_PGM_RSRC2:TIDIG_COMP_CNT: 0
; COMPUTE_PGM_RSRC3_GFX90A:ACCUM_OFFSET: 10
; COMPUTE_PGM_RSRC3_GFX90A:TG_SPLIT: 0
	.section	.text._ZN7rocprim17ROCPRIM_400000_NS6detail17trampoline_kernelINS0_14default_configENS1_35adjacent_difference_config_selectorILb0EhEEZNS1_24adjacent_difference_implIS3_Lb0ELb0EPKhPhN6thrust23THRUST_200600_302600_NS4plusIhEEEE10hipError_tPvRmT2_T3_mT4_P12ihipStream_tbEUlT_E_NS1_11comp_targetILNS1_3genE3ELNS1_11target_archE908ELNS1_3gpuE7ELNS1_3repE0EEENS1_30default_config_static_selectorELNS0_4arch9wavefront6targetE1EEEvT1_,"axG",@progbits,_ZN7rocprim17ROCPRIM_400000_NS6detail17trampoline_kernelINS0_14default_configENS1_35adjacent_difference_config_selectorILb0EhEEZNS1_24adjacent_difference_implIS3_Lb0ELb0EPKhPhN6thrust23THRUST_200600_302600_NS4plusIhEEEE10hipError_tPvRmT2_T3_mT4_P12ihipStream_tbEUlT_E_NS1_11comp_targetILNS1_3genE3ELNS1_11target_archE908ELNS1_3gpuE7ELNS1_3repE0EEENS1_30default_config_static_selectorELNS0_4arch9wavefront6targetE1EEEvT1_,comdat
	.protected	_ZN7rocprim17ROCPRIM_400000_NS6detail17trampoline_kernelINS0_14default_configENS1_35adjacent_difference_config_selectorILb0EhEEZNS1_24adjacent_difference_implIS3_Lb0ELb0EPKhPhN6thrust23THRUST_200600_302600_NS4plusIhEEEE10hipError_tPvRmT2_T3_mT4_P12ihipStream_tbEUlT_E_NS1_11comp_targetILNS1_3genE3ELNS1_11target_archE908ELNS1_3gpuE7ELNS1_3repE0EEENS1_30default_config_static_selectorELNS0_4arch9wavefront6targetE1EEEvT1_ ; -- Begin function _ZN7rocprim17ROCPRIM_400000_NS6detail17trampoline_kernelINS0_14default_configENS1_35adjacent_difference_config_selectorILb0EhEEZNS1_24adjacent_difference_implIS3_Lb0ELb0EPKhPhN6thrust23THRUST_200600_302600_NS4plusIhEEEE10hipError_tPvRmT2_T3_mT4_P12ihipStream_tbEUlT_E_NS1_11comp_targetILNS1_3genE3ELNS1_11target_archE908ELNS1_3gpuE7ELNS1_3repE0EEENS1_30default_config_static_selectorELNS0_4arch9wavefront6targetE1EEEvT1_
	.globl	_ZN7rocprim17ROCPRIM_400000_NS6detail17trampoline_kernelINS0_14default_configENS1_35adjacent_difference_config_selectorILb0EhEEZNS1_24adjacent_difference_implIS3_Lb0ELb0EPKhPhN6thrust23THRUST_200600_302600_NS4plusIhEEEE10hipError_tPvRmT2_T3_mT4_P12ihipStream_tbEUlT_E_NS1_11comp_targetILNS1_3genE3ELNS1_11target_archE908ELNS1_3gpuE7ELNS1_3repE0EEENS1_30default_config_static_selectorELNS0_4arch9wavefront6targetE1EEEvT1_
	.p2align	8
	.type	_ZN7rocprim17ROCPRIM_400000_NS6detail17trampoline_kernelINS0_14default_configENS1_35adjacent_difference_config_selectorILb0EhEEZNS1_24adjacent_difference_implIS3_Lb0ELb0EPKhPhN6thrust23THRUST_200600_302600_NS4plusIhEEEE10hipError_tPvRmT2_T3_mT4_P12ihipStream_tbEUlT_E_NS1_11comp_targetILNS1_3genE3ELNS1_11target_archE908ELNS1_3gpuE7ELNS1_3repE0EEENS1_30default_config_static_selectorELNS0_4arch9wavefront6targetE1EEEvT1_,@function
_ZN7rocprim17ROCPRIM_400000_NS6detail17trampoline_kernelINS0_14default_configENS1_35adjacent_difference_config_selectorILb0EhEEZNS1_24adjacent_difference_implIS3_Lb0ELb0EPKhPhN6thrust23THRUST_200600_302600_NS4plusIhEEEE10hipError_tPvRmT2_T3_mT4_P12ihipStream_tbEUlT_E_NS1_11comp_targetILNS1_3genE3ELNS1_11target_archE908ELNS1_3gpuE7ELNS1_3repE0EEENS1_30default_config_static_selectorELNS0_4arch9wavefront6targetE1EEEvT1_: ; @_ZN7rocprim17ROCPRIM_400000_NS6detail17trampoline_kernelINS0_14default_configENS1_35adjacent_difference_config_selectorILb0EhEEZNS1_24adjacent_difference_implIS3_Lb0ELb0EPKhPhN6thrust23THRUST_200600_302600_NS4plusIhEEEE10hipError_tPvRmT2_T3_mT4_P12ihipStream_tbEUlT_E_NS1_11comp_targetILNS1_3genE3ELNS1_11target_archE908ELNS1_3gpuE7ELNS1_3repE0EEENS1_30default_config_static_selectorELNS0_4arch9wavefront6targetE1EEEvT1_
; %bb.0:
	.section	.rodata,"a",@progbits
	.p2align	6, 0x0
	.amdhsa_kernel _ZN7rocprim17ROCPRIM_400000_NS6detail17trampoline_kernelINS0_14default_configENS1_35adjacent_difference_config_selectorILb0EhEEZNS1_24adjacent_difference_implIS3_Lb0ELb0EPKhPhN6thrust23THRUST_200600_302600_NS4plusIhEEEE10hipError_tPvRmT2_T3_mT4_P12ihipStream_tbEUlT_E_NS1_11comp_targetILNS1_3genE3ELNS1_11target_archE908ELNS1_3gpuE7ELNS1_3repE0EEENS1_30default_config_static_selectorELNS0_4arch9wavefront6targetE1EEEvT1_
		.amdhsa_group_segment_fixed_size 0
		.amdhsa_private_segment_fixed_size 0
		.amdhsa_kernarg_size 56
		.amdhsa_user_sgpr_count 6
		.amdhsa_user_sgpr_private_segment_buffer 1
		.amdhsa_user_sgpr_dispatch_ptr 0
		.amdhsa_user_sgpr_queue_ptr 0
		.amdhsa_user_sgpr_kernarg_segment_ptr 1
		.amdhsa_user_sgpr_dispatch_id 0
		.amdhsa_user_sgpr_flat_scratch_init 0
		.amdhsa_user_sgpr_kernarg_preload_length 0
		.amdhsa_user_sgpr_kernarg_preload_offset 0
		.amdhsa_user_sgpr_private_segment_size 0
		.amdhsa_uses_dynamic_stack 0
		.amdhsa_system_sgpr_private_segment_wavefront_offset 0
		.amdhsa_system_sgpr_workgroup_id_x 1
		.amdhsa_system_sgpr_workgroup_id_y 0
		.amdhsa_system_sgpr_workgroup_id_z 0
		.amdhsa_system_sgpr_workgroup_info 0
		.amdhsa_system_vgpr_workitem_id 0
		.amdhsa_next_free_vgpr 1
		.amdhsa_next_free_sgpr 0
		.amdhsa_accum_offset 4
		.amdhsa_reserve_vcc 0
		.amdhsa_reserve_flat_scratch 0
		.amdhsa_float_round_mode_32 0
		.amdhsa_float_round_mode_16_64 0
		.amdhsa_float_denorm_mode_32 3
		.amdhsa_float_denorm_mode_16_64 3
		.amdhsa_dx10_clamp 1
		.amdhsa_ieee_mode 1
		.amdhsa_fp16_overflow 0
		.amdhsa_tg_split 0
		.amdhsa_exception_fp_ieee_invalid_op 0
		.amdhsa_exception_fp_denorm_src 0
		.amdhsa_exception_fp_ieee_div_zero 0
		.amdhsa_exception_fp_ieee_overflow 0
		.amdhsa_exception_fp_ieee_underflow 0
		.amdhsa_exception_fp_ieee_inexact 0
		.amdhsa_exception_int_div_zero 0
	.end_amdhsa_kernel
	.section	.text._ZN7rocprim17ROCPRIM_400000_NS6detail17trampoline_kernelINS0_14default_configENS1_35adjacent_difference_config_selectorILb0EhEEZNS1_24adjacent_difference_implIS3_Lb0ELb0EPKhPhN6thrust23THRUST_200600_302600_NS4plusIhEEEE10hipError_tPvRmT2_T3_mT4_P12ihipStream_tbEUlT_E_NS1_11comp_targetILNS1_3genE3ELNS1_11target_archE908ELNS1_3gpuE7ELNS1_3repE0EEENS1_30default_config_static_selectorELNS0_4arch9wavefront6targetE1EEEvT1_,"axG",@progbits,_ZN7rocprim17ROCPRIM_400000_NS6detail17trampoline_kernelINS0_14default_configENS1_35adjacent_difference_config_selectorILb0EhEEZNS1_24adjacent_difference_implIS3_Lb0ELb0EPKhPhN6thrust23THRUST_200600_302600_NS4plusIhEEEE10hipError_tPvRmT2_T3_mT4_P12ihipStream_tbEUlT_E_NS1_11comp_targetILNS1_3genE3ELNS1_11target_archE908ELNS1_3gpuE7ELNS1_3repE0EEENS1_30default_config_static_selectorELNS0_4arch9wavefront6targetE1EEEvT1_,comdat
.Lfunc_end495:
	.size	_ZN7rocprim17ROCPRIM_400000_NS6detail17trampoline_kernelINS0_14default_configENS1_35adjacent_difference_config_selectorILb0EhEEZNS1_24adjacent_difference_implIS3_Lb0ELb0EPKhPhN6thrust23THRUST_200600_302600_NS4plusIhEEEE10hipError_tPvRmT2_T3_mT4_P12ihipStream_tbEUlT_E_NS1_11comp_targetILNS1_3genE3ELNS1_11target_archE908ELNS1_3gpuE7ELNS1_3repE0EEENS1_30default_config_static_selectorELNS0_4arch9wavefront6targetE1EEEvT1_, .Lfunc_end495-_ZN7rocprim17ROCPRIM_400000_NS6detail17trampoline_kernelINS0_14default_configENS1_35adjacent_difference_config_selectorILb0EhEEZNS1_24adjacent_difference_implIS3_Lb0ELb0EPKhPhN6thrust23THRUST_200600_302600_NS4plusIhEEEE10hipError_tPvRmT2_T3_mT4_P12ihipStream_tbEUlT_E_NS1_11comp_targetILNS1_3genE3ELNS1_11target_archE908ELNS1_3gpuE7ELNS1_3repE0EEENS1_30default_config_static_selectorELNS0_4arch9wavefront6targetE1EEEvT1_
                                        ; -- End function
	.section	.AMDGPU.csdata,"",@progbits
; Kernel info:
; codeLenInByte = 0
; NumSgprs: 4
; NumVgprs: 0
; NumAgprs: 0
; TotalNumVgprs: 0
; ScratchSize: 0
; MemoryBound: 0
; FloatMode: 240
; IeeeMode: 1
; LDSByteSize: 0 bytes/workgroup (compile time only)
; SGPRBlocks: 0
; VGPRBlocks: 0
; NumSGPRsForWavesPerEU: 4
; NumVGPRsForWavesPerEU: 1
; AccumOffset: 4
; Occupancy: 8
; WaveLimiterHint : 0
; COMPUTE_PGM_RSRC2:SCRATCH_EN: 0
; COMPUTE_PGM_RSRC2:USER_SGPR: 6
; COMPUTE_PGM_RSRC2:TRAP_HANDLER: 0
; COMPUTE_PGM_RSRC2:TGID_X_EN: 1
; COMPUTE_PGM_RSRC2:TGID_Y_EN: 0
; COMPUTE_PGM_RSRC2:TGID_Z_EN: 0
; COMPUTE_PGM_RSRC2:TIDIG_COMP_CNT: 0
; COMPUTE_PGM_RSRC3_GFX90A:ACCUM_OFFSET: 0
; COMPUTE_PGM_RSRC3_GFX90A:TG_SPLIT: 0
	.section	.text._ZN7rocprim17ROCPRIM_400000_NS6detail17trampoline_kernelINS0_14default_configENS1_35adjacent_difference_config_selectorILb0EhEEZNS1_24adjacent_difference_implIS3_Lb0ELb0EPKhPhN6thrust23THRUST_200600_302600_NS4plusIhEEEE10hipError_tPvRmT2_T3_mT4_P12ihipStream_tbEUlT_E_NS1_11comp_targetILNS1_3genE2ELNS1_11target_archE906ELNS1_3gpuE6ELNS1_3repE0EEENS1_30default_config_static_selectorELNS0_4arch9wavefront6targetE1EEEvT1_,"axG",@progbits,_ZN7rocprim17ROCPRIM_400000_NS6detail17trampoline_kernelINS0_14default_configENS1_35adjacent_difference_config_selectorILb0EhEEZNS1_24adjacent_difference_implIS3_Lb0ELb0EPKhPhN6thrust23THRUST_200600_302600_NS4plusIhEEEE10hipError_tPvRmT2_T3_mT4_P12ihipStream_tbEUlT_E_NS1_11comp_targetILNS1_3genE2ELNS1_11target_archE906ELNS1_3gpuE6ELNS1_3repE0EEENS1_30default_config_static_selectorELNS0_4arch9wavefront6targetE1EEEvT1_,comdat
	.protected	_ZN7rocprim17ROCPRIM_400000_NS6detail17trampoline_kernelINS0_14default_configENS1_35adjacent_difference_config_selectorILb0EhEEZNS1_24adjacent_difference_implIS3_Lb0ELb0EPKhPhN6thrust23THRUST_200600_302600_NS4plusIhEEEE10hipError_tPvRmT2_T3_mT4_P12ihipStream_tbEUlT_E_NS1_11comp_targetILNS1_3genE2ELNS1_11target_archE906ELNS1_3gpuE6ELNS1_3repE0EEENS1_30default_config_static_selectorELNS0_4arch9wavefront6targetE1EEEvT1_ ; -- Begin function _ZN7rocprim17ROCPRIM_400000_NS6detail17trampoline_kernelINS0_14default_configENS1_35adjacent_difference_config_selectorILb0EhEEZNS1_24adjacent_difference_implIS3_Lb0ELb0EPKhPhN6thrust23THRUST_200600_302600_NS4plusIhEEEE10hipError_tPvRmT2_T3_mT4_P12ihipStream_tbEUlT_E_NS1_11comp_targetILNS1_3genE2ELNS1_11target_archE906ELNS1_3gpuE6ELNS1_3repE0EEENS1_30default_config_static_selectorELNS0_4arch9wavefront6targetE1EEEvT1_
	.globl	_ZN7rocprim17ROCPRIM_400000_NS6detail17trampoline_kernelINS0_14default_configENS1_35adjacent_difference_config_selectorILb0EhEEZNS1_24adjacent_difference_implIS3_Lb0ELb0EPKhPhN6thrust23THRUST_200600_302600_NS4plusIhEEEE10hipError_tPvRmT2_T3_mT4_P12ihipStream_tbEUlT_E_NS1_11comp_targetILNS1_3genE2ELNS1_11target_archE906ELNS1_3gpuE6ELNS1_3repE0EEENS1_30default_config_static_selectorELNS0_4arch9wavefront6targetE1EEEvT1_
	.p2align	8
	.type	_ZN7rocprim17ROCPRIM_400000_NS6detail17trampoline_kernelINS0_14default_configENS1_35adjacent_difference_config_selectorILb0EhEEZNS1_24adjacent_difference_implIS3_Lb0ELb0EPKhPhN6thrust23THRUST_200600_302600_NS4plusIhEEEE10hipError_tPvRmT2_T3_mT4_P12ihipStream_tbEUlT_E_NS1_11comp_targetILNS1_3genE2ELNS1_11target_archE906ELNS1_3gpuE6ELNS1_3repE0EEENS1_30default_config_static_selectorELNS0_4arch9wavefront6targetE1EEEvT1_,@function
_ZN7rocprim17ROCPRIM_400000_NS6detail17trampoline_kernelINS0_14default_configENS1_35adjacent_difference_config_selectorILb0EhEEZNS1_24adjacent_difference_implIS3_Lb0ELb0EPKhPhN6thrust23THRUST_200600_302600_NS4plusIhEEEE10hipError_tPvRmT2_T3_mT4_P12ihipStream_tbEUlT_E_NS1_11comp_targetILNS1_3genE2ELNS1_11target_archE906ELNS1_3gpuE6ELNS1_3repE0EEENS1_30default_config_static_selectorELNS0_4arch9wavefront6targetE1EEEvT1_: ; @_ZN7rocprim17ROCPRIM_400000_NS6detail17trampoline_kernelINS0_14default_configENS1_35adjacent_difference_config_selectorILb0EhEEZNS1_24adjacent_difference_implIS3_Lb0ELb0EPKhPhN6thrust23THRUST_200600_302600_NS4plusIhEEEE10hipError_tPvRmT2_T3_mT4_P12ihipStream_tbEUlT_E_NS1_11comp_targetILNS1_3genE2ELNS1_11target_archE906ELNS1_3gpuE6ELNS1_3repE0EEENS1_30default_config_static_selectorELNS0_4arch9wavefront6targetE1EEEvT1_
; %bb.0:
	.section	.rodata,"a",@progbits
	.p2align	6, 0x0
	.amdhsa_kernel _ZN7rocprim17ROCPRIM_400000_NS6detail17trampoline_kernelINS0_14default_configENS1_35adjacent_difference_config_selectorILb0EhEEZNS1_24adjacent_difference_implIS3_Lb0ELb0EPKhPhN6thrust23THRUST_200600_302600_NS4plusIhEEEE10hipError_tPvRmT2_T3_mT4_P12ihipStream_tbEUlT_E_NS1_11comp_targetILNS1_3genE2ELNS1_11target_archE906ELNS1_3gpuE6ELNS1_3repE0EEENS1_30default_config_static_selectorELNS0_4arch9wavefront6targetE1EEEvT1_
		.amdhsa_group_segment_fixed_size 0
		.amdhsa_private_segment_fixed_size 0
		.amdhsa_kernarg_size 56
		.amdhsa_user_sgpr_count 6
		.amdhsa_user_sgpr_private_segment_buffer 1
		.amdhsa_user_sgpr_dispatch_ptr 0
		.amdhsa_user_sgpr_queue_ptr 0
		.amdhsa_user_sgpr_kernarg_segment_ptr 1
		.amdhsa_user_sgpr_dispatch_id 0
		.amdhsa_user_sgpr_flat_scratch_init 0
		.amdhsa_user_sgpr_kernarg_preload_length 0
		.amdhsa_user_sgpr_kernarg_preload_offset 0
		.amdhsa_user_sgpr_private_segment_size 0
		.amdhsa_uses_dynamic_stack 0
		.amdhsa_system_sgpr_private_segment_wavefront_offset 0
		.amdhsa_system_sgpr_workgroup_id_x 1
		.amdhsa_system_sgpr_workgroup_id_y 0
		.amdhsa_system_sgpr_workgroup_id_z 0
		.amdhsa_system_sgpr_workgroup_info 0
		.amdhsa_system_vgpr_workitem_id 0
		.amdhsa_next_free_vgpr 1
		.amdhsa_next_free_sgpr 0
		.amdhsa_accum_offset 4
		.amdhsa_reserve_vcc 0
		.amdhsa_reserve_flat_scratch 0
		.amdhsa_float_round_mode_32 0
		.amdhsa_float_round_mode_16_64 0
		.amdhsa_float_denorm_mode_32 3
		.amdhsa_float_denorm_mode_16_64 3
		.amdhsa_dx10_clamp 1
		.amdhsa_ieee_mode 1
		.amdhsa_fp16_overflow 0
		.amdhsa_tg_split 0
		.amdhsa_exception_fp_ieee_invalid_op 0
		.amdhsa_exception_fp_denorm_src 0
		.amdhsa_exception_fp_ieee_div_zero 0
		.amdhsa_exception_fp_ieee_overflow 0
		.amdhsa_exception_fp_ieee_underflow 0
		.amdhsa_exception_fp_ieee_inexact 0
		.amdhsa_exception_int_div_zero 0
	.end_amdhsa_kernel
	.section	.text._ZN7rocprim17ROCPRIM_400000_NS6detail17trampoline_kernelINS0_14default_configENS1_35adjacent_difference_config_selectorILb0EhEEZNS1_24adjacent_difference_implIS3_Lb0ELb0EPKhPhN6thrust23THRUST_200600_302600_NS4plusIhEEEE10hipError_tPvRmT2_T3_mT4_P12ihipStream_tbEUlT_E_NS1_11comp_targetILNS1_3genE2ELNS1_11target_archE906ELNS1_3gpuE6ELNS1_3repE0EEENS1_30default_config_static_selectorELNS0_4arch9wavefront6targetE1EEEvT1_,"axG",@progbits,_ZN7rocprim17ROCPRIM_400000_NS6detail17trampoline_kernelINS0_14default_configENS1_35adjacent_difference_config_selectorILb0EhEEZNS1_24adjacent_difference_implIS3_Lb0ELb0EPKhPhN6thrust23THRUST_200600_302600_NS4plusIhEEEE10hipError_tPvRmT2_T3_mT4_P12ihipStream_tbEUlT_E_NS1_11comp_targetILNS1_3genE2ELNS1_11target_archE906ELNS1_3gpuE6ELNS1_3repE0EEENS1_30default_config_static_selectorELNS0_4arch9wavefront6targetE1EEEvT1_,comdat
.Lfunc_end496:
	.size	_ZN7rocprim17ROCPRIM_400000_NS6detail17trampoline_kernelINS0_14default_configENS1_35adjacent_difference_config_selectorILb0EhEEZNS1_24adjacent_difference_implIS3_Lb0ELb0EPKhPhN6thrust23THRUST_200600_302600_NS4plusIhEEEE10hipError_tPvRmT2_T3_mT4_P12ihipStream_tbEUlT_E_NS1_11comp_targetILNS1_3genE2ELNS1_11target_archE906ELNS1_3gpuE6ELNS1_3repE0EEENS1_30default_config_static_selectorELNS0_4arch9wavefront6targetE1EEEvT1_, .Lfunc_end496-_ZN7rocprim17ROCPRIM_400000_NS6detail17trampoline_kernelINS0_14default_configENS1_35adjacent_difference_config_selectorILb0EhEEZNS1_24adjacent_difference_implIS3_Lb0ELb0EPKhPhN6thrust23THRUST_200600_302600_NS4plusIhEEEE10hipError_tPvRmT2_T3_mT4_P12ihipStream_tbEUlT_E_NS1_11comp_targetILNS1_3genE2ELNS1_11target_archE906ELNS1_3gpuE6ELNS1_3repE0EEENS1_30default_config_static_selectorELNS0_4arch9wavefront6targetE1EEEvT1_
                                        ; -- End function
	.section	.AMDGPU.csdata,"",@progbits
; Kernel info:
; codeLenInByte = 0
; NumSgprs: 4
; NumVgprs: 0
; NumAgprs: 0
; TotalNumVgprs: 0
; ScratchSize: 0
; MemoryBound: 0
; FloatMode: 240
; IeeeMode: 1
; LDSByteSize: 0 bytes/workgroup (compile time only)
; SGPRBlocks: 0
; VGPRBlocks: 0
; NumSGPRsForWavesPerEU: 4
; NumVGPRsForWavesPerEU: 1
; AccumOffset: 4
; Occupancy: 8
; WaveLimiterHint : 0
; COMPUTE_PGM_RSRC2:SCRATCH_EN: 0
; COMPUTE_PGM_RSRC2:USER_SGPR: 6
; COMPUTE_PGM_RSRC2:TRAP_HANDLER: 0
; COMPUTE_PGM_RSRC2:TGID_X_EN: 1
; COMPUTE_PGM_RSRC2:TGID_Y_EN: 0
; COMPUTE_PGM_RSRC2:TGID_Z_EN: 0
; COMPUTE_PGM_RSRC2:TIDIG_COMP_CNT: 0
; COMPUTE_PGM_RSRC3_GFX90A:ACCUM_OFFSET: 0
; COMPUTE_PGM_RSRC3_GFX90A:TG_SPLIT: 0
	.section	.text._ZN7rocprim17ROCPRIM_400000_NS6detail17trampoline_kernelINS0_14default_configENS1_35adjacent_difference_config_selectorILb0EhEEZNS1_24adjacent_difference_implIS3_Lb0ELb0EPKhPhN6thrust23THRUST_200600_302600_NS4plusIhEEEE10hipError_tPvRmT2_T3_mT4_P12ihipStream_tbEUlT_E_NS1_11comp_targetILNS1_3genE9ELNS1_11target_archE1100ELNS1_3gpuE3ELNS1_3repE0EEENS1_30default_config_static_selectorELNS0_4arch9wavefront6targetE1EEEvT1_,"axG",@progbits,_ZN7rocprim17ROCPRIM_400000_NS6detail17trampoline_kernelINS0_14default_configENS1_35adjacent_difference_config_selectorILb0EhEEZNS1_24adjacent_difference_implIS3_Lb0ELb0EPKhPhN6thrust23THRUST_200600_302600_NS4plusIhEEEE10hipError_tPvRmT2_T3_mT4_P12ihipStream_tbEUlT_E_NS1_11comp_targetILNS1_3genE9ELNS1_11target_archE1100ELNS1_3gpuE3ELNS1_3repE0EEENS1_30default_config_static_selectorELNS0_4arch9wavefront6targetE1EEEvT1_,comdat
	.protected	_ZN7rocprim17ROCPRIM_400000_NS6detail17trampoline_kernelINS0_14default_configENS1_35adjacent_difference_config_selectorILb0EhEEZNS1_24adjacent_difference_implIS3_Lb0ELb0EPKhPhN6thrust23THRUST_200600_302600_NS4plusIhEEEE10hipError_tPvRmT2_T3_mT4_P12ihipStream_tbEUlT_E_NS1_11comp_targetILNS1_3genE9ELNS1_11target_archE1100ELNS1_3gpuE3ELNS1_3repE0EEENS1_30default_config_static_selectorELNS0_4arch9wavefront6targetE1EEEvT1_ ; -- Begin function _ZN7rocprim17ROCPRIM_400000_NS6detail17trampoline_kernelINS0_14default_configENS1_35adjacent_difference_config_selectorILb0EhEEZNS1_24adjacent_difference_implIS3_Lb0ELb0EPKhPhN6thrust23THRUST_200600_302600_NS4plusIhEEEE10hipError_tPvRmT2_T3_mT4_P12ihipStream_tbEUlT_E_NS1_11comp_targetILNS1_3genE9ELNS1_11target_archE1100ELNS1_3gpuE3ELNS1_3repE0EEENS1_30default_config_static_selectorELNS0_4arch9wavefront6targetE1EEEvT1_
	.globl	_ZN7rocprim17ROCPRIM_400000_NS6detail17trampoline_kernelINS0_14default_configENS1_35adjacent_difference_config_selectorILb0EhEEZNS1_24adjacent_difference_implIS3_Lb0ELb0EPKhPhN6thrust23THRUST_200600_302600_NS4plusIhEEEE10hipError_tPvRmT2_T3_mT4_P12ihipStream_tbEUlT_E_NS1_11comp_targetILNS1_3genE9ELNS1_11target_archE1100ELNS1_3gpuE3ELNS1_3repE0EEENS1_30default_config_static_selectorELNS0_4arch9wavefront6targetE1EEEvT1_
	.p2align	8
	.type	_ZN7rocprim17ROCPRIM_400000_NS6detail17trampoline_kernelINS0_14default_configENS1_35adjacent_difference_config_selectorILb0EhEEZNS1_24adjacent_difference_implIS3_Lb0ELb0EPKhPhN6thrust23THRUST_200600_302600_NS4plusIhEEEE10hipError_tPvRmT2_T3_mT4_P12ihipStream_tbEUlT_E_NS1_11comp_targetILNS1_3genE9ELNS1_11target_archE1100ELNS1_3gpuE3ELNS1_3repE0EEENS1_30default_config_static_selectorELNS0_4arch9wavefront6targetE1EEEvT1_,@function
_ZN7rocprim17ROCPRIM_400000_NS6detail17trampoline_kernelINS0_14default_configENS1_35adjacent_difference_config_selectorILb0EhEEZNS1_24adjacent_difference_implIS3_Lb0ELb0EPKhPhN6thrust23THRUST_200600_302600_NS4plusIhEEEE10hipError_tPvRmT2_T3_mT4_P12ihipStream_tbEUlT_E_NS1_11comp_targetILNS1_3genE9ELNS1_11target_archE1100ELNS1_3gpuE3ELNS1_3repE0EEENS1_30default_config_static_selectorELNS0_4arch9wavefront6targetE1EEEvT1_: ; @_ZN7rocprim17ROCPRIM_400000_NS6detail17trampoline_kernelINS0_14default_configENS1_35adjacent_difference_config_selectorILb0EhEEZNS1_24adjacent_difference_implIS3_Lb0ELb0EPKhPhN6thrust23THRUST_200600_302600_NS4plusIhEEEE10hipError_tPvRmT2_T3_mT4_P12ihipStream_tbEUlT_E_NS1_11comp_targetILNS1_3genE9ELNS1_11target_archE1100ELNS1_3gpuE3ELNS1_3repE0EEENS1_30default_config_static_selectorELNS0_4arch9wavefront6targetE1EEEvT1_
; %bb.0:
	.section	.rodata,"a",@progbits
	.p2align	6, 0x0
	.amdhsa_kernel _ZN7rocprim17ROCPRIM_400000_NS6detail17trampoline_kernelINS0_14default_configENS1_35adjacent_difference_config_selectorILb0EhEEZNS1_24adjacent_difference_implIS3_Lb0ELb0EPKhPhN6thrust23THRUST_200600_302600_NS4plusIhEEEE10hipError_tPvRmT2_T3_mT4_P12ihipStream_tbEUlT_E_NS1_11comp_targetILNS1_3genE9ELNS1_11target_archE1100ELNS1_3gpuE3ELNS1_3repE0EEENS1_30default_config_static_selectorELNS0_4arch9wavefront6targetE1EEEvT1_
		.amdhsa_group_segment_fixed_size 0
		.amdhsa_private_segment_fixed_size 0
		.amdhsa_kernarg_size 56
		.amdhsa_user_sgpr_count 6
		.amdhsa_user_sgpr_private_segment_buffer 1
		.amdhsa_user_sgpr_dispatch_ptr 0
		.amdhsa_user_sgpr_queue_ptr 0
		.amdhsa_user_sgpr_kernarg_segment_ptr 1
		.amdhsa_user_sgpr_dispatch_id 0
		.amdhsa_user_sgpr_flat_scratch_init 0
		.amdhsa_user_sgpr_kernarg_preload_length 0
		.amdhsa_user_sgpr_kernarg_preload_offset 0
		.amdhsa_user_sgpr_private_segment_size 0
		.amdhsa_uses_dynamic_stack 0
		.amdhsa_system_sgpr_private_segment_wavefront_offset 0
		.amdhsa_system_sgpr_workgroup_id_x 1
		.amdhsa_system_sgpr_workgroup_id_y 0
		.amdhsa_system_sgpr_workgroup_id_z 0
		.amdhsa_system_sgpr_workgroup_info 0
		.amdhsa_system_vgpr_workitem_id 0
		.amdhsa_next_free_vgpr 1
		.amdhsa_next_free_sgpr 0
		.amdhsa_accum_offset 4
		.amdhsa_reserve_vcc 0
		.amdhsa_reserve_flat_scratch 0
		.amdhsa_float_round_mode_32 0
		.amdhsa_float_round_mode_16_64 0
		.amdhsa_float_denorm_mode_32 3
		.amdhsa_float_denorm_mode_16_64 3
		.amdhsa_dx10_clamp 1
		.amdhsa_ieee_mode 1
		.amdhsa_fp16_overflow 0
		.amdhsa_tg_split 0
		.amdhsa_exception_fp_ieee_invalid_op 0
		.amdhsa_exception_fp_denorm_src 0
		.amdhsa_exception_fp_ieee_div_zero 0
		.amdhsa_exception_fp_ieee_overflow 0
		.amdhsa_exception_fp_ieee_underflow 0
		.amdhsa_exception_fp_ieee_inexact 0
		.amdhsa_exception_int_div_zero 0
	.end_amdhsa_kernel
	.section	.text._ZN7rocprim17ROCPRIM_400000_NS6detail17trampoline_kernelINS0_14default_configENS1_35adjacent_difference_config_selectorILb0EhEEZNS1_24adjacent_difference_implIS3_Lb0ELb0EPKhPhN6thrust23THRUST_200600_302600_NS4plusIhEEEE10hipError_tPvRmT2_T3_mT4_P12ihipStream_tbEUlT_E_NS1_11comp_targetILNS1_3genE9ELNS1_11target_archE1100ELNS1_3gpuE3ELNS1_3repE0EEENS1_30default_config_static_selectorELNS0_4arch9wavefront6targetE1EEEvT1_,"axG",@progbits,_ZN7rocprim17ROCPRIM_400000_NS6detail17trampoline_kernelINS0_14default_configENS1_35adjacent_difference_config_selectorILb0EhEEZNS1_24adjacent_difference_implIS3_Lb0ELb0EPKhPhN6thrust23THRUST_200600_302600_NS4plusIhEEEE10hipError_tPvRmT2_T3_mT4_P12ihipStream_tbEUlT_E_NS1_11comp_targetILNS1_3genE9ELNS1_11target_archE1100ELNS1_3gpuE3ELNS1_3repE0EEENS1_30default_config_static_selectorELNS0_4arch9wavefront6targetE1EEEvT1_,comdat
.Lfunc_end497:
	.size	_ZN7rocprim17ROCPRIM_400000_NS6detail17trampoline_kernelINS0_14default_configENS1_35adjacent_difference_config_selectorILb0EhEEZNS1_24adjacent_difference_implIS3_Lb0ELb0EPKhPhN6thrust23THRUST_200600_302600_NS4plusIhEEEE10hipError_tPvRmT2_T3_mT4_P12ihipStream_tbEUlT_E_NS1_11comp_targetILNS1_3genE9ELNS1_11target_archE1100ELNS1_3gpuE3ELNS1_3repE0EEENS1_30default_config_static_selectorELNS0_4arch9wavefront6targetE1EEEvT1_, .Lfunc_end497-_ZN7rocprim17ROCPRIM_400000_NS6detail17trampoline_kernelINS0_14default_configENS1_35adjacent_difference_config_selectorILb0EhEEZNS1_24adjacent_difference_implIS3_Lb0ELb0EPKhPhN6thrust23THRUST_200600_302600_NS4plusIhEEEE10hipError_tPvRmT2_T3_mT4_P12ihipStream_tbEUlT_E_NS1_11comp_targetILNS1_3genE9ELNS1_11target_archE1100ELNS1_3gpuE3ELNS1_3repE0EEENS1_30default_config_static_selectorELNS0_4arch9wavefront6targetE1EEEvT1_
                                        ; -- End function
	.section	.AMDGPU.csdata,"",@progbits
; Kernel info:
; codeLenInByte = 0
; NumSgprs: 4
; NumVgprs: 0
; NumAgprs: 0
; TotalNumVgprs: 0
; ScratchSize: 0
; MemoryBound: 0
; FloatMode: 240
; IeeeMode: 1
; LDSByteSize: 0 bytes/workgroup (compile time only)
; SGPRBlocks: 0
; VGPRBlocks: 0
; NumSGPRsForWavesPerEU: 4
; NumVGPRsForWavesPerEU: 1
; AccumOffset: 4
; Occupancy: 8
; WaveLimiterHint : 0
; COMPUTE_PGM_RSRC2:SCRATCH_EN: 0
; COMPUTE_PGM_RSRC2:USER_SGPR: 6
; COMPUTE_PGM_RSRC2:TRAP_HANDLER: 0
; COMPUTE_PGM_RSRC2:TGID_X_EN: 1
; COMPUTE_PGM_RSRC2:TGID_Y_EN: 0
; COMPUTE_PGM_RSRC2:TGID_Z_EN: 0
; COMPUTE_PGM_RSRC2:TIDIG_COMP_CNT: 0
; COMPUTE_PGM_RSRC3_GFX90A:ACCUM_OFFSET: 0
; COMPUTE_PGM_RSRC3_GFX90A:TG_SPLIT: 0
	.section	.text._ZN7rocprim17ROCPRIM_400000_NS6detail17trampoline_kernelINS0_14default_configENS1_35adjacent_difference_config_selectorILb0EhEEZNS1_24adjacent_difference_implIS3_Lb0ELb0EPKhPhN6thrust23THRUST_200600_302600_NS4plusIhEEEE10hipError_tPvRmT2_T3_mT4_P12ihipStream_tbEUlT_E_NS1_11comp_targetILNS1_3genE8ELNS1_11target_archE1030ELNS1_3gpuE2ELNS1_3repE0EEENS1_30default_config_static_selectorELNS0_4arch9wavefront6targetE1EEEvT1_,"axG",@progbits,_ZN7rocprim17ROCPRIM_400000_NS6detail17trampoline_kernelINS0_14default_configENS1_35adjacent_difference_config_selectorILb0EhEEZNS1_24adjacent_difference_implIS3_Lb0ELb0EPKhPhN6thrust23THRUST_200600_302600_NS4plusIhEEEE10hipError_tPvRmT2_T3_mT4_P12ihipStream_tbEUlT_E_NS1_11comp_targetILNS1_3genE8ELNS1_11target_archE1030ELNS1_3gpuE2ELNS1_3repE0EEENS1_30default_config_static_selectorELNS0_4arch9wavefront6targetE1EEEvT1_,comdat
	.protected	_ZN7rocprim17ROCPRIM_400000_NS6detail17trampoline_kernelINS0_14default_configENS1_35adjacent_difference_config_selectorILb0EhEEZNS1_24adjacent_difference_implIS3_Lb0ELb0EPKhPhN6thrust23THRUST_200600_302600_NS4plusIhEEEE10hipError_tPvRmT2_T3_mT4_P12ihipStream_tbEUlT_E_NS1_11comp_targetILNS1_3genE8ELNS1_11target_archE1030ELNS1_3gpuE2ELNS1_3repE0EEENS1_30default_config_static_selectorELNS0_4arch9wavefront6targetE1EEEvT1_ ; -- Begin function _ZN7rocprim17ROCPRIM_400000_NS6detail17trampoline_kernelINS0_14default_configENS1_35adjacent_difference_config_selectorILb0EhEEZNS1_24adjacent_difference_implIS3_Lb0ELb0EPKhPhN6thrust23THRUST_200600_302600_NS4plusIhEEEE10hipError_tPvRmT2_T3_mT4_P12ihipStream_tbEUlT_E_NS1_11comp_targetILNS1_3genE8ELNS1_11target_archE1030ELNS1_3gpuE2ELNS1_3repE0EEENS1_30default_config_static_selectorELNS0_4arch9wavefront6targetE1EEEvT1_
	.globl	_ZN7rocprim17ROCPRIM_400000_NS6detail17trampoline_kernelINS0_14default_configENS1_35adjacent_difference_config_selectorILb0EhEEZNS1_24adjacent_difference_implIS3_Lb0ELb0EPKhPhN6thrust23THRUST_200600_302600_NS4plusIhEEEE10hipError_tPvRmT2_T3_mT4_P12ihipStream_tbEUlT_E_NS1_11comp_targetILNS1_3genE8ELNS1_11target_archE1030ELNS1_3gpuE2ELNS1_3repE0EEENS1_30default_config_static_selectorELNS0_4arch9wavefront6targetE1EEEvT1_
	.p2align	8
	.type	_ZN7rocprim17ROCPRIM_400000_NS6detail17trampoline_kernelINS0_14default_configENS1_35adjacent_difference_config_selectorILb0EhEEZNS1_24adjacent_difference_implIS3_Lb0ELb0EPKhPhN6thrust23THRUST_200600_302600_NS4plusIhEEEE10hipError_tPvRmT2_T3_mT4_P12ihipStream_tbEUlT_E_NS1_11comp_targetILNS1_3genE8ELNS1_11target_archE1030ELNS1_3gpuE2ELNS1_3repE0EEENS1_30default_config_static_selectorELNS0_4arch9wavefront6targetE1EEEvT1_,@function
_ZN7rocprim17ROCPRIM_400000_NS6detail17trampoline_kernelINS0_14default_configENS1_35adjacent_difference_config_selectorILb0EhEEZNS1_24adjacent_difference_implIS3_Lb0ELb0EPKhPhN6thrust23THRUST_200600_302600_NS4plusIhEEEE10hipError_tPvRmT2_T3_mT4_P12ihipStream_tbEUlT_E_NS1_11comp_targetILNS1_3genE8ELNS1_11target_archE1030ELNS1_3gpuE2ELNS1_3repE0EEENS1_30default_config_static_selectorELNS0_4arch9wavefront6targetE1EEEvT1_: ; @_ZN7rocprim17ROCPRIM_400000_NS6detail17trampoline_kernelINS0_14default_configENS1_35adjacent_difference_config_selectorILb0EhEEZNS1_24adjacent_difference_implIS3_Lb0ELb0EPKhPhN6thrust23THRUST_200600_302600_NS4plusIhEEEE10hipError_tPvRmT2_T3_mT4_P12ihipStream_tbEUlT_E_NS1_11comp_targetILNS1_3genE8ELNS1_11target_archE1030ELNS1_3gpuE2ELNS1_3repE0EEENS1_30default_config_static_selectorELNS0_4arch9wavefront6targetE1EEEvT1_
; %bb.0:
	.section	.rodata,"a",@progbits
	.p2align	6, 0x0
	.amdhsa_kernel _ZN7rocprim17ROCPRIM_400000_NS6detail17trampoline_kernelINS0_14default_configENS1_35adjacent_difference_config_selectorILb0EhEEZNS1_24adjacent_difference_implIS3_Lb0ELb0EPKhPhN6thrust23THRUST_200600_302600_NS4plusIhEEEE10hipError_tPvRmT2_T3_mT4_P12ihipStream_tbEUlT_E_NS1_11comp_targetILNS1_3genE8ELNS1_11target_archE1030ELNS1_3gpuE2ELNS1_3repE0EEENS1_30default_config_static_selectorELNS0_4arch9wavefront6targetE1EEEvT1_
		.amdhsa_group_segment_fixed_size 0
		.amdhsa_private_segment_fixed_size 0
		.amdhsa_kernarg_size 56
		.amdhsa_user_sgpr_count 6
		.amdhsa_user_sgpr_private_segment_buffer 1
		.amdhsa_user_sgpr_dispatch_ptr 0
		.amdhsa_user_sgpr_queue_ptr 0
		.amdhsa_user_sgpr_kernarg_segment_ptr 1
		.amdhsa_user_sgpr_dispatch_id 0
		.amdhsa_user_sgpr_flat_scratch_init 0
		.amdhsa_user_sgpr_kernarg_preload_length 0
		.amdhsa_user_sgpr_kernarg_preload_offset 0
		.amdhsa_user_sgpr_private_segment_size 0
		.amdhsa_uses_dynamic_stack 0
		.amdhsa_system_sgpr_private_segment_wavefront_offset 0
		.amdhsa_system_sgpr_workgroup_id_x 1
		.amdhsa_system_sgpr_workgroup_id_y 0
		.amdhsa_system_sgpr_workgroup_id_z 0
		.amdhsa_system_sgpr_workgroup_info 0
		.amdhsa_system_vgpr_workitem_id 0
		.amdhsa_next_free_vgpr 1
		.amdhsa_next_free_sgpr 0
		.amdhsa_accum_offset 4
		.amdhsa_reserve_vcc 0
		.amdhsa_reserve_flat_scratch 0
		.amdhsa_float_round_mode_32 0
		.amdhsa_float_round_mode_16_64 0
		.amdhsa_float_denorm_mode_32 3
		.amdhsa_float_denorm_mode_16_64 3
		.amdhsa_dx10_clamp 1
		.amdhsa_ieee_mode 1
		.amdhsa_fp16_overflow 0
		.amdhsa_tg_split 0
		.amdhsa_exception_fp_ieee_invalid_op 0
		.amdhsa_exception_fp_denorm_src 0
		.amdhsa_exception_fp_ieee_div_zero 0
		.amdhsa_exception_fp_ieee_overflow 0
		.amdhsa_exception_fp_ieee_underflow 0
		.amdhsa_exception_fp_ieee_inexact 0
		.amdhsa_exception_int_div_zero 0
	.end_amdhsa_kernel
	.section	.text._ZN7rocprim17ROCPRIM_400000_NS6detail17trampoline_kernelINS0_14default_configENS1_35adjacent_difference_config_selectorILb0EhEEZNS1_24adjacent_difference_implIS3_Lb0ELb0EPKhPhN6thrust23THRUST_200600_302600_NS4plusIhEEEE10hipError_tPvRmT2_T3_mT4_P12ihipStream_tbEUlT_E_NS1_11comp_targetILNS1_3genE8ELNS1_11target_archE1030ELNS1_3gpuE2ELNS1_3repE0EEENS1_30default_config_static_selectorELNS0_4arch9wavefront6targetE1EEEvT1_,"axG",@progbits,_ZN7rocprim17ROCPRIM_400000_NS6detail17trampoline_kernelINS0_14default_configENS1_35adjacent_difference_config_selectorILb0EhEEZNS1_24adjacent_difference_implIS3_Lb0ELb0EPKhPhN6thrust23THRUST_200600_302600_NS4plusIhEEEE10hipError_tPvRmT2_T3_mT4_P12ihipStream_tbEUlT_E_NS1_11comp_targetILNS1_3genE8ELNS1_11target_archE1030ELNS1_3gpuE2ELNS1_3repE0EEENS1_30default_config_static_selectorELNS0_4arch9wavefront6targetE1EEEvT1_,comdat
.Lfunc_end498:
	.size	_ZN7rocprim17ROCPRIM_400000_NS6detail17trampoline_kernelINS0_14default_configENS1_35adjacent_difference_config_selectorILb0EhEEZNS1_24adjacent_difference_implIS3_Lb0ELb0EPKhPhN6thrust23THRUST_200600_302600_NS4plusIhEEEE10hipError_tPvRmT2_T3_mT4_P12ihipStream_tbEUlT_E_NS1_11comp_targetILNS1_3genE8ELNS1_11target_archE1030ELNS1_3gpuE2ELNS1_3repE0EEENS1_30default_config_static_selectorELNS0_4arch9wavefront6targetE1EEEvT1_, .Lfunc_end498-_ZN7rocprim17ROCPRIM_400000_NS6detail17trampoline_kernelINS0_14default_configENS1_35adjacent_difference_config_selectorILb0EhEEZNS1_24adjacent_difference_implIS3_Lb0ELb0EPKhPhN6thrust23THRUST_200600_302600_NS4plusIhEEEE10hipError_tPvRmT2_T3_mT4_P12ihipStream_tbEUlT_E_NS1_11comp_targetILNS1_3genE8ELNS1_11target_archE1030ELNS1_3gpuE2ELNS1_3repE0EEENS1_30default_config_static_selectorELNS0_4arch9wavefront6targetE1EEEvT1_
                                        ; -- End function
	.section	.AMDGPU.csdata,"",@progbits
; Kernel info:
; codeLenInByte = 0
; NumSgprs: 4
; NumVgprs: 0
; NumAgprs: 0
; TotalNumVgprs: 0
; ScratchSize: 0
; MemoryBound: 0
; FloatMode: 240
; IeeeMode: 1
; LDSByteSize: 0 bytes/workgroup (compile time only)
; SGPRBlocks: 0
; VGPRBlocks: 0
; NumSGPRsForWavesPerEU: 4
; NumVGPRsForWavesPerEU: 1
; AccumOffset: 4
; Occupancy: 8
; WaveLimiterHint : 0
; COMPUTE_PGM_RSRC2:SCRATCH_EN: 0
; COMPUTE_PGM_RSRC2:USER_SGPR: 6
; COMPUTE_PGM_RSRC2:TRAP_HANDLER: 0
; COMPUTE_PGM_RSRC2:TGID_X_EN: 1
; COMPUTE_PGM_RSRC2:TGID_Y_EN: 0
; COMPUTE_PGM_RSRC2:TGID_Z_EN: 0
; COMPUTE_PGM_RSRC2:TIDIG_COMP_CNT: 0
; COMPUTE_PGM_RSRC3_GFX90A:ACCUM_OFFSET: 0
; COMPUTE_PGM_RSRC3_GFX90A:TG_SPLIT: 0
	.section	.text._ZN7rocprim17ROCPRIM_400000_NS6detail17trampoline_kernelINS0_14default_configENS1_25transform_config_selectorIhLb0EEEZNS1_14transform_implILb0ES3_S5_NS0_18transform_iteratorINS0_17counting_iteratorImlEEZNS1_24adjacent_difference_implIS3_Lb1ELb0EPKhPhN6thrust23THRUST_200600_302600_NS4plusIhEEEE10hipError_tPvRmT2_T3_mT4_P12ihipStream_tbEUlmE_hEESD_NS0_8identityIvEEEESI_SL_SM_mSN_SP_bEUlT_E_NS1_11comp_targetILNS1_3genE0ELNS1_11target_archE4294967295ELNS1_3gpuE0ELNS1_3repE0EEENS1_30default_config_static_selectorELNS0_4arch9wavefront6targetE1EEEvT1_,"axG",@progbits,_ZN7rocprim17ROCPRIM_400000_NS6detail17trampoline_kernelINS0_14default_configENS1_25transform_config_selectorIhLb0EEEZNS1_14transform_implILb0ES3_S5_NS0_18transform_iteratorINS0_17counting_iteratorImlEEZNS1_24adjacent_difference_implIS3_Lb1ELb0EPKhPhN6thrust23THRUST_200600_302600_NS4plusIhEEEE10hipError_tPvRmT2_T3_mT4_P12ihipStream_tbEUlmE_hEESD_NS0_8identityIvEEEESI_SL_SM_mSN_SP_bEUlT_E_NS1_11comp_targetILNS1_3genE0ELNS1_11target_archE4294967295ELNS1_3gpuE0ELNS1_3repE0EEENS1_30default_config_static_selectorELNS0_4arch9wavefront6targetE1EEEvT1_,comdat
	.protected	_ZN7rocprim17ROCPRIM_400000_NS6detail17trampoline_kernelINS0_14default_configENS1_25transform_config_selectorIhLb0EEEZNS1_14transform_implILb0ES3_S5_NS0_18transform_iteratorINS0_17counting_iteratorImlEEZNS1_24adjacent_difference_implIS3_Lb1ELb0EPKhPhN6thrust23THRUST_200600_302600_NS4plusIhEEEE10hipError_tPvRmT2_T3_mT4_P12ihipStream_tbEUlmE_hEESD_NS0_8identityIvEEEESI_SL_SM_mSN_SP_bEUlT_E_NS1_11comp_targetILNS1_3genE0ELNS1_11target_archE4294967295ELNS1_3gpuE0ELNS1_3repE0EEENS1_30default_config_static_selectorELNS0_4arch9wavefront6targetE1EEEvT1_ ; -- Begin function _ZN7rocprim17ROCPRIM_400000_NS6detail17trampoline_kernelINS0_14default_configENS1_25transform_config_selectorIhLb0EEEZNS1_14transform_implILb0ES3_S5_NS0_18transform_iteratorINS0_17counting_iteratorImlEEZNS1_24adjacent_difference_implIS3_Lb1ELb0EPKhPhN6thrust23THRUST_200600_302600_NS4plusIhEEEE10hipError_tPvRmT2_T3_mT4_P12ihipStream_tbEUlmE_hEESD_NS0_8identityIvEEEESI_SL_SM_mSN_SP_bEUlT_E_NS1_11comp_targetILNS1_3genE0ELNS1_11target_archE4294967295ELNS1_3gpuE0ELNS1_3repE0EEENS1_30default_config_static_selectorELNS0_4arch9wavefront6targetE1EEEvT1_
	.globl	_ZN7rocprim17ROCPRIM_400000_NS6detail17trampoline_kernelINS0_14default_configENS1_25transform_config_selectorIhLb0EEEZNS1_14transform_implILb0ES3_S5_NS0_18transform_iteratorINS0_17counting_iteratorImlEEZNS1_24adjacent_difference_implIS3_Lb1ELb0EPKhPhN6thrust23THRUST_200600_302600_NS4plusIhEEEE10hipError_tPvRmT2_T3_mT4_P12ihipStream_tbEUlmE_hEESD_NS0_8identityIvEEEESI_SL_SM_mSN_SP_bEUlT_E_NS1_11comp_targetILNS1_3genE0ELNS1_11target_archE4294967295ELNS1_3gpuE0ELNS1_3repE0EEENS1_30default_config_static_selectorELNS0_4arch9wavefront6targetE1EEEvT1_
	.p2align	8
	.type	_ZN7rocprim17ROCPRIM_400000_NS6detail17trampoline_kernelINS0_14default_configENS1_25transform_config_selectorIhLb0EEEZNS1_14transform_implILb0ES3_S5_NS0_18transform_iteratorINS0_17counting_iteratorImlEEZNS1_24adjacent_difference_implIS3_Lb1ELb0EPKhPhN6thrust23THRUST_200600_302600_NS4plusIhEEEE10hipError_tPvRmT2_T3_mT4_P12ihipStream_tbEUlmE_hEESD_NS0_8identityIvEEEESI_SL_SM_mSN_SP_bEUlT_E_NS1_11comp_targetILNS1_3genE0ELNS1_11target_archE4294967295ELNS1_3gpuE0ELNS1_3repE0EEENS1_30default_config_static_selectorELNS0_4arch9wavefront6targetE1EEEvT1_,@function
_ZN7rocprim17ROCPRIM_400000_NS6detail17trampoline_kernelINS0_14default_configENS1_25transform_config_selectorIhLb0EEEZNS1_14transform_implILb0ES3_S5_NS0_18transform_iteratorINS0_17counting_iteratorImlEEZNS1_24adjacent_difference_implIS3_Lb1ELb0EPKhPhN6thrust23THRUST_200600_302600_NS4plusIhEEEE10hipError_tPvRmT2_T3_mT4_P12ihipStream_tbEUlmE_hEESD_NS0_8identityIvEEEESI_SL_SM_mSN_SP_bEUlT_E_NS1_11comp_targetILNS1_3genE0ELNS1_11target_archE4294967295ELNS1_3gpuE0ELNS1_3repE0EEENS1_30default_config_static_selectorELNS0_4arch9wavefront6targetE1EEEvT1_: ; @_ZN7rocprim17ROCPRIM_400000_NS6detail17trampoline_kernelINS0_14default_configENS1_25transform_config_selectorIhLb0EEEZNS1_14transform_implILb0ES3_S5_NS0_18transform_iteratorINS0_17counting_iteratorImlEEZNS1_24adjacent_difference_implIS3_Lb1ELb0EPKhPhN6thrust23THRUST_200600_302600_NS4plusIhEEEE10hipError_tPvRmT2_T3_mT4_P12ihipStream_tbEUlmE_hEESD_NS0_8identityIvEEEESI_SL_SM_mSN_SP_bEUlT_E_NS1_11comp_targetILNS1_3genE0ELNS1_11target_archE4294967295ELNS1_3gpuE0ELNS1_3repE0EEENS1_30default_config_static_selectorELNS0_4arch9wavefront6targetE1EEEvT1_
; %bb.0:
	.section	.rodata,"a",@progbits
	.p2align	6, 0x0
	.amdhsa_kernel _ZN7rocprim17ROCPRIM_400000_NS6detail17trampoline_kernelINS0_14default_configENS1_25transform_config_selectorIhLb0EEEZNS1_14transform_implILb0ES3_S5_NS0_18transform_iteratorINS0_17counting_iteratorImlEEZNS1_24adjacent_difference_implIS3_Lb1ELb0EPKhPhN6thrust23THRUST_200600_302600_NS4plusIhEEEE10hipError_tPvRmT2_T3_mT4_P12ihipStream_tbEUlmE_hEESD_NS0_8identityIvEEEESI_SL_SM_mSN_SP_bEUlT_E_NS1_11comp_targetILNS1_3genE0ELNS1_11target_archE4294967295ELNS1_3gpuE0ELNS1_3repE0EEENS1_30default_config_static_selectorELNS0_4arch9wavefront6targetE1EEEvT1_
		.amdhsa_group_segment_fixed_size 0
		.amdhsa_private_segment_fixed_size 0
		.amdhsa_kernarg_size 56
		.amdhsa_user_sgpr_count 6
		.amdhsa_user_sgpr_private_segment_buffer 1
		.amdhsa_user_sgpr_dispatch_ptr 0
		.amdhsa_user_sgpr_queue_ptr 0
		.amdhsa_user_sgpr_kernarg_segment_ptr 1
		.amdhsa_user_sgpr_dispatch_id 0
		.amdhsa_user_sgpr_flat_scratch_init 0
		.amdhsa_user_sgpr_kernarg_preload_length 0
		.amdhsa_user_sgpr_kernarg_preload_offset 0
		.amdhsa_user_sgpr_private_segment_size 0
		.amdhsa_uses_dynamic_stack 0
		.amdhsa_system_sgpr_private_segment_wavefront_offset 0
		.amdhsa_system_sgpr_workgroup_id_x 1
		.amdhsa_system_sgpr_workgroup_id_y 0
		.amdhsa_system_sgpr_workgroup_id_z 0
		.amdhsa_system_sgpr_workgroup_info 0
		.amdhsa_system_vgpr_workitem_id 0
		.amdhsa_next_free_vgpr 1
		.amdhsa_next_free_sgpr 0
		.amdhsa_accum_offset 4
		.amdhsa_reserve_vcc 0
		.amdhsa_reserve_flat_scratch 0
		.amdhsa_float_round_mode_32 0
		.amdhsa_float_round_mode_16_64 0
		.amdhsa_float_denorm_mode_32 3
		.amdhsa_float_denorm_mode_16_64 3
		.amdhsa_dx10_clamp 1
		.amdhsa_ieee_mode 1
		.amdhsa_fp16_overflow 0
		.amdhsa_tg_split 0
		.amdhsa_exception_fp_ieee_invalid_op 0
		.amdhsa_exception_fp_denorm_src 0
		.amdhsa_exception_fp_ieee_div_zero 0
		.amdhsa_exception_fp_ieee_overflow 0
		.amdhsa_exception_fp_ieee_underflow 0
		.amdhsa_exception_fp_ieee_inexact 0
		.amdhsa_exception_int_div_zero 0
	.end_amdhsa_kernel
	.section	.text._ZN7rocprim17ROCPRIM_400000_NS6detail17trampoline_kernelINS0_14default_configENS1_25transform_config_selectorIhLb0EEEZNS1_14transform_implILb0ES3_S5_NS0_18transform_iteratorINS0_17counting_iteratorImlEEZNS1_24adjacent_difference_implIS3_Lb1ELb0EPKhPhN6thrust23THRUST_200600_302600_NS4plusIhEEEE10hipError_tPvRmT2_T3_mT4_P12ihipStream_tbEUlmE_hEESD_NS0_8identityIvEEEESI_SL_SM_mSN_SP_bEUlT_E_NS1_11comp_targetILNS1_3genE0ELNS1_11target_archE4294967295ELNS1_3gpuE0ELNS1_3repE0EEENS1_30default_config_static_selectorELNS0_4arch9wavefront6targetE1EEEvT1_,"axG",@progbits,_ZN7rocprim17ROCPRIM_400000_NS6detail17trampoline_kernelINS0_14default_configENS1_25transform_config_selectorIhLb0EEEZNS1_14transform_implILb0ES3_S5_NS0_18transform_iteratorINS0_17counting_iteratorImlEEZNS1_24adjacent_difference_implIS3_Lb1ELb0EPKhPhN6thrust23THRUST_200600_302600_NS4plusIhEEEE10hipError_tPvRmT2_T3_mT4_P12ihipStream_tbEUlmE_hEESD_NS0_8identityIvEEEESI_SL_SM_mSN_SP_bEUlT_E_NS1_11comp_targetILNS1_3genE0ELNS1_11target_archE4294967295ELNS1_3gpuE0ELNS1_3repE0EEENS1_30default_config_static_selectorELNS0_4arch9wavefront6targetE1EEEvT1_,comdat
.Lfunc_end499:
	.size	_ZN7rocprim17ROCPRIM_400000_NS6detail17trampoline_kernelINS0_14default_configENS1_25transform_config_selectorIhLb0EEEZNS1_14transform_implILb0ES3_S5_NS0_18transform_iteratorINS0_17counting_iteratorImlEEZNS1_24adjacent_difference_implIS3_Lb1ELb0EPKhPhN6thrust23THRUST_200600_302600_NS4plusIhEEEE10hipError_tPvRmT2_T3_mT4_P12ihipStream_tbEUlmE_hEESD_NS0_8identityIvEEEESI_SL_SM_mSN_SP_bEUlT_E_NS1_11comp_targetILNS1_3genE0ELNS1_11target_archE4294967295ELNS1_3gpuE0ELNS1_3repE0EEENS1_30default_config_static_selectorELNS0_4arch9wavefront6targetE1EEEvT1_, .Lfunc_end499-_ZN7rocprim17ROCPRIM_400000_NS6detail17trampoline_kernelINS0_14default_configENS1_25transform_config_selectorIhLb0EEEZNS1_14transform_implILb0ES3_S5_NS0_18transform_iteratorINS0_17counting_iteratorImlEEZNS1_24adjacent_difference_implIS3_Lb1ELb0EPKhPhN6thrust23THRUST_200600_302600_NS4plusIhEEEE10hipError_tPvRmT2_T3_mT4_P12ihipStream_tbEUlmE_hEESD_NS0_8identityIvEEEESI_SL_SM_mSN_SP_bEUlT_E_NS1_11comp_targetILNS1_3genE0ELNS1_11target_archE4294967295ELNS1_3gpuE0ELNS1_3repE0EEENS1_30default_config_static_selectorELNS0_4arch9wavefront6targetE1EEEvT1_
                                        ; -- End function
	.section	.AMDGPU.csdata,"",@progbits
; Kernel info:
; codeLenInByte = 0
; NumSgprs: 4
; NumVgprs: 0
; NumAgprs: 0
; TotalNumVgprs: 0
; ScratchSize: 0
; MemoryBound: 0
; FloatMode: 240
; IeeeMode: 1
; LDSByteSize: 0 bytes/workgroup (compile time only)
; SGPRBlocks: 0
; VGPRBlocks: 0
; NumSGPRsForWavesPerEU: 4
; NumVGPRsForWavesPerEU: 1
; AccumOffset: 4
; Occupancy: 8
; WaveLimiterHint : 0
; COMPUTE_PGM_RSRC2:SCRATCH_EN: 0
; COMPUTE_PGM_RSRC2:USER_SGPR: 6
; COMPUTE_PGM_RSRC2:TRAP_HANDLER: 0
; COMPUTE_PGM_RSRC2:TGID_X_EN: 1
; COMPUTE_PGM_RSRC2:TGID_Y_EN: 0
; COMPUTE_PGM_RSRC2:TGID_Z_EN: 0
; COMPUTE_PGM_RSRC2:TIDIG_COMP_CNT: 0
; COMPUTE_PGM_RSRC3_GFX90A:ACCUM_OFFSET: 0
; COMPUTE_PGM_RSRC3_GFX90A:TG_SPLIT: 0
	.section	.text._ZN7rocprim17ROCPRIM_400000_NS6detail17trampoline_kernelINS0_14default_configENS1_25transform_config_selectorIhLb0EEEZNS1_14transform_implILb0ES3_S5_NS0_18transform_iteratorINS0_17counting_iteratorImlEEZNS1_24adjacent_difference_implIS3_Lb1ELb0EPKhPhN6thrust23THRUST_200600_302600_NS4plusIhEEEE10hipError_tPvRmT2_T3_mT4_P12ihipStream_tbEUlmE_hEESD_NS0_8identityIvEEEESI_SL_SM_mSN_SP_bEUlT_E_NS1_11comp_targetILNS1_3genE5ELNS1_11target_archE942ELNS1_3gpuE9ELNS1_3repE0EEENS1_30default_config_static_selectorELNS0_4arch9wavefront6targetE1EEEvT1_,"axG",@progbits,_ZN7rocprim17ROCPRIM_400000_NS6detail17trampoline_kernelINS0_14default_configENS1_25transform_config_selectorIhLb0EEEZNS1_14transform_implILb0ES3_S5_NS0_18transform_iteratorINS0_17counting_iteratorImlEEZNS1_24adjacent_difference_implIS3_Lb1ELb0EPKhPhN6thrust23THRUST_200600_302600_NS4plusIhEEEE10hipError_tPvRmT2_T3_mT4_P12ihipStream_tbEUlmE_hEESD_NS0_8identityIvEEEESI_SL_SM_mSN_SP_bEUlT_E_NS1_11comp_targetILNS1_3genE5ELNS1_11target_archE942ELNS1_3gpuE9ELNS1_3repE0EEENS1_30default_config_static_selectorELNS0_4arch9wavefront6targetE1EEEvT1_,comdat
	.protected	_ZN7rocprim17ROCPRIM_400000_NS6detail17trampoline_kernelINS0_14default_configENS1_25transform_config_selectorIhLb0EEEZNS1_14transform_implILb0ES3_S5_NS0_18transform_iteratorINS0_17counting_iteratorImlEEZNS1_24adjacent_difference_implIS3_Lb1ELb0EPKhPhN6thrust23THRUST_200600_302600_NS4plusIhEEEE10hipError_tPvRmT2_T3_mT4_P12ihipStream_tbEUlmE_hEESD_NS0_8identityIvEEEESI_SL_SM_mSN_SP_bEUlT_E_NS1_11comp_targetILNS1_3genE5ELNS1_11target_archE942ELNS1_3gpuE9ELNS1_3repE0EEENS1_30default_config_static_selectorELNS0_4arch9wavefront6targetE1EEEvT1_ ; -- Begin function _ZN7rocprim17ROCPRIM_400000_NS6detail17trampoline_kernelINS0_14default_configENS1_25transform_config_selectorIhLb0EEEZNS1_14transform_implILb0ES3_S5_NS0_18transform_iteratorINS0_17counting_iteratorImlEEZNS1_24adjacent_difference_implIS3_Lb1ELb0EPKhPhN6thrust23THRUST_200600_302600_NS4plusIhEEEE10hipError_tPvRmT2_T3_mT4_P12ihipStream_tbEUlmE_hEESD_NS0_8identityIvEEEESI_SL_SM_mSN_SP_bEUlT_E_NS1_11comp_targetILNS1_3genE5ELNS1_11target_archE942ELNS1_3gpuE9ELNS1_3repE0EEENS1_30default_config_static_selectorELNS0_4arch9wavefront6targetE1EEEvT1_
	.globl	_ZN7rocprim17ROCPRIM_400000_NS6detail17trampoline_kernelINS0_14default_configENS1_25transform_config_selectorIhLb0EEEZNS1_14transform_implILb0ES3_S5_NS0_18transform_iteratorINS0_17counting_iteratorImlEEZNS1_24adjacent_difference_implIS3_Lb1ELb0EPKhPhN6thrust23THRUST_200600_302600_NS4plusIhEEEE10hipError_tPvRmT2_T3_mT4_P12ihipStream_tbEUlmE_hEESD_NS0_8identityIvEEEESI_SL_SM_mSN_SP_bEUlT_E_NS1_11comp_targetILNS1_3genE5ELNS1_11target_archE942ELNS1_3gpuE9ELNS1_3repE0EEENS1_30default_config_static_selectorELNS0_4arch9wavefront6targetE1EEEvT1_
	.p2align	8
	.type	_ZN7rocprim17ROCPRIM_400000_NS6detail17trampoline_kernelINS0_14default_configENS1_25transform_config_selectorIhLb0EEEZNS1_14transform_implILb0ES3_S5_NS0_18transform_iteratorINS0_17counting_iteratorImlEEZNS1_24adjacent_difference_implIS3_Lb1ELb0EPKhPhN6thrust23THRUST_200600_302600_NS4plusIhEEEE10hipError_tPvRmT2_T3_mT4_P12ihipStream_tbEUlmE_hEESD_NS0_8identityIvEEEESI_SL_SM_mSN_SP_bEUlT_E_NS1_11comp_targetILNS1_3genE5ELNS1_11target_archE942ELNS1_3gpuE9ELNS1_3repE0EEENS1_30default_config_static_selectorELNS0_4arch9wavefront6targetE1EEEvT1_,@function
_ZN7rocprim17ROCPRIM_400000_NS6detail17trampoline_kernelINS0_14default_configENS1_25transform_config_selectorIhLb0EEEZNS1_14transform_implILb0ES3_S5_NS0_18transform_iteratorINS0_17counting_iteratorImlEEZNS1_24adjacent_difference_implIS3_Lb1ELb0EPKhPhN6thrust23THRUST_200600_302600_NS4plusIhEEEE10hipError_tPvRmT2_T3_mT4_P12ihipStream_tbEUlmE_hEESD_NS0_8identityIvEEEESI_SL_SM_mSN_SP_bEUlT_E_NS1_11comp_targetILNS1_3genE5ELNS1_11target_archE942ELNS1_3gpuE9ELNS1_3repE0EEENS1_30default_config_static_selectorELNS0_4arch9wavefront6targetE1EEEvT1_: ; @_ZN7rocprim17ROCPRIM_400000_NS6detail17trampoline_kernelINS0_14default_configENS1_25transform_config_selectorIhLb0EEEZNS1_14transform_implILb0ES3_S5_NS0_18transform_iteratorINS0_17counting_iteratorImlEEZNS1_24adjacent_difference_implIS3_Lb1ELb0EPKhPhN6thrust23THRUST_200600_302600_NS4plusIhEEEE10hipError_tPvRmT2_T3_mT4_P12ihipStream_tbEUlmE_hEESD_NS0_8identityIvEEEESI_SL_SM_mSN_SP_bEUlT_E_NS1_11comp_targetILNS1_3genE5ELNS1_11target_archE942ELNS1_3gpuE9ELNS1_3repE0EEENS1_30default_config_static_selectorELNS0_4arch9wavefront6targetE1EEEvT1_
; %bb.0:
	.section	.rodata,"a",@progbits
	.p2align	6, 0x0
	.amdhsa_kernel _ZN7rocprim17ROCPRIM_400000_NS6detail17trampoline_kernelINS0_14default_configENS1_25transform_config_selectorIhLb0EEEZNS1_14transform_implILb0ES3_S5_NS0_18transform_iteratorINS0_17counting_iteratorImlEEZNS1_24adjacent_difference_implIS3_Lb1ELb0EPKhPhN6thrust23THRUST_200600_302600_NS4plusIhEEEE10hipError_tPvRmT2_T3_mT4_P12ihipStream_tbEUlmE_hEESD_NS0_8identityIvEEEESI_SL_SM_mSN_SP_bEUlT_E_NS1_11comp_targetILNS1_3genE5ELNS1_11target_archE942ELNS1_3gpuE9ELNS1_3repE0EEENS1_30default_config_static_selectorELNS0_4arch9wavefront6targetE1EEEvT1_
		.amdhsa_group_segment_fixed_size 0
		.amdhsa_private_segment_fixed_size 0
		.amdhsa_kernarg_size 56
		.amdhsa_user_sgpr_count 6
		.amdhsa_user_sgpr_private_segment_buffer 1
		.amdhsa_user_sgpr_dispatch_ptr 0
		.amdhsa_user_sgpr_queue_ptr 0
		.amdhsa_user_sgpr_kernarg_segment_ptr 1
		.amdhsa_user_sgpr_dispatch_id 0
		.amdhsa_user_sgpr_flat_scratch_init 0
		.amdhsa_user_sgpr_kernarg_preload_length 0
		.amdhsa_user_sgpr_kernarg_preload_offset 0
		.amdhsa_user_sgpr_private_segment_size 0
		.amdhsa_uses_dynamic_stack 0
		.amdhsa_system_sgpr_private_segment_wavefront_offset 0
		.amdhsa_system_sgpr_workgroup_id_x 1
		.amdhsa_system_sgpr_workgroup_id_y 0
		.amdhsa_system_sgpr_workgroup_id_z 0
		.amdhsa_system_sgpr_workgroup_info 0
		.amdhsa_system_vgpr_workitem_id 0
		.amdhsa_next_free_vgpr 1
		.amdhsa_next_free_sgpr 0
		.amdhsa_accum_offset 4
		.amdhsa_reserve_vcc 0
		.amdhsa_reserve_flat_scratch 0
		.amdhsa_float_round_mode_32 0
		.amdhsa_float_round_mode_16_64 0
		.amdhsa_float_denorm_mode_32 3
		.amdhsa_float_denorm_mode_16_64 3
		.amdhsa_dx10_clamp 1
		.amdhsa_ieee_mode 1
		.amdhsa_fp16_overflow 0
		.amdhsa_tg_split 0
		.amdhsa_exception_fp_ieee_invalid_op 0
		.amdhsa_exception_fp_denorm_src 0
		.amdhsa_exception_fp_ieee_div_zero 0
		.amdhsa_exception_fp_ieee_overflow 0
		.amdhsa_exception_fp_ieee_underflow 0
		.amdhsa_exception_fp_ieee_inexact 0
		.amdhsa_exception_int_div_zero 0
	.end_amdhsa_kernel
	.section	.text._ZN7rocprim17ROCPRIM_400000_NS6detail17trampoline_kernelINS0_14default_configENS1_25transform_config_selectorIhLb0EEEZNS1_14transform_implILb0ES3_S5_NS0_18transform_iteratorINS0_17counting_iteratorImlEEZNS1_24adjacent_difference_implIS3_Lb1ELb0EPKhPhN6thrust23THRUST_200600_302600_NS4plusIhEEEE10hipError_tPvRmT2_T3_mT4_P12ihipStream_tbEUlmE_hEESD_NS0_8identityIvEEEESI_SL_SM_mSN_SP_bEUlT_E_NS1_11comp_targetILNS1_3genE5ELNS1_11target_archE942ELNS1_3gpuE9ELNS1_3repE0EEENS1_30default_config_static_selectorELNS0_4arch9wavefront6targetE1EEEvT1_,"axG",@progbits,_ZN7rocprim17ROCPRIM_400000_NS6detail17trampoline_kernelINS0_14default_configENS1_25transform_config_selectorIhLb0EEEZNS1_14transform_implILb0ES3_S5_NS0_18transform_iteratorINS0_17counting_iteratorImlEEZNS1_24adjacent_difference_implIS3_Lb1ELb0EPKhPhN6thrust23THRUST_200600_302600_NS4plusIhEEEE10hipError_tPvRmT2_T3_mT4_P12ihipStream_tbEUlmE_hEESD_NS0_8identityIvEEEESI_SL_SM_mSN_SP_bEUlT_E_NS1_11comp_targetILNS1_3genE5ELNS1_11target_archE942ELNS1_3gpuE9ELNS1_3repE0EEENS1_30default_config_static_selectorELNS0_4arch9wavefront6targetE1EEEvT1_,comdat
.Lfunc_end500:
	.size	_ZN7rocprim17ROCPRIM_400000_NS6detail17trampoline_kernelINS0_14default_configENS1_25transform_config_selectorIhLb0EEEZNS1_14transform_implILb0ES3_S5_NS0_18transform_iteratorINS0_17counting_iteratorImlEEZNS1_24adjacent_difference_implIS3_Lb1ELb0EPKhPhN6thrust23THRUST_200600_302600_NS4plusIhEEEE10hipError_tPvRmT2_T3_mT4_P12ihipStream_tbEUlmE_hEESD_NS0_8identityIvEEEESI_SL_SM_mSN_SP_bEUlT_E_NS1_11comp_targetILNS1_3genE5ELNS1_11target_archE942ELNS1_3gpuE9ELNS1_3repE0EEENS1_30default_config_static_selectorELNS0_4arch9wavefront6targetE1EEEvT1_, .Lfunc_end500-_ZN7rocprim17ROCPRIM_400000_NS6detail17trampoline_kernelINS0_14default_configENS1_25transform_config_selectorIhLb0EEEZNS1_14transform_implILb0ES3_S5_NS0_18transform_iteratorINS0_17counting_iteratorImlEEZNS1_24adjacent_difference_implIS3_Lb1ELb0EPKhPhN6thrust23THRUST_200600_302600_NS4plusIhEEEE10hipError_tPvRmT2_T3_mT4_P12ihipStream_tbEUlmE_hEESD_NS0_8identityIvEEEESI_SL_SM_mSN_SP_bEUlT_E_NS1_11comp_targetILNS1_3genE5ELNS1_11target_archE942ELNS1_3gpuE9ELNS1_3repE0EEENS1_30default_config_static_selectorELNS0_4arch9wavefront6targetE1EEEvT1_
                                        ; -- End function
	.section	.AMDGPU.csdata,"",@progbits
; Kernel info:
; codeLenInByte = 0
; NumSgprs: 4
; NumVgprs: 0
; NumAgprs: 0
; TotalNumVgprs: 0
; ScratchSize: 0
; MemoryBound: 0
; FloatMode: 240
; IeeeMode: 1
; LDSByteSize: 0 bytes/workgroup (compile time only)
; SGPRBlocks: 0
; VGPRBlocks: 0
; NumSGPRsForWavesPerEU: 4
; NumVGPRsForWavesPerEU: 1
; AccumOffset: 4
; Occupancy: 8
; WaveLimiterHint : 0
; COMPUTE_PGM_RSRC2:SCRATCH_EN: 0
; COMPUTE_PGM_RSRC2:USER_SGPR: 6
; COMPUTE_PGM_RSRC2:TRAP_HANDLER: 0
; COMPUTE_PGM_RSRC2:TGID_X_EN: 1
; COMPUTE_PGM_RSRC2:TGID_Y_EN: 0
; COMPUTE_PGM_RSRC2:TGID_Z_EN: 0
; COMPUTE_PGM_RSRC2:TIDIG_COMP_CNT: 0
; COMPUTE_PGM_RSRC3_GFX90A:ACCUM_OFFSET: 0
; COMPUTE_PGM_RSRC3_GFX90A:TG_SPLIT: 0
	.section	.text._ZN7rocprim17ROCPRIM_400000_NS6detail17trampoline_kernelINS0_14default_configENS1_25transform_config_selectorIhLb0EEEZNS1_14transform_implILb0ES3_S5_NS0_18transform_iteratorINS0_17counting_iteratorImlEEZNS1_24adjacent_difference_implIS3_Lb1ELb0EPKhPhN6thrust23THRUST_200600_302600_NS4plusIhEEEE10hipError_tPvRmT2_T3_mT4_P12ihipStream_tbEUlmE_hEESD_NS0_8identityIvEEEESI_SL_SM_mSN_SP_bEUlT_E_NS1_11comp_targetILNS1_3genE4ELNS1_11target_archE910ELNS1_3gpuE8ELNS1_3repE0EEENS1_30default_config_static_selectorELNS0_4arch9wavefront6targetE1EEEvT1_,"axG",@progbits,_ZN7rocprim17ROCPRIM_400000_NS6detail17trampoline_kernelINS0_14default_configENS1_25transform_config_selectorIhLb0EEEZNS1_14transform_implILb0ES3_S5_NS0_18transform_iteratorINS0_17counting_iteratorImlEEZNS1_24adjacent_difference_implIS3_Lb1ELb0EPKhPhN6thrust23THRUST_200600_302600_NS4plusIhEEEE10hipError_tPvRmT2_T3_mT4_P12ihipStream_tbEUlmE_hEESD_NS0_8identityIvEEEESI_SL_SM_mSN_SP_bEUlT_E_NS1_11comp_targetILNS1_3genE4ELNS1_11target_archE910ELNS1_3gpuE8ELNS1_3repE0EEENS1_30default_config_static_selectorELNS0_4arch9wavefront6targetE1EEEvT1_,comdat
	.protected	_ZN7rocprim17ROCPRIM_400000_NS6detail17trampoline_kernelINS0_14default_configENS1_25transform_config_selectorIhLb0EEEZNS1_14transform_implILb0ES3_S5_NS0_18transform_iteratorINS0_17counting_iteratorImlEEZNS1_24adjacent_difference_implIS3_Lb1ELb0EPKhPhN6thrust23THRUST_200600_302600_NS4plusIhEEEE10hipError_tPvRmT2_T3_mT4_P12ihipStream_tbEUlmE_hEESD_NS0_8identityIvEEEESI_SL_SM_mSN_SP_bEUlT_E_NS1_11comp_targetILNS1_3genE4ELNS1_11target_archE910ELNS1_3gpuE8ELNS1_3repE0EEENS1_30default_config_static_selectorELNS0_4arch9wavefront6targetE1EEEvT1_ ; -- Begin function _ZN7rocprim17ROCPRIM_400000_NS6detail17trampoline_kernelINS0_14default_configENS1_25transform_config_selectorIhLb0EEEZNS1_14transform_implILb0ES3_S5_NS0_18transform_iteratorINS0_17counting_iteratorImlEEZNS1_24adjacent_difference_implIS3_Lb1ELb0EPKhPhN6thrust23THRUST_200600_302600_NS4plusIhEEEE10hipError_tPvRmT2_T3_mT4_P12ihipStream_tbEUlmE_hEESD_NS0_8identityIvEEEESI_SL_SM_mSN_SP_bEUlT_E_NS1_11comp_targetILNS1_3genE4ELNS1_11target_archE910ELNS1_3gpuE8ELNS1_3repE0EEENS1_30default_config_static_selectorELNS0_4arch9wavefront6targetE1EEEvT1_
	.globl	_ZN7rocprim17ROCPRIM_400000_NS6detail17trampoline_kernelINS0_14default_configENS1_25transform_config_selectorIhLb0EEEZNS1_14transform_implILb0ES3_S5_NS0_18transform_iteratorINS0_17counting_iteratorImlEEZNS1_24adjacent_difference_implIS3_Lb1ELb0EPKhPhN6thrust23THRUST_200600_302600_NS4plusIhEEEE10hipError_tPvRmT2_T3_mT4_P12ihipStream_tbEUlmE_hEESD_NS0_8identityIvEEEESI_SL_SM_mSN_SP_bEUlT_E_NS1_11comp_targetILNS1_3genE4ELNS1_11target_archE910ELNS1_3gpuE8ELNS1_3repE0EEENS1_30default_config_static_selectorELNS0_4arch9wavefront6targetE1EEEvT1_
	.p2align	8
	.type	_ZN7rocprim17ROCPRIM_400000_NS6detail17trampoline_kernelINS0_14default_configENS1_25transform_config_selectorIhLb0EEEZNS1_14transform_implILb0ES3_S5_NS0_18transform_iteratorINS0_17counting_iteratorImlEEZNS1_24adjacent_difference_implIS3_Lb1ELb0EPKhPhN6thrust23THRUST_200600_302600_NS4plusIhEEEE10hipError_tPvRmT2_T3_mT4_P12ihipStream_tbEUlmE_hEESD_NS0_8identityIvEEEESI_SL_SM_mSN_SP_bEUlT_E_NS1_11comp_targetILNS1_3genE4ELNS1_11target_archE910ELNS1_3gpuE8ELNS1_3repE0EEENS1_30default_config_static_selectorELNS0_4arch9wavefront6targetE1EEEvT1_,@function
_ZN7rocprim17ROCPRIM_400000_NS6detail17trampoline_kernelINS0_14default_configENS1_25transform_config_selectorIhLb0EEEZNS1_14transform_implILb0ES3_S5_NS0_18transform_iteratorINS0_17counting_iteratorImlEEZNS1_24adjacent_difference_implIS3_Lb1ELb0EPKhPhN6thrust23THRUST_200600_302600_NS4plusIhEEEE10hipError_tPvRmT2_T3_mT4_P12ihipStream_tbEUlmE_hEESD_NS0_8identityIvEEEESI_SL_SM_mSN_SP_bEUlT_E_NS1_11comp_targetILNS1_3genE4ELNS1_11target_archE910ELNS1_3gpuE8ELNS1_3repE0EEENS1_30default_config_static_selectorELNS0_4arch9wavefront6targetE1EEEvT1_: ; @_ZN7rocprim17ROCPRIM_400000_NS6detail17trampoline_kernelINS0_14default_configENS1_25transform_config_selectorIhLb0EEEZNS1_14transform_implILb0ES3_S5_NS0_18transform_iteratorINS0_17counting_iteratorImlEEZNS1_24adjacent_difference_implIS3_Lb1ELb0EPKhPhN6thrust23THRUST_200600_302600_NS4plusIhEEEE10hipError_tPvRmT2_T3_mT4_P12ihipStream_tbEUlmE_hEESD_NS0_8identityIvEEEESI_SL_SM_mSN_SP_bEUlT_E_NS1_11comp_targetILNS1_3genE4ELNS1_11target_archE910ELNS1_3gpuE8ELNS1_3repE0EEENS1_30default_config_static_selectorELNS0_4arch9wavefront6targetE1EEEvT1_
; %bb.0:
	s_load_dwordx4 s[0:3], s[4:5], 0x18
	s_load_dwordx2 s[8:9], s[4:5], 0x28
	s_waitcnt lgkmcnt(0)
	s_load_dword s3, s[4:5], 0x38
	s_load_dwordx4 s[36:39], s[4:5], 0x0
	s_load_dword s40, s[4:5], 0x10
	s_mov_b32 s41, 0
	s_add_u32 s33, s8, s0
	s_addc_u32 s42, s9, s1
	s_lshl_b32 s43, s6, 10
	s_waitcnt lgkmcnt(0)
	s_add_i32 s3, s3, -1
	s_add_u32 s4, s36, s43
	s_addc_u32 s5, s37, 0
	s_add_u32 s44, s4, s0
	s_addc_u32 s45, s5, s1
	s_cmp_lg_u32 s6, s3
	s_cbranch_scc0 .LBB501_2
; %bb.1:
	v_add_co_u32_e32 v4, vcc, s44, v0
	v_pk_mov_b32 v[2:3], s[38:39], s[38:39] op_sel:[0,1]
	v_mov_b32_e32 v1, s45
	v_mad_u64_u32 v[2:3], s[0:1], v4, s40, v[2:3]
	v_addc_co_u32_e32 v1, vcc, 0, v1, vcc
	v_mov_b32_e32 v4, v3
	v_mad_u64_u32 v[4:5], s[0:1], v1, s40, v[4:5]
	v_mov_b32_e32 v3, v4
	s_lshl_b64 s[0:1], s[40:41], 6
	global_load_ubyte v1, v[2:3], off
	v_mov_b32_e32 v10, s1
	v_add_co_u32_e32 v2, vcc, s0, v2
	v_addc_co_u32_e32 v3, vcc, v3, v10, vcc
	v_add_co_u32_e32 v4, vcc, s0, v2
	v_addc_co_u32_e32 v5, vcc, v3, v10, vcc
	;; [unrolled: 2-line block ×4, first 2 shown]
	global_load_ubyte v11, v[2:3], off
	global_load_ubyte v12, v[4:5], off
	;; [unrolled: 1-line block ×4, first 2 shown]
	v_add_co_u32_e32 v2, vcc, s0, v8
	v_addc_co_u32_e32 v3, vcc, v9, v10, vcc
	global_load_ubyte v5, v[2:3], off
	v_add_co_u32_e32 v2, vcc, s0, v2
	v_addc_co_u32_e32 v3, vcc, v3, v10, vcc
	global_load_ubyte v6, v[2:3], off
	;; [unrolled: 3-line block ×11, first 2 shown]
	s_add_u32 s0, s33, s43
	s_addc_u32 s1, s42, 0
	v_mov_b32_e32 v3, s1
	v_add_co_u32_e32 v2, vcc, s0, v0
	v_addc_co_u32_e32 v3, vcc, 0, v3, vcc
	s_mov_b64 s[34:35], -1
	s_waitcnt vmcnt(15)
	global_store_byte v0, v1, s[0:1]
	s_waitcnt vmcnt(15)
	global_store_byte v0, v11, s[0:1] offset:64
	s_waitcnt vmcnt(15)
	global_store_byte v0, v12, s[0:1] offset:128
	;; [unrolled: 2-line block ×14, first 2 shown]
	s_cbranch_execz .LBB501_3
	s_branch .LBB501_68
.LBB501_2:
	s_mov_b64 s[34:35], 0
                                        ; implicit-def: $vgpr4
                                        ; implicit-def: $vgpr2_vgpr3
.LBB501_3:
	s_sub_i32 s36, s2, s43
	v_cmp_gt_u32_e32 vcc, s36, v0
                                        ; implicit-def: $vgpr1
	s_and_saveexec_b64 s[2:3], vcc
	s_cbranch_execz .LBB501_5
; %bb.4:
	v_mov_b32_e32 v1, s45
	s_waitcnt vmcnt(15)
	v_add_co_u32_e64 v4, s[0:1], s44, v0
	v_pk_mov_b32 v[2:3], s[38:39], s[38:39] op_sel:[0,1]
	v_addc_co_u32_e64 v1, s[0:1], 0, v1, s[0:1]
	v_mad_u64_u32 v[2:3], s[0:1], v4, s40, v[2:3]
	v_mov_b32_e32 v4, v3
	v_mad_u64_u32 v[4:5], s[0:1], v1, s40, v[4:5]
	v_mov_b32_e32 v3, v4
	global_load_ubyte v1, v[2:3], off
.LBB501_5:
	s_or_b64 exec, exec, s[2:3]
	v_or_b32_e32 v3, 64, v0
	v_cmp_gt_u32_e64 s[0:1], s36, v3
                                        ; implicit-def: $vgpr2
	s_and_saveexec_b64 s[4:5], s[0:1]
	s_cbranch_execz .LBB501_7
; %bb.6:
	v_mov_b32_e32 v2, s45
	s_waitcnt vmcnt(15)
	v_add_co_u32_e64 v4, s[2:3], s44, v3
	v_addc_co_u32_e64 v5, s[2:3], 0, v2, s[2:3]
	v_pk_mov_b32 v[2:3], s[38:39], s[38:39] op_sel:[0,1]
	v_mad_u64_u32 v[2:3], s[2:3], v4, s40, v[2:3]
	v_mov_b32_e32 v4, v3
	v_mad_u64_u32 v[4:5], s[2:3], v5, s40, v[4:5]
	v_mov_b32_e32 v3, v4
	global_load_ubyte v2, v[2:3], off
.LBB501_7:
	s_or_b64 exec, exec, s[4:5]
	s_waitcnt vmcnt(15)
	v_or_b32_e32 v4, 0x80, v0
	v_cmp_gt_u32_e64 s[2:3], s36, v4
                                        ; implicit-def: $vgpr3
	s_and_saveexec_b64 s[6:7], s[2:3]
	s_cbranch_execz .LBB501_9
; %bb.8:
	v_mov_b32_e32 v3, s45
	v_add_co_u32_e64 v6, s[4:5], s44, v4
	v_pk_mov_b32 v[4:5], s[38:39], s[38:39] op_sel:[0,1]
	v_addc_co_u32_e64 v3, s[4:5], 0, v3, s[4:5]
	v_mad_u64_u32 v[4:5], s[4:5], v6, s40, v[4:5]
	v_mov_b32_e32 v6, v5
	v_mad_u64_u32 v[6:7], s[4:5], v3, s40, v[6:7]
	v_mov_b32_e32 v5, v6
	global_load_ubyte v3, v[4:5], off
.LBB501_9:
	s_or_b64 exec, exec, s[6:7]
	v_or_b32_e32 v5, 0xc0, v0
	v_cmp_gt_u32_e64 s[4:5], s36, v5
                                        ; implicit-def: $vgpr4
	s_and_saveexec_b64 s[8:9], s[4:5]
	s_cbranch_execz .LBB501_11
; %bb.10:
	v_mov_b32_e32 v4, s45
	v_add_co_u32_e64 v6, s[6:7], s44, v5
	v_addc_co_u32_e64 v7, s[6:7], 0, v4, s[6:7]
	v_pk_mov_b32 v[4:5], s[38:39], s[38:39] op_sel:[0,1]
	v_mad_u64_u32 v[4:5], s[6:7], v6, s40, v[4:5]
	v_mov_b32_e32 v6, v5
	v_mad_u64_u32 v[6:7], s[6:7], v7, s40, v[6:7]
	v_mov_b32_e32 v5, v6
	global_load_ubyte v4, v[4:5], off
.LBB501_11:
	s_or_b64 exec, exec, s[8:9]
	v_or_b32_e32 v6, 0x100, v0
	v_cmp_gt_u32_e64 s[6:7], s36, v6
                                        ; implicit-def: $vgpr5
	s_and_saveexec_b64 s[10:11], s[6:7]
	s_cbranch_execz .LBB501_13
; %bb.12:
	v_mov_b32_e32 v5, s45
	v_add_co_u32_e64 v8, s[8:9], s44, v6
	v_pk_mov_b32 v[6:7], s[38:39], s[38:39] op_sel:[0,1]
	v_addc_co_u32_e64 v5, s[8:9], 0, v5, s[8:9]
	v_mad_u64_u32 v[6:7], s[8:9], v8, s40, v[6:7]
	v_mov_b32_e32 v8, v7
	v_mad_u64_u32 v[8:9], s[8:9], v5, s40, v[8:9]
	v_mov_b32_e32 v7, v8
	global_load_ubyte v5, v[6:7], off
.LBB501_13:
	s_or_b64 exec, exec, s[10:11]
	v_or_b32_e32 v7, 0x140, v0
	v_cmp_gt_u32_e64 s[8:9], s36, v7
                                        ; implicit-def: $vgpr6
	s_and_saveexec_b64 s[12:13], s[8:9]
	s_cbranch_execz .LBB501_15
; %bb.14:
	v_mov_b32_e32 v6, s45
	v_add_co_u32_e64 v8, s[10:11], s44, v7
	v_addc_co_u32_e64 v9, s[10:11], 0, v6, s[10:11]
	v_pk_mov_b32 v[6:7], s[38:39], s[38:39] op_sel:[0,1]
	v_mad_u64_u32 v[6:7], s[10:11], v8, s40, v[6:7]
	v_mov_b32_e32 v8, v7
	v_mad_u64_u32 v[8:9], s[10:11], v9, s40, v[8:9]
	v_mov_b32_e32 v7, v8
	global_load_ubyte v6, v[6:7], off
.LBB501_15:
	s_or_b64 exec, exec, s[12:13]
	v_or_b32_e32 v8, 0x180, v0
	v_cmp_gt_u32_e64 s[10:11], s36, v8
                                        ; implicit-def: $vgpr7
	s_and_saveexec_b64 s[14:15], s[10:11]
	s_cbranch_execz .LBB501_17
; %bb.16:
	v_mov_b32_e32 v7, s45
	v_add_co_u32_e64 v10, s[12:13], s44, v8
	v_pk_mov_b32 v[8:9], s[38:39], s[38:39] op_sel:[0,1]
	v_addc_co_u32_e64 v7, s[12:13], 0, v7, s[12:13]
	v_mad_u64_u32 v[8:9], s[12:13], v10, s40, v[8:9]
	v_mov_b32_e32 v10, v9
	v_mad_u64_u32 v[10:11], s[12:13], v7, s40, v[10:11]
	v_mov_b32_e32 v9, v10
	global_load_ubyte v7, v[8:9], off
.LBB501_17:
	s_or_b64 exec, exec, s[14:15]
	v_or_b32_e32 v9, 0x1c0, v0
	v_cmp_gt_u32_e64 s[12:13], s36, v9
                                        ; implicit-def: $vgpr8
	s_and_saveexec_b64 s[16:17], s[12:13]
	s_cbranch_execz .LBB501_19
; %bb.18:
	v_mov_b32_e32 v8, s45
	v_add_co_u32_e64 v10, s[14:15], s44, v9
	v_addc_co_u32_e64 v11, s[14:15], 0, v8, s[14:15]
	v_pk_mov_b32 v[8:9], s[38:39], s[38:39] op_sel:[0,1]
	v_mad_u64_u32 v[8:9], s[14:15], v10, s40, v[8:9]
	v_mov_b32_e32 v10, v9
	v_mad_u64_u32 v[10:11], s[14:15], v11, s40, v[10:11]
	v_mov_b32_e32 v9, v10
	global_load_ubyte v8, v[8:9], off
.LBB501_19:
	s_or_b64 exec, exec, s[16:17]
	v_or_b32_e32 v10, 0x200, v0
	v_cmp_gt_u32_e64 s[14:15], s36, v10
                                        ; implicit-def: $vgpr9
	s_and_saveexec_b64 s[18:19], s[14:15]
	s_cbranch_execz .LBB501_21
; %bb.20:
	v_mov_b32_e32 v9, s45
	v_add_co_u32_e64 v12, s[16:17], s44, v10
	v_pk_mov_b32 v[10:11], s[38:39], s[38:39] op_sel:[0,1]
	v_addc_co_u32_e64 v9, s[16:17], 0, v9, s[16:17]
	v_mad_u64_u32 v[10:11], s[16:17], v12, s40, v[10:11]
	v_mov_b32_e32 v12, v11
	v_mad_u64_u32 v[12:13], s[16:17], v9, s40, v[12:13]
	v_mov_b32_e32 v11, v12
	global_load_ubyte v9, v[10:11], off
.LBB501_21:
	s_or_b64 exec, exec, s[18:19]
	v_or_b32_e32 v11, 0x240, v0
	v_cmp_gt_u32_e64 s[16:17], s36, v11
                                        ; implicit-def: $vgpr10
	s_and_saveexec_b64 s[20:21], s[16:17]
	s_cbranch_execz .LBB501_23
; %bb.22:
	v_mov_b32_e32 v10, s45
	v_add_co_u32_e64 v12, s[18:19], s44, v11
	v_addc_co_u32_e64 v13, s[18:19], 0, v10, s[18:19]
	v_pk_mov_b32 v[10:11], s[38:39], s[38:39] op_sel:[0,1]
	v_mad_u64_u32 v[10:11], s[18:19], v12, s40, v[10:11]
	v_mov_b32_e32 v12, v11
	v_mad_u64_u32 v[12:13], s[18:19], v13, s40, v[12:13]
	v_mov_b32_e32 v11, v12
	global_load_ubyte v10, v[10:11], off
.LBB501_23:
	s_or_b64 exec, exec, s[20:21]
	v_or_b32_e32 v12, 0x280, v0
	v_cmp_gt_u32_e64 s[18:19], s36, v12
                                        ; implicit-def: $vgpr11
	s_and_saveexec_b64 s[22:23], s[18:19]
	s_cbranch_execz .LBB501_25
; %bb.24:
	v_mov_b32_e32 v11, s45
	v_add_co_u32_e64 v14, s[20:21], s44, v12
	v_pk_mov_b32 v[12:13], s[38:39], s[38:39] op_sel:[0,1]
	v_addc_co_u32_e64 v11, s[20:21], 0, v11, s[20:21]
	v_mad_u64_u32 v[12:13], s[20:21], v14, s40, v[12:13]
	v_mov_b32_e32 v14, v13
	v_mad_u64_u32 v[14:15], s[20:21], v11, s40, v[14:15]
	v_mov_b32_e32 v13, v14
	global_load_ubyte v11, v[12:13], off
.LBB501_25:
	s_or_b64 exec, exec, s[22:23]
	v_or_b32_e32 v13, 0x2c0, v0
	v_cmp_gt_u32_e64 s[20:21], s36, v13
                                        ; implicit-def: $vgpr12
	s_and_saveexec_b64 s[24:25], s[20:21]
	s_cbranch_execz .LBB501_27
; %bb.26:
	v_mov_b32_e32 v12, s45
	v_add_co_u32_e64 v14, s[22:23], s44, v13
	v_addc_co_u32_e64 v15, s[22:23], 0, v12, s[22:23]
	v_pk_mov_b32 v[12:13], s[38:39], s[38:39] op_sel:[0,1]
	v_mad_u64_u32 v[12:13], s[22:23], v14, s40, v[12:13]
	v_mov_b32_e32 v14, v13
	v_mad_u64_u32 v[14:15], s[22:23], v15, s40, v[14:15]
	v_mov_b32_e32 v13, v14
	global_load_ubyte v12, v[12:13], off
.LBB501_27:
	s_or_b64 exec, exec, s[24:25]
	v_or_b32_e32 v14, 0x300, v0
	v_cmp_gt_u32_e64 s[22:23], s36, v14
                                        ; implicit-def: $vgpr13
	s_and_saveexec_b64 s[26:27], s[22:23]
	s_cbranch_execz .LBB501_29
; %bb.28:
	v_mov_b32_e32 v13, s45
	v_add_co_u32_e64 v16, s[24:25], s44, v14
	v_pk_mov_b32 v[14:15], s[38:39], s[38:39] op_sel:[0,1]
	v_addc_co_u32_e64 v13, s[24:25], 0, v13, s[24:25]
	v_mad_u64_u32 v[14:15], s[24:25], v16, s40, v[14:15]
	v_mov_b32_e32 v16, v15
	v_mad_u64_u32 v[16:17], s[24:25], v13, s40, v[16:17]
	v_mov_b32_e32 v15, v16
	global_load_ubyte v13, v[14:15], off
.LBB501_29:
	s_or_b64 exec, exec, s[26:27]
	v_or_b32_e32 v15, 0x340, v0
	v_cmp_gt_u32_e64 s[24:25], s36, v15
                                        ; implicit-def: $vgpr14
	s_and_saveexec_b64 s[28:29], s[24:25]
	s_cbranch_execz .LBB501_31
; %bb.30:
	v_mov_b32_e32 v14, s45
	v_add_co_u32_e64 v16, s[26:27], s44, v15
	v_addc_co_u32_e64 v17, s[26:27], 0, v14, s[26:27]
	v_pk_mov_b32 v[14:15], s[38:39], s[38:39] op_sel:[0,1]
	v_mad_u64_u32 v[14:15], s[26:27], v16, s40, v[14:15]
	v_mov_b32_e32 v16, v15
	v_mad_u64_u32 v[16:17], s[26:27], v17, s40, v[16:17]
	v_mov_b32_e32 v15, v16
	global_load_ubyte v14, v[14:15], off
.LBB501_31:
	s_or_b64 exec, exec, s[28:29]
	v_or_b32_e32 v16, 0x380, v0
	v_cmp_gt_u32_e64 s[26:27], s36, v16
                                        ; implicit-def: $vgpr15
	s_and_saveexec_b64 s[30:31], s[26:27]
	s_cbranch_execz .LBB501_33
; %bb.32:
	v_mov_b32_e32 v15, s45
	v_add_co_u32_e64 v18, s[28:29], s44, v16
	v_pk_mov_b32 v[16:17], s[38:39], s[38:39] op_sel:[0,1]
	v_addc_co_u32_e64 v15, s[28:29], 0, v15, s[28:29]
	v_mad_u64_u32 v[16:17], s[28:29], v18, s40, v[16:17]
	v_mov_b32_e32 v18, v17
	v_mad_u64_u32 v[18:19], s[28:29], v15, s40, v[18:19]
	v_mov_b32_e32 v17, v18
	global_load_ubyte v15, v[16:17], off
.LBB501_33:
	s_or_b64 exec, exec, s[30:31]
	v_or_b32_e32 v17, 0x3c0, v0
	v_cmp_gt_u32_e64 s[28:29], s36, v17
                                        ; implicit-def: $vgpr16
	s_and_saveexec_b64 s[36:37], s[28:29]
	s_cbranch_execz .LBB501_35
; %bb.34:
	v_mov_b32_e32 v16, s45
	v_add_co_u32_e64 v18, s[30:31], s44, v17
	v_addc_co_u32_e64 v19, s[30:31], 0, v16, s[30:31]
	v_pk_mov_b32 v[16:17], s[38:39], s[38:39] op_sel:[0,1]
	v_mad_u64_u32 v[16:17], s[30:31], v18, s40, v[16:17]
	v_mov_b32_e32 v18, v17
	v_mad_u64_u32 v[18:19], s[30:31], v19, s40, v[18:19]
	v_mov_b32_e32 v17, v18
	global_load_ubyte v16, v[16:17], off
.LBB501_35:
	s_or_b64 exec, exec, s[36:37]
	s_waitcnt vmcnt(0)
	v_lshlrev_b16_e32 v2, 8, v2
	v_or_b32_sdwa v1, v1, v2 dst_sel:DWORD dst_unused:UNUSED_PAD src0_sel:BYTE_0 src1_sel:DWORD
	v_lshlrev_b16_e32 v2, 8, v4
	v_or_b32_sdwa v2, v3, v2 dst_sel:WORD_1 dst_unused:UNUSED_PAD src0_sel:BYTE_0 src1_sel:DWORD
	v_or_b32_sdwa v17, v1, v2 dst_sel:DWORD dst_unused:UNUSED_PAD src0_sel:WORD_0 src1_sel:DWORD
	v_lshlrev_b16_e32 v1, 8, v6
	v_lshlrev_b16_e32 v2, 8, v8
	v_or_b32_sdwa v1, v5, v1 dst_sel:DWORD dst_unused:UNUSED_PAD src0_sel:BYTE_0 src1_sel:DWORD
	v_or_b32_sdwa v2, v7, v2 dst_sel:WORD_1 dst_unused:UNUSED_PAD src0_sel:BYTE_0 src1_sel:DWORD
	v_or_b32_sdwa v5, v1, v2 dst_sel:DWORD dst_unused:UNUSED_PAD src0_sel:WORD_0 src1_sel:DWORD
	v_lshlrev_b16_e32 v1, 8, v10
	v_lshlrev_b16_e32 v2, 8, v12
	v_or_b32_sdwa v1, v9, v1 dst_sel:DWORD dst_unused:UNUSED_PAD src0_sel:BYTE_0 src1_sel:DWORD
	v_or_b32_sdwa v2, v11, v2 dst_sel:WORD_1 dst_unused:UNUSED_PAD src0_sel:BYTE_0 src1_sel:DWORD
	v_or_b32_sdwa v4, v1, v2 dst_sel:DWORD dst_unused:UNUSED_PAD src0_sel:WORD_0 src1_sel:DWORD
	v_lshlrev_b16_e32 v1, 8, v14
	v_lshlrev_b16_e32 v2, 8, v16
	s_add_u32 s30, s33, s43
	v_or_b32_sdwa v1, v13, v1 dst_sel:DWORD dst_unused:UNUSED_PAD src0_sel:BYTE_0 src1_sel:DWORD
	v_or_b32_sdwa v2, v15, v2 dst_sel:WORD_1 dst_unused:UNUSED_PAD src0_sel:BYTE_0 src1_sel:DWORD
	s_addc_u32 s31, s42, 0
	v_or_b32_sdwa v1, v1, v2 dst_sel:DWORD dst_unused:UNUSED_PAD src0_sel:WORD_0 src1_sel:DWORD
	v_mov_b32_e32 v3, s31
	v_add_co_u32_e64 v2, s[30:31], s30, v0
	v_addc_co_u32_e64 v3, s[30:31], 0, v3, s[30:31]
	s_and_saveexec_b64 s[30:31], vcc
	s_cbranch_execz .LBB501_37
; %bb.36:
	global_store_byte v[2:3], v17, off
.LBB501_37:
	s_or_b64 exec, exec, s[30:31]
	s_and_saveexec_b64 s[30:31], s[0:1]
	s_cbranch_execz .LBB501_39
; %bb.38:
	v_lshrrev_b32_e32 v0, 8, v17
	global_store_byte v[2:3], v0, off offset:64
.LBB501_39:
	s_or_b64 exec, exec, s[30:31]
	s_mov_b32 s0, 0x7060104
	v_perm_b32 v0, v17, v17, s0
	v_cndmask_b32_e64 v6, v0, v17, s[2:3]
	s_and_saveexec_b64 s[0:1], s[2:3]
	s_cbranch_execz .LBB501_41
; %bb.40:
	global_store_byte_d16_hi v[2:3], v6, off offset:128
.LBB501_41:
	s_or_b64 exec, exec, s[0:1]
	s_mov_b32 s0, 0x7020504
	v_perm_b32 v0, v0, v6, s0
	v_cndmask_b32_e64 v0, v0, v17, s[4:5]
	s_and_saveexec_b64 s[0:1], s[4:5]
	s_cbranch_execz .LBB501_43
; %bb.42:
	v_lshrrev_b32_e32 v0, 24, v0
	global_store_byte v[2:3], v0, off offset:192
.LBB501_43:
	s_or_b64 exec, exec, s[0:1]
	s_and_saveexec_b64 s[0:1], s[6:7]
	s_cbranch_execz .LBB501_45
; %bb.44:
	global_store_byte v[2:3], v5, off offset:256
.LBB501_45:
	s_or_b64 exec, exec, s[0:1]
	s_mov_b32 s0, 0x3020104
	v_perm_b32 v0, v5, v5, s0
	v_cndmask_b32_e64 v6, v0, v5, s[8:9]
	s_and_saveexec_b64 s[0:1], s[8:9]
	s_cbranch_execz .LBB501_47
; %bb.46:
	v_lshrrev_b32_e32 v7, 8, v6
	global_store_byte v[2:3], v7, off offset:320
.LBB501_47:
	s_or_b64 exec, exec, s[0:1]
	s_mov_b32 s0, 0x7060104
	v_perm_b32 v0, v0, v6, s0
	v_cndmask_b32_e64 v6, v0, v5, s[10:11]
	s_and_saveexec_b64 s[0:1], s[10:11]
	s_cbranch_execz .LBB501_49
; %bb.48:
	global_store_byte_d16_hi v[2:3], v6, off offset:384
.LBB501_49:
	s_or_b64 exec, exec, s[0:1]
	s_mov_b32 s0, 0x7020504
	v_perm_b32 v0, v0, v6, s0
	v_cndmask_b32_e64 v0, v0, v5, s[12:13]
	s_and_saveexec_b64 s[0:1], s[12:13]
	s_cbranch_execz .LBB501_51
; %bb.50:
	v_lshrrev_b32_e32 v0, 24, v0
	global_store_byte v[2:3], v0, off offset:448
.LBB501_51:
	s_or_b64 exec, exec, s[0:1]
	s_and_saveexec_b64 s[0:1], s[14:15]
	s_cbranch_execz .LBB501_53
; %bb.52:
	global_store_byte v[2:3], v4, off offset:512
.LBB501_53:
	s_or_b64 exec, exec, s[0:1]
	s_mov_b32 s0, 0x3020104
	v_perm_b32 v0, v4, v4, s0
	v_cndmask_b32_e64 v5, v0, v4, s[16:17]
	;; [unrolled: 35-line block ×3, first 2 shown]
	s_and_saveexec_b64 s[0:1], s[24:25]
	s_cbranch_execz .LBB501_63
; %bb.62:
	v_lshrrev_b32_e32 v5, 8, v4
	global_store_byte v[2:3], v5, off offset:832
.LBB501_63:
	s_or_b64 exec, exec, s[0:1]
	s_mov_b32 s0, 0x7060104
	v_perm_b32 v0, v0, v4, s0
	s_and_saveexec_b64 s[0:1], s[26:27]
	s_cbranch_execz .LBB501_65
; %bb.64:
	v_cndmask_b32_e64 v4, v0, v1, s[26:27]
	global_store_byte_d16_hi v[2:3], v4, off offset:896
.LBB501_65:
	s_or_b64 exec, exec, s[0:1]
                                        ; implicit-def: $vgpr4
	s_and_saveexec_b64 s[0:1], s[28:29]
; %bb.66:
	v_cndmask_b32_e64 v0, v0, v1, s[28:29]
	v_lshrrev_b32_e32 v4, 24, v0
	s_or_b64 s[34:35], s[34:35], exec
; %bb.67:
	s_or_b64 exec, exec, s[0:1]
.LBB501_68:
	s_and_saveexec_b64 s[0:1], s[34:35]
	s_cbranch_execnz .LBB501_70
; %bb.69:
	s_endpgm
.LBB501_70:
	s_waitcnt vmcnt(15)
	global_store_byte v[2:3], v4, off offset:960
	s_endpgm
	.section	.rodata,"a",@progbits
	.p2align	6, 0x0
	.amdhsa_kernel _ZN7rocprim17ROCPRIM_400000_NS6detail17trampoline_kernelINS0_14default_configENS1_25transform_config_selectorIhLb0EEEZNS1_14transform_implILb0ES3_S5_NS0_18transform_iteratorINS0_17counting_iteratorImlEEZNS1_24adjacent_difference_implIS3_Lb1ELb0EPKhPhN6thrust23THRUST_200600_302600_NS4plusIhEEEE10hipError_tPvRmT2_T3_mT4_P12ihipStream_tbEUlmE_hEESD_NS0_8identityIvEEEESI_SL_SM_mSN_SP_bEUlT_E_NS1_11comp_targetILNS1_3genE4ELNS1_11target_archE910ELNS1_3gpuE8ELNS1_3repE0EEENS1_30default_config_static_selectorELNS0_4arch9wavefront6targetE1EEEvT1_
		.amdhsa_group_segment_fixed_size 0
		.amdhsa_private_segment_fixed_size 0
		.amdhsa_kernarg_size 312
		.amdhsa_user_sgpr_count 6
		.amdhsa_user_sgpr_private_segment_buffer 1
		.amdhsa_user_sgpr_dispatch_ptr 0
		.amdhsa_user_sgpr_queue_ptr 0
		.amdhsa_user_sgpr_kernarg_segment_ptr 1
		.amdhsa_user_sgpr_dispatch_id 0
		.amdhsa_user_sgpr_flat_scratch_init 0
		.amdhsa_user_sgpr_kernarg_preload_length 0
		.amdhsa_user_sgpr_kernarg_preload_offset 0
		.amdhsa_user_sgpr_private_segment_size 0
		.amdhsa_uses_dynamic_stack 0
		.amdhsa_system_sgpr_private_segment_wavefront_offset 0
		.amdhsa_system_sgpr_workgroup_id_x 1
		.amdhsa_system_sgpr_workgroup_id_y 0
		.amdhsa_system_sgpr_workgroup_id_z 0
		.amdhsa_system_sgpr_workgroup_info 0
		.amdhsa_system_vgpr_workitem_id 0
		.amdhsa_next_free_vgpr 20
		.amdhsa_next_free_sgpr 46
		.amdhsa_accum_offset 20
		.amdhsa_reserve_vcc 1
		.amdhsa_reserve_flat_scratch 0
		.amdhsa_float_round_mode_32 0
		.amdhsa_float_round_mode_16_64 0
		.amdhsa_float_denorm_mode_32 3
		.amdhsa_float_denorm_mode_16_64 3
		.amdhsa_dx10_clamp 1
		.amdhsa_ieee_mode 1
		.amdhsa_fp16_overflow 0
		.amdhsa_tg_split 0
		.amdhsa_exception_fp_ieee_invalid_op 0
		.amdhsa_exception_fp_denorm_src 0
		.amdhsa_exception_fp_ieee_div_zero 0
		.amdhsa_exception_fp_ieee_overflow 0
		.amdhsa_exception_fp_ieee_underflow 0
		.amdhsa_exception_fp_ieee_inexact 0
		.amdhsa_exception_int_div_zero 0
	.end_amdhsa_kernel
	.section	.text._ZN7rocprim17ROCPRIM_400000_NS6detail17trampoline_kernelINS0_14default_configENS1_25transform_config_selectorIhLb0EEEZNS1_14transform_implILb0ES3_S5_NS0_18transform_iteratorINS0_17counting_iteratorImlEEZNS1_24adjacent_difference_implIS3_Lb1ELb0EPKhPhN6thrust23THRUST_200600_302600_NS4plusIhEEEE10hipError_tPvRmT2_T3_mT4_P12ihipStream_tbEUlmE_hEESD_NS0_8identityIvEEEESI_SL_SM_mSN_SP_bEUlT_E_NS1_11comp_targetILNS1_3genE4ELNS1_11target_archE910ELNS1_3gpuE8ELNS1_3repE0EEENS1_30default_config_static_selectorELNS0_4arch9wavefront6targetE1EEEvT1_,"axG",@progbits,_ZN7rocprim17ROCPRIM_400000_NS6detail17trampoline_kernelINS0_14default_configENS1_25transform_config_selectorIhLb0EEEZNS1_14transform_implILb0ES3_S5_NS0_18transform_iteratorINS0_17counting_iteratorImlEEZNS1_24adjacent_difference_implIS3_Lb1ELb0EPKhPhN6thrust23THRUST_200600_302600_NS4plusIhEEEE10hipError_tPvRmT2_T3_mT4_P12ihipStream_tbEUlmE_hEESD_NS0_8identityIvEEEESI_SL_SM_mSN_SP_bEUlT_E_NS1_11comp_targetILNS1_3genE4ELNS1_11target_archE910ELNS1_3gpuE8ELNS1_3repE0EEENS1_30default_config_static_selectorELNS0_4arch9wavefront6targetE1EEEvT1_,comdat
.Lfunc_end501:
	.size	_ZN7rocprim17ROCPRIM_400000_NS6detail17trampoline_kernelINS0_14default_configENS1_25transform_config_selectorIhLb0EEEZNS1_14transform_implILb0ES3_S5_NS0_18transform_iteratorINS0_17counting_iteratorImlEEZNS1_24adjacent_difference_implIS3_Lb1ELb0EPKhPhN6thrust23THRUST_200600_302600_NS4plusIhEEEE10hipError_tPvRmT2_T3_mT4_P12ihipStream_tbEUlmE_hEESD_NS0_8identityIvEEEESI_SL_SM_mSN_SP_bEUlT_E_NS1_11comp_targetILNS1_3genE4ELNS1_11target_archE910ELNS1_3gpuE8ELNS1_3repE0EEENS1_30default_config_static_selectorELNS0_4arch9wavefront6targetE1EEEvT1_, .Lfunc_end501-_ZN7rocprim17ROCPRIM_400000_NS6detail17trampoline_kernelINS0_14default_configENS1_25transform_config_selectorIhLb0EEEZNS1_14transform_implILb0ES3_S5_NS0_18transform_iteratorINS0_17counting_iteratorImlEEZNS1_24adjacent_difference_implIS3_Lb1ELb0EPKhPhN6thrust23THRUST_200600_302600_NS4plusIhEEEE10hipError_tPvRmT2_T3_mT4_P12ihipStream_tbEUlmE_hEESD_NS0_8identityIvEEEESI_SL_SM_mSN_SP_bEUlT_E_NS1_11comp_targetILNS1_3genE4ELNS1_11target_archE910ELNS1_3gpuE8ELNS1_3repE0EEENS1_30default_config_static_selectorELNS0_4arch9wavefront6targetE1EEEvT1_
                                        ; -- End function
	.section	.AMDGPU.csdata,"",@progbits
; Kernel info:
; codeLenInByte = 2796
; NumSgprs: 50
; NumVgprs: 20
; NumAgprs: 0
; TotalNumVgprs: 20
; ScratchSize: 0
; MemoryBound: 0
; FloatMode: 240
; IeeeMode: 1
; LDSByteSize: 0 bytes/workgroup (compile time only)
; SGPRBlocks: 6
; VGPRBlocks: 2
; NumSGPRsForWavesPerEU: 50
; NumVGPRsForWavesPerEU: 20
; AccumOffset: 20
; Occupancy: 8
; WaveLimiterHint : 0
; COMPUTE_PGM_RSRC2:SCRATCH_EN: 0
; COMPUTE_PGM_RSRC2:USER_SGPR: 6
; COMPUTE_PGM_RSRC2:TRAP_HANDLER: 0
; COMPUTE_PGM_RSRC2:TGID_X_EN: 1
; COMPUTE_PGM_RSRC2:TGID_Y_EN: 0
; COMPUTE_PGM_RSRC2:TGID_Z_EN: 0
; COMPUTE_PGM_RSRC2:TIDIG_COMP_CNT: 0
; COMPUTE_PGM_RSRC3_GFX90A:ACCUM_OFFSET: 4
; COMPUTE_PGM_RSRC3_GFX90A:TG_SPLIT: 0
	.section	.text._ZN7rocprim17ROCPRIM_400000_NS6detail17trampoline_kernelINS0_14default_configENS1_25transform_config_selectorIhLb0EEEZNS1_14transform_implILb0ES3_S5_NS0_18transform_iteratorINS0_17counting_iteratorImlEEZNS1_24adjacent_difference_implIS3_Lb1ELb0EPKhPhN6thrust23THRUST_200600_302600_NS4plusIhEEEE10hipError_tPvRmT2_T3_mT4_P12ihipStream_tbEUlmE_hEESD_NS0_8identityIvEEEESI_SL_SM_mSN_SP_bEUlT_E_NS1_11comp_targetILNS1_3genE3ELNS1_11target_archE908ELNS1_3gpuE7ELNS1_3repE0EEENS1_30default_config_static_selectorELNS0_4arch9wavefront6targetE1EEEvT1_,"axG",@progbits,_ZN7rocprim17ROCPRIM_400000_NS6detail17trampoline_kernelINS0_14default_configENS1_25transform_config_selectorIhLb0EEEZNS1_14transform_implILb0ES3_S5_NS0_18transform_iteratorINS0_17counting_iteratorImlEEZNS1_24adjacent_difference_implIS3_Lb1ELb0EPKhPhN6thrust23THRUST_200600_302600_NS4plusIhEEEE10hipError_tPvRmT2_T3_mT4_P12ihipStream_tbEUlmE_hEESD_NS0_8identityIvEEEESI_SL_SM_mSN_SP_bEUlT_E_NS1_11comp_targetILNS1_3genE3ELNS1_11target_archE908ELNS1_3gpuE7ELNS1_3repE0EEENS1_30default_config_static_selectorELNS0_4arch9wavefront6targetE1EEEvT1_,comdat
	.protected	_ZN7rocprim17ROCPRIM_400000_NS6detail17trampoline_kernelINS0_14default_configENS1_25transform_config_selectorIhLb0EEEZNS1_14transform_implILb0ES3_S5_NS0_18transform_iteratorINS0_17counting_iteratorImlEEZNS1_24adjacent_difference_implIS3_Lb1ELb0EPKhPhN6thrust23THRUST_200600_302600_NS4plusIhEEEE10hipError_tPvRmT2_T3_mT4_P12ihipStream_tbEUlmE_hEESD_NS0_8identityIvEEEESI_SL_SM_mSN_SP_bEUlT_E_NS1_11comp_targetILNS1_3genE3ELNS1_11target_archE908ELNS1_3gpuE7ELNS1_3repE0EEENS1_30default_config_static_selectorELNS0_4arch9wavefront6targetE1EEEvT1_ ; -- Begin function _ZN7rocprim17ROCPRIM_400000_NS6detail17trampoline_kernelINS0_14default_configENS1_25transform_config_selectorIhLb0EEEZNS1_14transform_implILb0ES3_S5_NS0_18transform_iteratorINS0_17counting_iteratorImlEEZNS1_24adjacent_difference_implIS3_Lb1ELb0EPKhPhN6thrust23THRUST_200600_302600_NS4plusIhEEEE10hipError_tPvRmT2_T3_mT4_P12ihipStream_tbEUlmE_hEESD_NS0_8identityIvEEEESI_SL_SM_mSN_SP_bEUlT_E_NS1_11comp_targetILNS1_3genE3ELNS1_11target_archE908ELNS1_3gpuE7ELNS1_3repE0EEENS1_30default_config_static_selectorELNS0_4arch9wavefront6targetE1EEEvT1_
	.globl	_ZN7rocprim17ROCPRIM_400000_NS6detail17trampoline_kernelINS0_14default_configENS1_25transform_config_selectorIhLb0EEEZNS1_14transform_implILb0ES3_S5_NS0_18transform_iteratorINS0_17counting_iteratorImlEEZNS1_24adjacent_difference_implIS3_Lb1ELb0EPKhPhN6thrust23THRUST_200600_302600_NS4plusIhEEEE10hipError_tPvRmT2_T3_mT4_P12ihipStream_tbEUlmE_hEESD_NS0_8identityIvEEEESI_SL_SM_mSN_SP_bEUlT_E_NS1_11comp_targetILNS1_3genE3ELNS1_11target_archE908ELNS1_3gpuE7ELNS1_3repE0EEENS1_30default_config_static_selectorELNS0_4arch9wavefront6targetE1EEEvT1_
	.p2align	8
	.type	_ZN7rocprim17ROCPRIM_400000_NS6detail17trampoline_kernelINS0_14default_configENS1_25transform_config_selectorIhLb0EEEZNS1_14transform_implILb0ES3_S5_NS0_18transform_iteratorINS0_17counting_iteratorImlEEZNS1_24adjacent_difference_implIS3_Lb1ELb0EPKhPhN6thrust23THRUST_200600_302600_NS4plusIhEEEE10hipError_tPvRmT2_T3_mT4_P12ihipStream_tbEUlmE_hEESD_NS0_8identityIvEEEESI_SL_SM_mSN_SP_bEUlT_E_NS1_11comp_targetILNS1_3genE3ELNS1_11target_archE908ELNS1_3gpuE7ELNS1_3repE0EEENS1_30default_config_static_selectorELNS0_4arch9wavefront6targetE1EEEvT1_,@function
_ZN7rocprim17ROCPRIM_400000_NS6detail17trampoline_kernelINS0_14default_configENS1_25transform_config_selectorIhLb0EEEZNS1_14transform_implILb0ES3_S5_NS0_18transform_iteratorINS0_17counting_iteratorImlEEZNS1_24adjacent_difference_implIS3_Lb1ELb0EPKhPhN6thrust23THRUST_200600_302600_NS4plusIhEEEE10hipError_tPvRmT2_T3_mT4_P12ihipStream_tbEUlmE_hEESD_NS0_8identityIvEEEESI_SL_SM_mSN_SP_bEUlT_E_NS1_11comp_targetILNS1_3genE3ELNS1_11target_archE908ELNS1_3gpuE7ELNS1_3repE0EEENS1_30default_config_static_selectorELNS0_4arch9wavefront6targetE1EEEvT1_: ; @_ZN7rocprim17ROCPRIM_400000_NS6detail17trampoline_kernelINS0_14default_configENS1_25transform_config_selectorIhLb0EEEZNS1_14transform_implILb0ES3_S5_NS0_18transform_iteratorINS0_17counting_iteratorImlEEZNS1_24adjacent_difference_implIS3_Lb1ELb0EPKhPhN6thrust23THRUST_200600_302600_NS4plusIhEEEE10hipError_tPvRmT2_T3_mT4_P12ihipStream_tbEUlmE_hEESD_NS0_8identityIvEEEESI_SL_SM_mSN_SP_bEUlT_E_NS1_11comp_targetILNS1_3genE3ELNS1_11target_archE908ELNS1_3gpuE7ELNS1_3repE0EEENS1_30default_config_static_selectorELNS0_4arch9wavefront6targetE1EEEvT1_
; %bb.0:
	.section	.rodata,"a",@progbits
	.p2align	6, 0x0
	.amdhsa_kernel _ZN7rocprim17ROCPRIM_400000_NS6detail17trampoline_kernelINS0_14default_configENS1_25transform_config_selectorIhLb0EEEZNS1_14transform_implILb0ES3_S5_NS0_18transform_iteratorINS0_17counting_iteratorImlEEZNS1_24adjacent_difference_implIS3_Lb1ELb0EPKhPhN6thrust23THRUST_200600_302600_NS4plusIhEEEE10hipError_tPvRmT2_T3_mT4_P12ihipStream_tbEUlmE_hEESD_NS0_8identityIvEEEESI_SL_SM_mSN_SP_bEUlT_E_NS1_11comp_targetILNS1_3genE3ELNS1_11target_archE908ELNS1_3gpuE7ELNS1_3repE0EEENS1_30default_config_static_selectorELNS0_4arch9wavefront6targetE1EEEvT1_
		.amdhsa_group_segment_fixed_size 0
		.amdhsa_private_segment_fixed_size 0
		.amdhsa_kernarg_size 56
		.amdhsa_user_sgpr_count 6
		.amdhsa_user_sgpr_private_segment_buffer 1
		.amdhsa_user_sgpr_dispatch_ptr 0
		.amdhsa_user_sgpr_queue_ptr 0
		.amdhsa_user_sgpr_kernarg_segment_ptr 1
		.amdhsa_user_sgpr_dispatch_id 0
		.amdhsa_user_sgpr_flat_scratch_init 0
		.amdhsa_user_sgpr_kernarg_preload_length 0
		.amdhsa_user_sgpr_kernarg_preload_offset 0
		.amdhsa_user_sgpr_private_segment_size 0
		.amdhsa_uses_dynamic_stack 0
		.amdhsa_system_sgpr_private_segment_wavefront_offset 0
		.amdhsa_system_sgpr_workgroup_id_x 1
		.amdhsa_system_sgpr_workgroup_id_y 0
		.amdhsa_system_sgpr_workgroup_id_z 0
		.amdhsa_system_sgpr_workgroup_info 0
		.amdhsa_system_vgpr_workitem_id 0
		.amdhsa_next_free_vgpr 1
		.amdhsa_next_free_sgpr 0
		.amdhsa_accum_offset 4
		.amdhsa_reserve_vcc 0
		.amdhsa_reserve_flat_scratch 0
		.amdhsa_float_round_mode_32 0
		.amdhsa_float_round_mode_16_64 0
		.amdhsa_float_denorm_mode_32 3
		.amdhsa_float_denorm_mode_16_64 3
		.amdhsa_dx10_clamp 1
		.amdhsa_ieee_mode 1
		.amdhsa_fp16_overflow 0
		.amdhsa_tg_split 0
		.amdhsa_exception_fp_ieee_invalid_op 0
		.amdhsa_exception_fp_denorm_src 0
		.amdhsa_exception_fp_ieee_div_zero 0
		.amdhsa_exception_fp_ieee_overflow 0
		.amdhsa_exception_fp_ieee_underflow 0
		.amdhsa_exception_fp_ieee_inexact 0
		.amdhsa_exception_int_div_zero 0
	.end_amdhsa_kernel
	.section	.text._ZN7rocprim17ROCPRIM_400000_NS6detail17trampoline_kernelINS0_14default_configENS1_25transform_config_selectorIhLb0EEEZNS1_14transform_implILb0ES3_S5_NS0_18transform_iteratorINS0_17counting_iteratorImlEEZNS1_24adjacent_difference_implIS3_Lb1ELb0EPKhPhN6thrust23THRUST_200600_302600_NS4plusIhEEEE10hipError_tPvRmT2_T3_mT4_P12ihipStream_tbEUlmE_hEESD_NS0_8identityIvEEEESI_SL_SM_mSN_SP_bEUlT_E_NS1_11comp_targetILNS1_3genE3ELNS1_11target_archE908ELNS1_3gpuE7ELNS1_3repE0EEENS1_30default_config_static_selectorELNS0_4arch9wavefront6targetE1EEEvT1_,"axG",@progbits,_ZN7rocprim17ROCPRIM_400000_NS6detail17trampoline_kernelINS0_14default_configENS1_25transform_config_selectorIhLb0EEEZNS1_14transform_implILb0ES3_S5_NS0_18transform_iteratorINS0_17counting_iteratorImlEEZNS1_24adjacent_difference_implIS3_Lb1ELb0EPKhPhN6thrust23THRUST_200600_302600_NS4plusIhEEEE10hipError_tPvRmT2_T3_mT4_P12ihipStream_tbEUlmE_hEESD_NS0_8identityIvEEEESI_SL_SM_mSN_SP_bEUlT_E_NS1_11comp_targetILNS1_3genE3ELNS1_11target_archE908ELNS1_3gpuE7ELNS1_3repE0EEENS1_30default_config_static_selectorELNS0_4arch9wavefront6targetE1EEEvT1_,comdat
.Lfunc_end502:
	.size	_ZN7rocprim17ROCPRIM_400000_NS6detail17trampoline_kernelINS0_14default_configENS1_25transform_config_selectorIhLb0EEEZNS1_14transform_implILb0ES3_S5_NS0_18transform_iteratorINS0_17counting_iteratorImlEEZNS1_24adjacent_difference_implIS3_Lb1ELb0EPKhPhN6thrust23THRUST_200600_302600_NS4plusIhEEEE10hipError_tPvRmT2_T3_mT4_P12ihipStream_tbEUlmE_hEESD_NS0_8identityIvEEEESI_SL_SM_mSN_SP_bEUlT_E_NS1_11comp_targetILNS1_3genE3ELNS1_11target_archE908ELNS1_3gpuE7ELNS1_3repE0EEENS1_30default_config_static_selectorELNS0_4arch9wavefront6targetE1EEEvT1_, .Lfunc_end502-_ZN7rocprim17ROCPRIM_400000_NS6detail17trampoline_kernelINS0_14default_configENS1_25transform_config_selectorIhLb0EEEZNS1_14transform_implILb0ES3_S5_NS0_18transform_iteratorINS0_17counting_iteratorImlEEZNS1_24adjacent_difference_implIS3_Lb1ELb0EPKhPhN6thrust23THRUST_200600_302600_NS4plusIhEEEE10hipError_tPvRmT2_T3_mT4_P12ihipStream_tbEUlmE_hEESD_NS0_8identityIvEEEESI_SL_SM_mSN_SP_bEUlT_E_NS1_11comp_targetILNS1_3genE3ELNS1_11target_archE908ELNS1_3gpuE7ELNS1_3repE0EEENS1_30default_config_static_selectorELNS0_4arch9wavefront6targetE1EEEvT1_
                                        ; -- End function
	.section	.AMDGPU.csdata,"",@progbits
; Kernel info:
; codeLenInByte = 0
; NumSgprs: 4
; NumVgprs: 0
; NumAgprs: 0
; TotalNumVgprs: 0
; ScratchSize: 0
; MemoryBound: 0
; FloatMode: 240
; IeeeMode: 1
; LDSByteSize: 0 bytes/workgroup (compile time only)
; SGPRBlocks: 0
; VGPRBlocks: 0
; NumSGPRsForWavesPerEU: 4
; NumVGPRsForWavesPerEU: 1
; AccumOffset: 4
; Occupancy: 8
; WaveLimiterHint : 0
; COMPUTE_PGM_RSRC2:SCRATCH_EN: 0
; COMPUTE_PGM_RSRC2:USER_SGPR: 6
; COMPUTE_PGM_RSRC2:TRAP_HANDLER: 0
; COMPUTE_PGM_RSRC2:TGID_X_EN: 1
; COMPUTE_PGM_RSRC2:TGID_Y_EN: 0
; COMPUTE_PGM_RSRC2:TGID_Z_EN: 0
; COMPUTE_PGM_RSRC2:TIDIG_COMP_CNT: 0
; COMPUTE_PGM_RSRC3_GFX90A:ACCUM_OFFSET: 0
; COMPUTE_PGM_RSRC3_GFX90A:TG_SPLIT: 0
	.section	.text._ZN7rocprim17ROCPRIM_400000_NS6detail17trampoline_kernelINS0_14default_configENS1_25transform_config_selectorIhLb0EEEZNS1_14transform_implILb0ES3_S5_NS0_18transform_iteratorINS0_17counting_iteratorImlEEZNS1_24adjacent_difference_implIS3_Lb1ELb0EPKhPhN6thrust23THRUST_200600_302600_NS4plusIhEEEE10hipError_tPvRmT2_T3_mT4_P12ihipStream_tbEUlmE_hEESD_NS0_8identityIvEEEESI_SL_SM_mSN_SP_bEUlT_E_NS1_11comp_targetILNS1_3genE2ELNS1_11target_archE906ELNS1_3gpuE6ELNS1_3repE0EEENS1_30default_config_static_selectorELNS0_4arch9wavefront6targetE1EEEvT1_,"axG",@progbits,_ZN7rocprim17ROCPRIM_400000_NS6detail17trampoline_kernelINS0_14default_configENS1_25transform_config_selectorIhLb0EEEZNS1_14transform_implILb0ES3_S5_NS0_18transform_iteratorINS0_17counting_iteratorImlEEZNS1_24adjacent_difference_implIS3_Lb1ELb0EPKhPhN6thrust23THRUST_200600_302600_NS4plusIhEEEE10hipError_tPvRmT2_T3_mT4_P12ihipStream_tbEUlmE_hEESD_NS0_8identityIvEEEESI_SL_SM_mSN_SP_bEUlT_E_NS1_11comp_targetILNS1_3genE2ELNS1_11target_archE906ELNS1_3gpuE6ELNS1_3repE0EEENS1_30default_config_static_selectorELNS0_4arch9wavefront6targetE1EEEvT1_,comdat
	.protected	_ZN7rocprim17ROCPRIM_400000_NS6detail17trampoline_kernelINS0_14default_configENS1_25transform_config_selectorIhLb0EEEZNS1_14transform_implILb0ES3_S5_NS0_18transform_iteratorINS0_17counting_iteratorImlEEZNS1_24adjacent_difference_implIS3_Lb1ELb0EPKhPhN6thrust23THRUST_200600_302600_NS4plusIhEEEE10hipError_tPvRmT2_T3_mT4_P12ihipStream_tbEUlmE_hEESD_NS0_8identityIvEEEESI_SL_SM_mSN_SP_bEUlT_E_NS1_11comp_targetILNS1_3genE2ELNS1_11target_archE906ELNS1_3gpuE6ELNS1_3repE0EEENS1_30default_config_static_selectorELNS0_4arch9wavefront6targetE1EEEvT1_ ; -- Begin function _ZN7rocprim17ROCPRIM_400000_NS6detail17trampoline_kernelINS0_14default_configENS1_25transform_config_selectorIhLb0EEEZNS1_14transform_implILb0ES3_S5_NS0_18transform_iteratorINS0_17counting_iteratorImlEEZNS1_24adjacent_difference_implIS3_Lb1ELb0EPKhPhN6thrust23THRUST_200600_302600_NS4plusIhEEEE10hipError_tPvRmT2_T3_mT4_P12ihipStream_tbEUlmE_hEESD_NS0_8identityIvEEEESI_SL_SM_mSN_SP_bEUlT_E_NS1_11comp_targetILNS1_3genE2ELNS1_11target_archE906ELNS1_3gpuE6ELNS1_3repE0EEENS1_30default_config_static_selectorELNS0_4arch9wavefront6targetE1EEEvT1_
	.globl	_ZN7rocprim17ROCPRIM_400000_NS6detail17trampoline_kernelINS0_14default_configENS1_25transform_config_selectorIhLb0EEEZNS1_14transform_implILb0ES3_S5_NS0_18transform_iteratorINS0_17counting_iteratorImlEEZNS1_24adjacent_difference_implIS3_Lb1ELb0EPKhPhN6thrust23THRUST_200600_302600_NS4plusIhEEEE10hipError_tPvRmT2_T3_mT4_P12ihipStream_tbEUlmE_hEESD_NS0_8identityIvEEEESI_SL_SM_mSN_SP_bEUlT_E_NS1_11comp_targetILNS1_3genE2ELNS1_11target_archE906ELNS1_3gpuE6ELNS1_3repE0EEENS1_30default_config_static_selectorELNS0_4arch9wavefront6targetE1EEEvT1_
	.p2align	8
	.type	_ZN7rocprim17ROCPRIM_400000_NS6detail17trampoline_kernelINS0_14default_configENS1_25transform_config_selectorIhLb0EEEZNS1_14transform_implILb0ES3_S5_NS0_18transform_iteratorINS0_17counting_iteratorImlEEZNS1_24adjacent_difference_implIS3_Lb1ELb0EPKhPhN6thrust23THRUST_200600_302600_NS4plusIhEEEE10hipError_tPvRmT2_T3_mT4_P12ihipStream_tbEUlmE_hEESD_NS0_8identityIvEEEESI_SL_SM_mSN_SP_bEUlT_E_NS1_11comp_targetILNS1_3genE2ELNS1_11target_archE906ELNS1_3gpuE6ELNS1_3repE0EEENS1_30default_config_static_selectorELNS0_4arch9wavefront6targetE1EEEvT1_,@function
_ZN7rocprim17ROCPRIM_400000_NS6detail17trampoline_kernelINS0_14default_configENS1_25transform_config_selectorIhLb0EEEZNS1_14transform_implILb0ES3_S5_NS0_18transform_iteratorINS0_17counting_iteratorImlEEZNS1_24adjacent_difference_implIS3_Lb1ELb0EPKhPhN6thrust23THRUST_200600_302600_NS4plusIhEEEE10hipError_tPvRmT2_T3_mT4_P12ihipStream_tbEUlmE_hEESD_NS0_8identityIvEEEESI_SL_SM_mSN_SP_bEUlT_E_NS1_11comp_targetILNS1_3genE2ELNS1_11target_archE906ELNS1_3gpuE6ELNS1_3repE0EEENS1_30default_config_static_selectorELNS0_4arch9wavefront6targetE1EEEvT1_: ; @_ZN7rocprim17ROCPRIM_400000_NS6detail17trampoline_kernelINS0_14default_configENS1_25transform_config_selectorIhLb0EEEZNS1_14transform_implILb0ES3_S5_NS0_18transform_iteratorINS0_17counting_iteratorImlEEZNS1_24adjacent_difference_implIS3_Lb1ELb0EPKhPhN6thrust23THRUST_200600_302600_NS4plusIhEEEE10hipError_tPvRmT2_T3_mT4_P12ihipStream_tbEUlmE_hEESD_NS0_8identityIvEEEESI_SL_SM_mSN_SP_bEUlT_E_NS1_11comp_targetILNS1_3genE2ELNS1_11target_archE906ELNS1_3gpuE6ELNS1_3repE0EEENS1_30default_config_static_selectorELNS0_4arch9wavefront6targetE1EEEvT1_
; %bb.0:
	.section	.rodata,"a",@progbits
	.p2align	6, 0x0
	.amdhsa_kernel _ZN7rocprim17ROCPRIM_400000_NS6detail17trampoline_kernelINS0_14default_configENS1_25transform_config_selectorIhLb0EEEZNS1_14transform_implILb0ES3_S5_NS0_18transform_iteratorINS0_17counting_iteratorImlEEZNS1_24adjacent_difference_implIS3_Lb1ELb0EPKhPhN6thrust23THRUST_200600_302600_NS4plusIhEEEE10hipError_tPvRmT2_T3_mT4_P12ihipStream_tbEUlmE_hEESD_NS0_8identityIvEEEESI_SL_SM_mSN_SP_bEUlT_E_NS1_11comp_targetILNS1_3genE2ELNS1_11target_archE906ELNS1_3gpuE6ELNS1_3repE0EEENS1_30default_config_static_selectorELNS0_4arch9wavefront6targetE1EEEvT1_
		.amdhsa_group_segment_fixed_size 0
		.amdhsa_private_segment_fixed_size 0
		.amdhsa_kernarg_size 56
		.amdhsa_user_sgpr_count 6
		.amdhsa_user_sgpr_private_segment_buffer 1
		.amdhsa_user_sgpr_dispatch_ptr 0
		.amdhsa_user_sgpr_queue_ptr 0
		.amdhsa_user_sgpr_kernarg_segment_ptr 1
		.amdhsa_user_sgpr_dispatch_id 0
		.amdhsa_user_sgpr_flat_scratch_init 0
		.amdhsa_user_sgpr_kernarg_preload_length 0
		.amdhsa_user_sgpr_kernarg_preload_offset 0
		.amdhsa_user_sgpr_private_segment_size 0
		.amdhsa_uses_dynamic_stack 0
		.amdhsa_system_sgpr_private_segment_wavefront_offset 0
		.amdhsa_system_sgpr_workgroup_id_x 1
		.amdhsa_system_sgpr_workgroup_id_y 0
		.amdhsa_system_sgpr_workgroup_id_z 0
		.amdhsa_system_sgpr_workgroup_info 0
		.amdhsa_system_vgpr_workitem_id 0
		.amdhsa_next_free_vgpr 1
		.amdhsa_next_free_sgpr 0
		.amdhsa_accum_offset 4
		.amdhsa_reserve_vcc 0
		.amdhsa_reserve_flat_scratch 0
		.amdhsa_float_round_mode_32 0
		.amdhsa_float_round_mode_16_64 0
		.amdhsa_float_denorm_mode_32 3
		.amdhsa_float_denorm_mode_16_64 3
		.amdhsa_dx10_clamp 1
		.amdhsa_ieee_mode 1
		.amdhsa_fp16_overflow 0
		.amdhsa_tg_split 0
		.amdhsa_exception_fp_ieee_invalid_op 0
		.amdhsa_exception_fp_denorm_src 0
		.amdhsa_exception_fp_ieee_div_zero 0
		.amdhsa_exception_fp_ieee_overflow 0
		.amdhsa_exception_fp_ieee_underflow 0
		.amdhsa_exception_fp_ieee_inexact 0
		.amdhsa_exception_int_div_zero 0
	.end_amdhsa_kernel
	.section	.text._ZN7rocprim17ROCPRIM_400000_NS6detail17trampoline_kernelINS0_14default_configENS1_25transform_config_selectorIhLb0EEEZNS1_14transform_implILb0ES3_S5_NS0_18transform_iteratorINS0_17counting_iteratorImlEEZNS1_24adjacent_difference_implIS3_Lb1ELb0EPKhPhN6thrust23THRUST_200600_302600_NS4plusIhEEEE10hipError_tPvRmT2_T3_mT4_P12ihipStream_tbEUlmE_hEESD_NS0_8identityIvEEEESI_SL_SM_mSN_SP_bEUlT_E_NS1_11comp_targetILNS1_3genE2ELNS1_11target_archE906ELNS1_3gpuE6ELNS1_3repE0EEENS1_30default_config_static_selectorELNS0_4arch9wavefront6targetE1EEEvT1_,"axG",@progbits,_ZN7rocprim17ROCPRIM_400000_NS6detail17trampoline_kernelINS0_14default_configENS1_25transform_config_selectorIhLb0EEEZNS1_14transform_implILb0ES3_S5_NS0_18transform_iteratorINS0_17counting_iteratorImlEEZNS1_24adjacent_difference_implIS3_Lb1ELb0EPKhPhN6thrust23THRUST_200600_302600_NS4plusIhEEEE10hipError_tPvRmT2_T3_mT4_P12ihipStream_tbEUlmE_hEESD_NS0_8identityIvEEEESI_SL_SM_mSN_SP_bEUlT_E_NS1_11comp_targetILNS1_3genE2ELNS1_11target_archE906ELNS1_3gpuE6ELNS1_3repE0EEENS1_30default_config_static_selectorELNS0_4arch9wavefront6targetE1EEEvT1_,comdat
.Lfunc_end503:
	.size	_ZN7rocprim17ROCPRIM_400000_NS6detail17trampoline_kernelINS0_14default_configENS1_25transform_config_selectorIhLb0EEEZNS1_14transform_implILb0ES3_S5_NS0_18transform_iteratorINS0_17counting_iteratorImlEEZNS1_24adjacent_difference_implIS3_Lb1ELb0EPKhPhN6thrust23THRUST_200600_302600_NS4plusIhEEEE10hipError_tPvRmT2_T3_mT4_P12ihipStream_tbEUlmE_hEESD_NS0_8identityIvEEEESI_SL_SM_mSN_SP_bEUlT_E_NS1_11comp_targetILNS1_3genE2ELNS1_11target_archE906ELNS1_3gpuE6ELNS1_3repE0EEENS1_30default_config_static_selectorELNS0_4arch9wavefront6targetE1EEEvT1_, .Lfunc_end503-_ZN7rocprim17ROCPRIM_400000_NS6detail17trampoline_kernelINS0_14default_configENS1_25transform_config_selectorIhLb0EEEZNS1_14transform_implILb0ES3_S5_NS0_18transform_iteratorINS0_17counting_iteratorImlEEZNS1_24adjacent_difference_implIS3_Lb1ELb0EPKhPhN6thrust23THRUST_200600_302600_NS4plusIhEEEE10hipError_tPvRmT2_T3_mT4_P12ihipStream_tbEUlmE_hEESD_NS0_8identityIvEEEESI_SL_SM_mSN_SP_bEUlT_E_NS1_11comp_targetILNS1_3genE2ELNS1_11target_archE906ELNS1_3gpuE6ELNS1_3repE0EEENS1_30default_config_static_selectorELNS0_4arch9wavefront6targetE1EEEvT1_
                                        ; -- End function
	.section	.AMDGPU.csdata,"",@progbits
; Kernel info:
; codeLenInByte = 0
; NumSgprs: 4
; NumVgprs: 0
; NumAgprs: 0
; TotalNumVgprs: 0
; ScratchSize: 0
; MemoryBound: 0
; FloatMode: 240
; IeeeMode: 1
; LDSByteSize: 0 bytes/workgroup (compile time only)
; SGPRBlocks: 0
; VGPRBlocks: 0
; NumSGPRsForWavesPerEU: 4
; NumVGPRsForWavesPerEU: 1
; AccumOffset: 4
; Occupancy: 8
; WaveLimiterHint : 0
; COMPUTE_PGM_RSRC2:SCRATCH_EN: 0
; COMPUTE_PGM_RSRC2:USER_SGPR: 6
; COMPUTE_PGM_RSRC2:TRAP_HANDLER: 0
; COMPUTE_PGM_RSRC2:TGID_X_EN: 1
; COMPUTE_PGM_RSRC2:TGID_Y_EN: 0
; COMPUTE_PGM_RSRC2:TGID_Z_EN: 0
; COMPUTE_PGM_RSRC2:TIDIG_COMP_CNT: 0
; COMPUTE_PGM_RSRC3_GFX90A:ACCUM_OFFSET: 0
; COMPUTE_PGM_RSRC3_GFX90A:TG_SPLIT: 0
	.section	.text._ZN7rocprim17ROCPRIM_400000_NS6detail17trampoline_kernelINS0_14default_configENS1_25transform_config_selectorIhLb0EEEZNS1_14transform_implILb0ES3_S5_NS0_18transform_iteratorINS0_17counting_iteratorImlEEZNS1_24adjacent_difference_implIS3_Lb1ELb0EPKhPhN6thrust23THRUST_200600_302600_NS4plusIhEEEE10hipError_tPvRmT2_T3_mT4_P12ihipStream_tbEUlmE_hEESD_NS0_8identityIvEEEESI_SL_SM_mSN_SP_bEUlT_E_NS1_11comp_targetILNS1_3genE10ELNS1_11target_archE1201ELNS1_3gpuE5ELNS1_3repE0EEENS1_30default_config_static_selectorELNS0_4arch9wavefront6targetE1EEEvT1_,"axG",@progbits,_ZN7rocprim17ROCPRIM_400000_NS6detail17trampoline_kernelINS0_14default_configENS1_25transform_config_selectorIhLb0EEEZNS1_14transform_implILb0ES3_S5_NS0_18transform_iteratorINS0_17counting_iteratorImlEEZNS1_24adjacent_difference_implIS3_Lb1ELb0EPKhPhN6thrust23THRUST_200600_302600_NS4plusIhEEEE10hipError_tPvRmT2_T3_mT4_P12ihipStream_tbEUlmE_hEESD_NS0_8identityIvEEEESI_SL_SM_mSN_SP_bEUlT_E_NS1_11comp_targetILNS1_3genE10ELNS1_11target_archE1201ELNS1_3gpuE5ELNS1_3repE0EEENS1_30default_config_static_selectorELNS0_4arch9wavefront6targetE1EEEvT1_,comdat
	.protected	_ZN7rocprim17ROCPRIM_400000_NS6detail17trampoline_kernelINS0_14default_configENS1_25transform_config_selectorIhLb0EEEZNS1_14transform_implILb0ES3_S5_NS0_18transform_iteratorINS0_17counting_iteratorImlEEZNS1_24adjacent_difference_implIS3_Lb1ELb0EPKhPhN6thrust23THRUST_200600_302600_NS4plusIhEEEE10hipError_tPvRmT2_T3_mT4_P12ihipStream_tbEUlmE_hEESD_NS0_8identityIvEEEESI_SL_SM_mSN_SP_bEUlT_E_NS1_11comp_targetILNS1_3genE10ELNS1_11target_archE1201ELNS1_3gpuE5ELNS1_3repE0EEENS1_30default_config_static_selectorELNS0_4arch9wavefront6targetE1EEEvT1_ ; -- Begin function _ZN7rocprim17ROCPRIM_400000_NS6detail17trampoline_kernelINS0_14default_configENS1_25transform_config_selectorIhLb0EEEZNS1_14transform_implILb0ES3_S5_NS0_18transform_iteratorINS0_17counting_iteratorImlEEZNS1_24adjacent_difference_implIS3_Lb1ELb0EPKhPhN6thrust23THRUST_200600_302600_NS4plusIhEEEE10hipError_tPvRmT2_T3_mT4_P12ihipStream_tbEUlmE_hEESD_NS0_8identityIvEEEESI_SL_SM_mSN_SP_bEUlT_E_NS1_11comp_targetILNS1_3genE10ELNS1_11target_archE1201ELNS1_3gpuE5ELNS1_3repE0EEENS1_30default_config_static_selectorELNS0_4arch9wavefront6targetE1EEEvT1_
	.globl	_ZN7rocprim17ROCPRIM_400000_NS6detail17trampoline_kernelINS0_14default_configENS1_25transform_config_selectorIhLb0EEEZNS1_14transform_implILb0ES3_S5_NS0_18transform_iteratorINS0_17counting_iteratorImlEEZNS1_24adjacent_difference_implIS3_Lb1ELb0EPKhPhN6thrust23THRUST_200600_302600_NS4plusIhEEEE10hipError_tPvRmT2_T3_mT4_P12ihipStream_tbEUlmE_hEESD_NS0_8identityIvEEEESI_SL_SM_mSN_SP_bEUlT_E_NS1_11comp_targetILNS1_3genE10ELNS1_11target_archE1201ELNS1_3gpuE5ELNS1_3repE0EEENS1_30default_config_static_selectorELNS0_4arch9wavefront6targetE1EEEvT1_
	.p2align	8
	.type	_ZN7rocprim17ROCPRIM_400000_NS6detail17trampoline_kernelINS0_14default_configENS1_25transform_config_selectorIhLb0EEEZNS1_14transform_implILb0ES3_S5_NS0_18transform_iteratorINS0_17counting_iteratorImlEEZNS1_24adjacent_difference_implIS3_Lb1ELb0EPKhPhN6thrust23THRUST_200600_302600_NS4plusIhEEEE10hipError_tPvRmT2_T3_mT4_P12ihipStream_tbEUlmE_hEESD_NS0_8identityIvEEEESI_SL_SM_mSN_SP_bEUlT_E_NS1_11comp_targetILNS1_3genE10ELNS1_11target_archE1201ELNS1_3gpuE5ELNS1_3repE0EEENS1_30default_config_static_selectorELNS0_4arch9wavefront6targetE1EEEvT1_,@function
_ZN7rocprim17ROCPRIM_400000_NS6detail17trampoline_kernelINS0_14default_configENS1_25transform_config_selectorIhLb0EEEZNS1_14transform_implILb0ES3_S5_NS0_18transform_iteratorINS0_17counting_iteratorImlEEZNS1_24adjacent_difference_implIS3_Lb1ELb0EPKhPhN6thrust23THRUST_200600_302600_NS4plusIhEEEE10hipError_tPvRmT2_T3_mT4_P12ihipStream_tbEUlmE_hEESD_NS0_8identityIvEEEESI_SL_SM_mSN_SP_bEUlT_E_NS1_11comp_targetILNS1_3genE10ELNS1_11target_archE1201ELNS1_3gpuE5ELNS1_3repE0EEENS1_30default_config_static_selectorELNS0_4arch9wavefront6targetE1EEEvT1_: ; @_ZN7rocprim17ROCPRIM_400000_NS6detail17trampoline_kernelINS0_14default_configENS1_25transform_config_selectorIhLb0EEEZNS1_14transform_implILb0ES3_S5_NS0_18transform_iteratorINS0_17counting_iteratorImlEEZNS1_24adjacent_difference_implIS3_Lb1ELb0EPKhPhN6thrust23THRUST_200600_302600_NS4plusIhEEEE10hipError_tPvRmT2_T3_mT4_P12ihipStream_tbEUlmE_hEESD_NS0_8identityIvEEEESI_SL_SM_mSN_SP_bEUlT_E_NS1_11comp_targetILNS1_3genE10ELNS1_11target_archE1201ELNS1_3gpuE5ELNS1_3repE0EEENS1_30default_config_static_selectorELNS0_4arch9wavefront6targetE1EEEvT1_
; %bb.0:
	.section	.rodata,"a",@progbits
	.p2align	6, 0x0
	.amdhsa_kernel _ZN7rocprim17ROCPRIM_400000_NS6detail17trampoline_kernelINS0_14default_configENS1_25transform_config_selectorIhLb0EEEZNS1_14transform_implILb0ES3_S5_NS0_18transform_iteratorINS0_17counting_iteratorImlEEZNS1_24adjacent_difference_implIS3_Lb1ELb0EPKhPhN6thrust23THRUST_200600_302600_NS4plusIhEEEE10hipError_tPvRmT2_T3_mT4_P12ihipStream_tbEUlmE_hEESD_NS0_8identityIvEEEESI_SL_SM_mSN_SP_bEUlT_E_NS1_11comp_targetILNS1_3genE10ELNS1_11target_archE1201ELNS1_3gpuE5ELNS1_3repE0EEENS1_30default_config_static_selectorELNS0_4arch9wavefront6targetE1EEEvT1_
		.amdhsa_group_segment_fixed_size 0
		.amdhsa_private_segment_fixed_size 0
		.amdhsa_kernarg_size 56
		.amdhsa_user_sgpr_count 6
		.amdhsa_user_sgpr_private_segment_buffer 1
		.amdhsa_user_sgpr_dispatch_ptr 0
		.amdhsa_user_sgpr_queue_ptr 0
		.amdhsa_user_sgpr_kernarg_segment_ptr 1
		.amdhsa_user_sgpr_dispatch_id 0
		.amdhsa_user_sgpr_flat_scratch_init 0
		.amdhsa_user_sgpr_kernarg_preload_length 0
		.amdhsa_user_sgpr_kernarg_preload_offset 0
		.amdhsa_user_sgpr_private_segment_size 0
		.amdhsa_uses_dynamic_stack 0
		.amdhsa_system_sgpr_private_segment_wavefront_offset 0
		.amdhsa_system_sgpr_workgroup_id_x 1
		.amdhsa_system_sgpr_workgroup_id_y 0
		.amdhsa_system_sgpr_workgroup_id_z 0
		.amdhsa_system_sgpr_workgroup_info 0
		.amdhsa_system_vgpr_workitem_id 0
		.amdhsa_next_free_vgpr 1
		.amdhsa_next_free_sgpr 0
		.amdhsa_accum_offset 4
		.amdhsa_reserve_vcc 0
		.amdhsa_reserve_flat_scratch 0
		.amdhsa_float_round_mode_32 0
		.amdhsa_float_round_mode_16_64 0
		.amdhsa_float_denorm_mode_32 3
		.amdhsa_float_denorm_mode_16_64 3
		.amdhsa_dx10_clamp 1
		.amdhsa_ieee_mode 1
		.amdhsa_fp16_overflow 0
		.amdhsa_tg_split 0
		.amdhsa_exception_fp_ieee_invalid_op 0
		.amdhsa_exception_fp_denorm_src 0
		.amdhsa_exception_fp_ieee_div_zero 0
		.amdhsa_exception_fp_ieee_overflow 0
		.amdhsa_exception_fp_ieee_underflow 0
		.amdhsa_exception_fp_ieee_inexact 0
		.amdhsa_exception_int_div_zero 0
	.end_amdhsa_kernel
	.section	.text._ZN7rocprim17ROCPRIM_400000_NS6detail17trampoline_kernelINS0_14default_configENS1_25transform_config_selectorIhLb0EEEZNS1_14transform_implILb0ES3_S5_NS0_18transform_iteratorINS0_17counting_iteratorImlEEZNS1_24adjacent_difference_implIS3_Lb1ELb0EPKhPhN6thrust23THRUST_200600_302600_NS4plusIhEEEE10hipError_tPvRmT2_T3_mT4_P12ihipStream_tbEUlmE_hEESD_NS0_8identityIvEEEESI_SL_SM_mSN_SP_bEUlT_E_NS1_11comp_targetILNS1_3genE10ELNS1_11target_archE1201ELNS1_3gpuE5ELNS1_3repE0EEENS1_30default_config_static_selectorELNS0_4arch9wavefront6targetE1EEEvT1_,"axG",@progbits,_ZN7rocprim17ROCPRIM_400000_NS6detail17trampoline_kernelINS0_14default_configENS1_25transform_config_selectorIhLb0EEEZNS1_14transform_implILb0ES3_S5_NS0_18transform_iteratorINS0_17counting_iteratorImlEEZNS1_24adjacent_difference_implIS3_Lb1ELb0EPKhPhN6thrust23THRUST_200600_302600_NS4plusIhEEEE10hipError_tPvRmT2_T3_mT4_P12ihipStream_tbEUlmE_hEESD_NS0_8identityIvEEEESI_SL_SM_mSN_SP_bEUlT_E_NS1_11comp_targetILNS1_3genE10ELNS1_11target_archE1201ELNS1_3gpuE5ELNS1_3repE0EEENS1_30default_config_static_selectorELNS0_4arch9wavefront6targetE1EEEvT1_,comdat
.Lfunc_end504:
	.size	_ZN7rocprim17ROCPRIM_400000_NS6detail17trampoline_kernelINS0_14default_configENS1_25transform_config_selectorIhLb0EEEZNS1_14transform_implILb0ES3_S5_NS0_18transform_iteratorINS0_17counting_iteratorImlEEZNS1_24adjacent_difference_implIS3_Lb1ELb0EPKhPhN6thrust23THRUST_200600_302600_NS4plusIhEEEE10hipError_tPvRmT2_T3_mT4_P12ihipStream_tbEUlmE_hEESD_NS0_8identityIvEEEESI_SL_SM_mSN_SP_bEUlT_E_NS1_11comp_targetILNS1_3genE10ELNS1_11target_archE1201ELNS1_3gpuE5ELNS1_3repE0EEENS1_30default_config_static_selectorELNS0_4arch9wavefront6targetE1EEEvT1_, .Lfunc_end504-_ZN7rocprim17ROCPRIM_400000_NS6detail17trampoline_kernelINS0_14default_configENS1_25transform_config_selectorIhLb0EEEZNS1_14transform_implILb0ES3_S5_NS0_18transform_iteratorINS0_17counting_iteratorImlEEZNS1_24adjacent_difference_implIS3_Lb1ELb0EPKhPhN6thrust23THRUST_200600_302600_NS4plusIhEEEE10hipError_tPvRmT2_T3_mT4_P12ihipStream_tbEUlmE_hEESD_NS0_8identityIvEEEESI_SL_SM_mSN_SP_bEUlT_E_NS1_11comp_targetILNS1_3genE10ELNS1_11target_archE1201ELNS1_3gpuE5ELNS1_3repE0EEENS1_30default_config_static_selectorELNS0_4arch9wavefront6targetE1EEEvT1_
                                        ; -- End function
	.section	.AMDGPU.csdata,"",@progbits
; Kernel info:
; codeLenInByte = 0
; NumSgprs: 4
; NumVgprs: 0
; NumAgprs: 0
; TotalNumVgprs: 0
; ScratchSize: 0
; MemoryBound: 0
; FloatMode: 240
; IeeeMode: 1
; LDSByteSize: 0 bytes/workgroup (compile time only)
; SGPRBlocks: 0
; VGPRBlocks: 0
; NumSGPRsForWavesPerEU: 4
; NumVGPRsForWavesPerEU: 1
; AccumOffset: 4
; Occupancy: 8
; WaveLimiterHint : 0
; COMPUTE_PGM_RSRC2:SCRATCH_EN: 0
; COMPUTE_PGM_RSRC2:USER_SGPR: 6
; COMPUTE_PGM_RSRC2:TRAP_HANDLER: 0
; COMPUTE_PGM_RSRC2:TGID_X_EN: 1
; COMPUTE_PGM_RSRC2:TGID_Y_EN: 0
; COMPUTE_PGM_RSRC2:TGID_Z_EN: 0
; COMPUTE_PGM_RSRC2:TIDIG_COMP_CNT: 0
; COMPUTE_PGM_RSRC3_GFX90A:ACCUM_OFFSET: 0
; COMPUTE_PGM_RSRC3_GFX90A:TG_SPLIT: 0
	.section	.text._ZN7rocprim17ROCPRIM_400000_NS6detail17trampoline_kernelINS0_14default_configENS1_25transform_config_selectorIhLb0EEEZNS1_14transform_implILb0ES3_S5_NS0_18transform_iteratorINS0_17counting_iteratorImlEEZNS1_24adjacent_difference_implIS3_Lb1ELb0EPKhPhN6thrust23THRUST_200600_302600_NS4plusIhEEEE10hipError_tPvRmT2_T3_mT4_P12ihipStream_tbEUlmE_hEESD_NS0_8identityIvEEEESI_SL_SM_mSN_SP_bEUlT_E_NS1_11comp_targetILNS1_3genE10ELNS1_11target_archE1200ELNS1_3gpuE4ELNS1_3repE0EEENS1_30default_config_static_selectorELNS0_4arch9wavefront6targetE1EEEvT1_,"axG",@progbits,_ZN7rocprim17ROCPRIM_400000_NS6detail17trampoline_kernelINS0_14default_configENS1_25transform_config_selectorIhLb0EEEZNS1_14transform_implILb0ES3_S5_NS0_18transform_iteratorINS0_17counting_iteratorImlEEZNS1_24adjacent_difference_implIS3_Lb1ELb0EPKhPhN6thrust23THRUST_200600_302600_NS4plusIhEEEE10hipError_tPvRmT2_T3_mT4_P12ihipStream_tbEUlmE_hEESD_NS0_8identityIvEEEESI_SL_SM_mSN_SP_bEUlT_E_NS1_11comp_targetILNS1_3genE10ELNS1_11target_archE1200ELNS1_3gpuE4ELNS1_3repE0EEENS1_30default_config_static_selectorELNS0_4arch9wavefront6targetE1EEEvT1_,comdat
	.protected	_ZN7rocprim17ROCPRIM_400000_NS6detail17trampoline_kernelINS0_14default_configENS1_25transform_config_selectorIhLb0EEEZNS1_14transform_implILb0ES3_S5_NS0_18transform_iteratorINS0_17counting_iteratorImlEEZNS1_24adjacent_difference_implIS3_Lb1ELb0EPKhPhN6thrust23THRUST_200600_302600_NS4plusIhEEEE10hipError_tPvRmT2_T3_mT4_P12ihipStream_tbEUlmE_hEESD_NS0_8identityIvEEEESI_SL_SM_mSN_SP_bEUlT_E_NS1_11comp_targetILNS1_3genE10ELNS1_11target_archE1200ELNS1_3gpuE4ELNS1_3repE0EEENS1_30default_config_static_selectorELNS0_4arch9wavefront6targetE1EEEvT1_ ; -- Begin function _ZN7rocprim17ROCPRIM_400000_NS6detail17trampoline_kernelINS0_14default_configENS1_25transform_config_selectorIhLb0EEEZNS1_14transform_implILb0ES3_S5_NS0_18transform_iteratorINS0_17counting_iteratorImlEEZNS1_24adjacent_difference_implIS3_Lb1ELb0EPKhPhN6thrust23THRUST_200600_302600_NS4plusIhEEEE10hipError_tPvRmT2_T3_mT4_P12ihipStream_tbEUlmE_hEESD_NS0_8identityIvEEEESI_SL_SM_mSN_SP_bEUlT_E_NS1_11comp_targetILNS1_3genE10ELNS1_11target_archE1200ELNS1_3gpuE4ELNS1_3repE0EEENS1_30default_config_static_selectorELNS0_4arch9wavefront6targetE1EEEvT1_
	.globl	_ZN7rocprim17ROCPRIM_400000_NS6detail17trampoline_kernelINS0_14default_configENS1_25transform_config_selectorIhLb0EEEZNS1_14transform_implILb0ES3_S5_NS0_18transform_iteratorINS0_17counting_iteratorImlEEZNS1_24adjacent_difference_implIS3_Lb1ELb0EPKhPhN6thrust23THRUST_200600_302600_NS4plusIhEEEE10hipError_tPvRmT2_T3_mT4_P12ihipStream_tbEUlmE_hEESD_NS0_8identityIvEEEESI_SL_SM_mSN_SP_bEUlT_E_NS1_11comp_targetILNS1_3genE10ELNS1_11target_archE1200ELNS1_3gpuE4ELNS1_3repE0EEENS1_30default_config_static_selectorELNS0_4arch9wavefront6targetE1EEEvT1_
	.p2align	8
	.type	_ZN7rocprim17ROCPRIM_400000_NS6detail17trampoline_kernelINS0_14default_configENS1_25transform_config_selectorIhLb0EEEZNS1_14transform_implILb0ES3_S5_NS0_18transform_iteratorINS0_17counting_iteratorImlEEZNS1_24adjacent_difference_implIS3_Lb1ELb0EPKhPhN6thrust23THRUST_200600_302600_NS4plusIhEEEE10hipError_tPvRmT2_T3_mT4_P12ihipStream_tbEUlmE_hEESD_NS0_8identityIvEEEESI_SL_SM_mSN_SP_bEUlT_E_NS1_11comp_targetILNS1_3genE10ELNS1_11target_archE1200ELNS1_3gpuE4ELNS1_3repE0EEENS1_30default_config_static_selectorELNS0_4arch9wavefront6targetE1EEEvT1_,@function
_ZN7rocprim17ROCPRIM_400000_NS6detail17trampoline_kernelINS0_14default_configENS1_25transform_config_selectorIhLb0EEEZNS1_14transform_implILb0ES3_S5_NS0_18transform_iteratorINS0_17counting_iteratorImlEEZNS1_24adjacent_difference_implIS3_Lb1ELb0EPKhPhN6thrust23THRUST_200600_302600_NS4plusIhEEEE10hipError_tPvRmT2_T3_mT4_P12ihipStream_tbEUlmE_hEESD_NS0_8identityIvEEEESI_SL_SM_mSN_SP_bEUlT_E_NS1_11comp_targetILNS1_3genE10ELNS1_11target_archE1200ELNS1_3gpuE4ELNS1_3repE0EEENS1_30default_config_static_selectorELNS0_4arch9wavefront6targetE1EEEvT1_: ; @_ZN7rocprim17ROCPRIM_400000_NS6detail17trampoline_kernelINS0_14default_configENS1_25transform_config_selectorIhLb0EEEZNS1_14transform_implILb0ES3_S5_NS0_18transform_iteratorINS0_17counting_iteratorImlEEZNS1_24adjacent_difference_implIS3_Lb1ELb0EPKhPhN6thrust23THRUST_200600_302600_NS4plusIhEEEE10hipError_tPvRmT2_T3_mT4_P12ihipStream_tbEUlmE_hEESD_NS0_8identityIvEEEESI_SL_SM_mSN_SP_bEUlT_E_NS1_11comp_targetILNS1_3genE10ELNS1_11target_archE1200ELNS1_3gpuE4ELNS1_3repE0EEENS1_30default_config_static_selectorELNS0_4arch9wavefront6targetE1EEEvT1_
; %bb.0:
	.section	.rodata,"a",@progbits
	.p2align	6, 0x0
	.amdhsa_kernel _ZN7rocprim17ROCPRIM_400000_NS6detail17trampoline_kernelINS0_14default_configENS1_25transform_config_selectorIhLb0EEEZNS1_14transform_implILb0ES3_S5_NS0_18transform_iteratorINS0_17counting_iteratorImlEEZNS1_24adjacent_difference_implIS3_Lb1ELb0EPKhPhN6thrust23THRUST_200600_302600_NS4plusIhEEEE10hipError_tPvRmT2_T3_mT4_P12ihipStream_tbEUlmE_hEESD_NS0_8identityIvEEEESI_SL_SM_mSN_SP_bEUlT_E_NS1_11comp_targetILNS1_3genE10ELNS1_11target_archE1200ELNS1_3gpuE4ELNS1_3repE0EEENS1_30default_config_static_selectorELNS0_4arch9wavefront6targetE1EEEvT1_
		.amdhsa_group_segment_fixed_size 0
		.amdhsa_private_segment_fixed_size 0
		.amdhsa_kernarg_size 56
		.amdhsa_user_sgpr_count 6
		.amdhsa_user_sgpr_private_segment_buffer 1
		.amdhsa_user_sgpr_dispatch_ptr 0
		.amdhsa_user_sgpr_queue_ptr 0
		.amdhsa_user_sgpr_kernarg_segment_ptr 1
		.amdhsa_user_sgpr_dispatch_id 0
		.amdhsa_user_sgpr_flat_scratch_init 0
		.amdhsa_user_sgpr_kernarg_preload_length 0
		.amdhsa_user_sgpr_kernarg_preload_offset 0
		.amdhsa_user_sgpr_private_segment_size 0
		.amdhsa_uses_dynamic_stack 0
		.amdhsa_system_sgpr_private_segment_wavefront_offset 0
		.amdhsa_system_sgpr_workgroup_id_x 1
		.amdhsa_system_sgpr_workgroup_id_y 0
		.amdhsa_system_sgpr_workgroup_id_z 0
		.amdhsa_system_sgpr_workgroup_info 0
		.amdhsa_system_vgpr_workitem_id 0
		.amdhsa_next_free_vgpr 1
		.amdhsa_next_free_sgpr 0
		.amdhsa_accum_offset 4
		.amdhsa_reserve_vcc 0
		.amdhsa_reserve_flat_scratch 0
		.amdhsa_float_round_mode_32 0
		.amdhsa_float_round_mode_16_64 0
		.amdhsa_float_denorm_mode_32 3
		.amdhsa_float_denorm_mode_16_64 3
		.amdhsa_dx10_clamp 1
		.amdhsa_ieee_mode 1
		.amdhsa_fp16_overflow 0
		.amdhsa_tg_split 0
		.amdhsa_exception_fp_ieee_invalid_op 0
		.amdhsa_exception_fp_denorm_src 0
		.amdhsa_exception_fp_ieee_div_zero 0
		.amdhsa_exception_fp_ieee_overflow 0
		.amdhsa_exception_fp_ieee_underflow 0
		.amdhsa_exception_fp_ieee_inexact 0
		.amdhsa_exception_int_div_zero 0
	.end_amdhsa_kernel
	.section	.text._ZN7rocprim17ROCPRIM_400000_NS6detail17trampoline_kernelINS0_14default_configENS1_25transform_config_selectorIhLb0EEEZNS1_14transform_implILb0ES3_S5_NS0_18transform_iteratorINS0_17counting_iteratorImlEEZNS1_24adjacent_difference_implIS3_Lb1ELb0EPKhPhN6thrust23THRUST_200600_302600_NS4plusIhEEEE10hipError_tPvRmT2_T3_mT4_P12ihipStream_tbEUlmE_hEESD_NS0_8identityIvEEEESI_SL_SM_mSN_SP_bEUlT_E_NS1_11comp_targetILNS1_3genE10ELNS1_11target_archE1200ELNS1_3gpuE4ELNS1_3repE0EEENS1_30default_config_static_selectorELNS0_4arch9wavefront6targetE1EEEvT1_,"axG",@progbits,_ZN7rocprim17ROCPRIM_400000_NS6detail17trampoline_kernelINS0_14default_configENS1_25transform_config_selectorIhLb0EEEZNS1_14transform_implILb0ES3_S5_NS0_18transform_iteratorINS0_17counting_iteratorImlEEZNS1_24adjacent_difference_implIS3_Lb1ELb0EPKhPhN6thrust23THRUST_200600_302600_NS4plusIhEEEE10hipError_tPvRmT2_T3_mT4_P12ihipStream_tbEUlmE_hEESD_NS0_8identityIvEEEESI_SL_SM_mSN_SP_bEUlT_E_NS1_11comp_targetILNS1_3genE10ELNS1_11target_archE1200ELNS1_3gpuE4ELNS1_3repE0EEENS1_30default_config_static_selectorELNS0_4arch9wavefront6targetE1EEEvT1_,comdat
.Lfunc_end505:
	.size	_ZN7rocprim17ROCPRIM_400000_NS6detail17trampoline_kernelINS0_14default_configENS1_25transform_config_selectorIhLb0EEEZNS1_14transform_implILb0ES3_S5_NS0_18transform_iteratorINS0_17counting_iteratorImlEEZNS1_24adjacent_difference_implIS3_Lb1ELb0EPKhPhN6thrust23THRUST_200600_302600_NS4plusIhEEEE10hipError_tPvRmT2_T3_mT4_P12ihipStream_tbEUlmE_hEESD_NS0_8identityIvEEEESI_SL_SM_mSN_SP_bEUlT_E_NS1_11comp_targetILNS1_3genE10ELNS1_11target_archE1200ELNS1_3gpuE4ELNS1_3repE0EEENS1_30default_config_static_selectorELNS0_4arch9wavefront6targetE1EEEvT1_, .Lfunc_end505-_ZN7rocprim17ROCPRIM_400000_NS6detail17trampoline_kernelINS0_14default_configENS1_25transform_config_selectorIhLb0EEEZNS1_14transform_implILb0ES3_S5_NS0_18transform_iteratorINS0_17counting_iteratorImlEEZNS1_24adjacent_difference_implIS3_Lb1ELb0EPKhPhN6thrust23THRUST_200600_302600_NS4plusIhEEEE10hipError_tPvRmT2_T3_mT4_P12ihipStream_tbEUlmE_hEESD_NS0_8identityIvEEEESI_SL_SM_mSN_SP_bEUlT_E_NS1_11comp_targetILNS1_3genE10ELNS1_11target_archE1200ELNS1_3gpuE4ELNS1_3repE0EEENS1_30default_config_static_selectorELNS0_4arch9wavefront6targetE1EEEvT1_
                                        ; -- End function
	.section	.AMDGPU.csdata,"",@progbits
; Kernel info:
; codeLenInByte = 0
; NumSgprs: 4
; NumVgprs: 0
; NumAgprs: 0
; TotalNumVgprs: 0
; ScratchSize: 0
; MemoryBound: 0
; FloatMode: 240
; IeeeMode: 1
; LDSByteSize: 0 bytes/workgroup (compile time only)
; SGPRBlocks: 0
; VGPRBlocks: 0
; NumSGPRsForWavesPerEU: 4
; NumVGPRsForWavesPerEU: 1
; AccumOffset: 4
; Occupancy: 8
; WaveLimiterHint : 0
; COMPUTE_PGM_RSRC2:SCRATCH_EN: 0
; COMPUTE_PGM_RSRC2:USER_SGPR: 6
; COMPUTE_PGM_RSRC2:TRAP_HANDLER: 0
; COMPUTE_PGM_RSRC2:TGID_X_EN: 1
; COMPUTE_PGM_RSRC2:TGID_Y_EN: 0
; COMPUTE_PGM_RSRC2:TGID_Z_EN: 0
; COMPUTE_PGM_RSRC2:TIDIG_COMP_CNT: 0
; COMPUTE_PGM_RSRC3_GFX90A:ACCUM_OFFSET: 0
; COMPUTE_PGM_RSRC3_GFX90A:TG_SPLIT: 0
	.section	.text._ZN7rocprim17ROCPRIM_400000_NS6detail17trampoline_kernelINS0_14default_configENS1_25transform_config_selectorIhLb0EEEZNS1_14transform_implILb0ES3_S5_NS0_18transform_iteratorINS0_17counting_iteratorImlEEZNS1_24adjacent_difference_implIS3_Lb1ELb0EPKhPhN6thrust23THRUST_200600_302600_NS4plusIhEEEE10hipError_tPvRmT2_T3_mT4_P12ihipStream_tbEUlmE_hEESD_NS0_8identityIvEEEESI_SL_SM_mSN_SP_bEUlT_E_NS1_11comp_targetILNS1_3genE9ELNS1_11target_archE1100ELNS1_3gpuE3ELNS1_3repE0EEENS1_30default_config_static_selectorELNS0_4arch9wavefront6targetE1EEEvT1_,"axG",@progbits,_ZN7rocprim17ROCPRIM_400000_NS6detail17trampoline_kernelINS0_14default_configENS1_25transform_config_selectorIhLb0EEEZNS1_14transform_implILb0ES3_S5_NS0_18transform_iteratorINS0_17counting_iteratorImlEEZNS1_24adjacent_difference_implIS3_Lb1ELb0EPKhPhN6thrust23THRUST_200600_302600_NS4plusIhEEEE10hipError_tPvRmT2_T3_mT4_P12ihipStream_tbEUlmE_hEESD_NS0_8identityIvEEEESI_SL_SM_mSN_SP_bEUlT_E_NS1_11comp_targetILNS1_3genE9ELNS1_11target_archE1100ELNS1_3gpuE3ELNS1_3repE0EEENS1_30default_config_static_selectorELNS0_4arch9wavefront6targetE1EEEvT1_,comdat
	.protected	_ZN7rocprim17ROCPRIM_400000_NS6detail17trampoline_kernelINS0_14default_configENS1_25transform_config_selectorIhLb0EEEZNS1_14transform_implILb0ES3_S5_NS0_18transform_iteratorINS0_17counting_iteratorImlEEZNS1_24adjacent_difference_implIS3_Lb1ELb0EPKhPhN6thrust23THRUST_200600_302600_NS4plusIhEEEE10hipError_tPvRmT2_T3_mT4_P12ihipStream_tbEUlmE_hEESD_NS0_8identityIvEEEESI_SL_SM_mSN_SP_bEUlT_E_NS1_11comp_targetILNS1_3genE9ELNS1_11target_archE1100ELNS1_3gpuE3ELNS1_3repE0EEENS1_30default_config_static_selectorELNS0_4arch9wavefront6targetE1EEEvT1_ ; -- Begin function _ZN7rocprim17ROCPRIM_400000_NS6detail17trampoline_kernelINS0_14default_configENS1_25transform_config_selectorIhLb0EEEZNS1_14transform_implILb0ES3_S5_NS0_18transform_iteratorINS0_17counting_iteratorImlEEZNS1_24adjacent_difference_implIS3_Lb1ELb0EPKhPhN6thrust23THRUST_200600_302600_NS4plusIhEEEE10hipError_tPvRmT2_T3_mT4_P12ihipStream_tbEUlmE_hEESD_NS0_8identityIvEEEESI_SL_SM_mSN_SP_bEUlT_E_NS1_11comp_targetILNS1_3genE9ELNS1_11target_archE1100ELNS1_3gpuE3ELNS1_3repE0EEENS1_30default_config_static_selectorELNS0_4arch9wavefront6targetE1EEEvT1_
	.globl	_ZN7rocprim17ROCPRIM_400000_NS6detail17trampoline_kernelINS0_14default_configENS1_25transform_config_selectorIhLb0EEEZNS1_14transform_implILb0ES3_S5_NS0_18transform_iteratorINS0_17counting_iteratorImlEEZNS1_24adjacent_difference_implIS3_Lb1ELb0EPKhPhN6thrust23THRUST_200600_302600_NS4plusIhEEEE10hipError_tPvRmT2_T3_mT4_P12ihipStream_tbEUlmE_hEESD_NS0_8identityIvEEEESI_SL_SM_mSN_SP_bEUlT_E_NS1_11comp_targetILNS1_3genE9ELNS1_11target_archE1100ELNS1_3gpuE3ELNS1_3repE0EEENS1_30default_config_static_selectorELNS0_4arch9wavefront6targetE1EEEvT1_
	.p2align	8
	.type	_ZN7rocprim17ROCPRIM_400000_NS6detail17trampoline_kernelINS0_14default_configENS1_25transform_config_selectorIhLb0EEEZNS1_14transform_implILb0ES3_S5_NS0_18transform_iteratorINS0_17counting_iteratorImlEEZNS1_24adjacent_difference_implIS3_Lb1ELb0EPKhPhN6thrust23THRUST_200600_302600_NS4plusIhEEEE10hipError_tPvRmT2_T3_mT4_P12ihipStream_tbEUlmE_hEESD_NS0_8identityIvEEEESI_SL_SM_mSN_SP_bEUlT_E_NS1_11comp_targetILNS1_3genE9ELNS1_11target_archE1100ELNS1_3gpuE3ELNS1_3repE0EEENS1_30default_config_static_selectorELNS0_4arch9wavefront6targetE1EEEvT1_,@function
_ZN7rocprim17ROCPRIM_400000_NS6detail17trampoline_kernelINS0_14default_configENS1_25transform_config_selectorIhLb0EEEZNS1_14transform_implILb0ES3_S5_NS0_18transform_iteratorINS0_17counting_iteratorImlEEZNS1_24adjacent_difference_implIS3_Lb1ELb0EPKhPhN6thrust23THRUST_200600_302600_NS4plusIhEEEE10hipError_tPvRmT2_T3_mT4_P12ihipStream_tbEUlmE_hEESD_NS0_8identityIvEEEESI_SL_SM_mSN_SP_bEUlT_E_NS1_11comp_targetILNS1_3genE9ELNS1_11target_archE1100ELNS1_3gpuE3ELNS1_3repE0EEENS1_30default_config_static_selectorELNS0_4arch9wavefront6targetE1EEEvT1_: ; @_ZN7rocprim17ROCPRIM_400000_NS6detail17trampoline_kernelINS0_14default_configENS1_25transform_config_selectorIhLb0EEEZNS1_14transform_implILb0ES3_S5_NS0_18transform_iteratorINS0_17counting_iteratorImlEEZNS1_24adjacent_difference_implIS3_Lb1ELb0EPKhPhN6thrust23THRUST_200600_302600_NS4plusIhEEEE10hipError_tPvRmT2_T3_mT4_P12ihipStream_tbEUlmE_hEESD_NS0_8identityIvEEEESI_SL_SM_mSN_SP_bEUlT_E_NS1_11comp_targetILNS1_3genE9ELNS1_11target_archE1100ELNS1_3gpuE3ELNS1_3repE0EEENS1_30default_config_static_selectorELNS0_4arch9wavefront6targetE1EEEvT1_
; %bb.0:
	.section	.rodata,"a",@progbits
	.p2align	6, 0x0
	.amdhsa_kernel _ZN7rocprim17ROCPRIM_400000_NS6detail17trampoline_kernelINS0_14default_configENS1_25transform_config_selectorIhLb0EEEZNS1_14transform_implILb0ES3_S5_NS0_18transform_iteratorINS0_17counting_iteratorImlEEZNS1_24adjacent_difference_implIS3_Lb1ELb0EPKhPhN6thrust23THRUST_200600_302600_NS4plusIhEEEE10hipError_tPvRmT2_T3_mT4_P12ihipStream_tbEUlmE_hEESD_NS0_8identityIvEEEESI_SL_SM_mSN_SP_bEUlT_E_NS1_11comp_targetILNS1_3genE9ELNS1_11target_archE1100ELNS1_3gpuE3ELNS1_3repE0EEENS1_30default_config_static_selectorELNS0_4arch9wavefront6targetE1EEEvT1_
		.amdhsa_group_segment_fixed_size 0
		.amdhsa_private_segment_fixed_size 0
		.amdhsa_kernarg_size 56
		.amdhsa_user_sgpr_count 6
		.amdhsa_user_sgpr_private_segment_buffer 1
		.amdhsa_user_sgpr_dispatch_ptr 0
		.amdhsa_user_sgpr_queue_ptr 0
		.amdhsa_user_sgpr_kernarg_segment_ptr 1
		.amdhsa_user_sgpr_dispatch_id 0
		.amdhsa_user_sgpr_flat_scratch_init 0
		.amdhsa_user_sgpr_kernarg_preload_length 0
		.amdhsa_user_sgpr_kernarg_preload_offset 0
		.amdhsa_user_sgpr_private_segment_size 0
		.amdhsa_uses_dynamic_stack 0
		.amdhsa_system_sgpr_private_segment_wavefront_offset 0
		.amdhsa_system_sgpr_workgroup_id_x 1
		.amdhsa_system_sgpr_workgroup_id_y 0
		.amdhsa_system_sgpr_workgroup_id_z 0
		.amdhsa_system_sgpr_workgroup_info 0
		.amdhsa_system_vgpr_workitem_id 0
		.amdhsa_next_free_vgpr 1
		.amdhsa_next_free_sgpr 0
		.amdhsa_accum_offset 4
		.amdhsa_reserve_vcc 0
		.amdhsa_reserve_flat_scratch 0
		.amdhsa_float_round_mode_32 0
		.amdhsa_float_round_mode_16_64 0
		.amdhsa_float_denorm_mode_32 3
		.amdhsa_float_denorm_mode_16_64 3
		.amdhsa_dx10_clamp 1
		.amdhsa_ieee_mode 1
		.amdhsa_fp16_overflow 0
		.amdhsa_tg_split 0
		.amdhsa_exception_fp_ieee_invalid_op 0
		.amdhsa_exception_fp_denorm_src 0
		.amdhsa_exception_fp_ieee_div_zero 0
		.amdhsa_exception_fp_ieee_overflow 0
		.amdhsa_exception_fp_ieee_underflow 0
		.amdhsa_exception_fp_ieee_inexact 0
		.amdhsa_exception_int_div_zero 0
	.end_amdhsa_kernel
	.section	.text._ZN7rocprim17ROCPRIM_400000_NS6detail17trampoline_kernelINS0_14default_configENS1_25transform_config_selectorIhLb0EEEZNS1_14transform_implILb0ES3_S5_NS0_18transform_iteratorINS0_17counting_iteratorImlEEZNS1_24adjacent_difference_implIS3_Lb1ELb0EPKhPhN6thrust23THRUST_200600_302600_NS4plusIhEEEE10hipError_tPvRmT2_T3_mT4_P12ihipStream_tbEUlmE_hEESD_NS0_8identityIvEEEESI_SL_SM_mSN_SP_bEUlT_E_NS1_11comp_targetILNS1_3genE9ELNS1_11target_archE1100ELNS1_3gpuE3ELNS1_3repE0EEENS1_30default_config_static_selectorELNS0_4arch9wavefront6targetE1EEEvT1_,"axG",@progbits,_ZN7rocprim17ROCPRIM_400000_NS6detail17trampoline_kernelINS0_14default_configENS1_25transform_config_selectorIhLb0EEEZNS1_14transform_implILb0ES3_S5_NS0_18transform_iteratorINS0_17counting_iteratorImlEEZNS1_24adjacent_difference_implIS3_Lb1ELb0EPKhPhN6thrust23THRUST_200600_302600_NS4plusIhEEEE10hipError_tPvRmT2_T3_mT4_P12ihipStream_tbEUlmE_hEESD_NS0_8identityIvEEEESI_SL_SM_mSN_SP_bEUlT_E_NS1_11comp_targetILNS1_3genE9ELNS1_11target_archE1100ELNS1_3gpuE3ELNS1_3repE0EEENS1_30default_config_static_selectorELNS0_4arch9wavefront6targetE1EEEvT1_,comdat
.Lfunc_end506:
	.size	_ZN7rocprim17ROCPRIM_400000_NS6detail17trampoline_kernelINS0_14default_configENS1_25transform_config_selectorIhLb0EEEZNS1_14transform_implILb0ES3_S5_NS0_18transform_iteratorINS0_17counting_iteratorImlEEZNS1_24adjacent_difference_implIS3_Lb1ELb0EPKhPhN6thrust23THRUST_200600_302600_NS4plusIhEEEE10hipError_tPvRmT2_T3_mT4_P12ihipStream_tbEUlmE_hEESD_NS0_8identityIvEEEESI_SL_SM_mSN_SP_bEUlT_E_NS1_11comp_targetILNS1_3genE9ELNS1_11target_archE1100ELNS1_3gpuE3ELNS1_3repE0EEENS1_30default_config_static_selectorELNS0_4arch9wavefront6targetE1EEEvT1_, .Lfunc_end506-_ZN7rocprim17ROCPRIM_400000_NS6detail17trampoline_kernelINS0_14default_configENS1_25transform_config_selectorIhLb0EEEZNS1_14transform_implILb0ES3_S5_NS0_18transform_iteratorINS0_17counting_iteratorImlEEZNS1_24adjacent_difference_implIS3_Lb1ELb0EPKhPhN6thrust23THRUST_200600_302600_NS4plusIhEEEE10hipError_tPvRmT2_T3_mT4_P12ihipStream_tbEUlmE_hEESD_NS0_8identityIvEEEESI_SL_SM_mSN_SP_bEUlT_E_NS1_11comp_targetILNS1_3genE9ELNS1_11target_archE1100ELNS1_3gpuE3ELNS1_3repE0EEENS1_30default_config_static_selectorELNS0_4arch9wavefront6targetE1EEEvT1_
                                        ; -- End function
	.section	.AMDGPU.csdata,"",@progbits
; Kernel info:
; codeLenInByte = 0
; NumSgprs: 4
; NumVgprs: 0
; NumAgprs: 0
; TotalNumVgprs: 0
; ScratchSize: 0
; MemoryBound: 0
; FloatMode: 240
; IeeeMode: 1
; LDSByteSize: 0 bytes/workgroup (compile time only)
; SGPRBlocks: 0
; VGPRBlocks: 0
; NumSGPRsForWavesPerEU: 4
; NumVGPRsForWavesPerEU: 1
; AccumOffset: 4
; Occupancy: 8
; WaveLimiterHint : 0
; COMPUTE_PGM_RSRC2:SCRATCH_EN: 0
; COMPUTE_PGM_RSRC2:USER_SGPR: 6
; COMPUTE_PGM_RSRC2:TRAP_HANDLER: 0
; COMPUTE_PGM_RSRC2:TGID_X_EN: 1
; COMPUTE_PGM_RSRC2:TGID_Y_EN: 0
; COMPUTE_PGM_RSRC2:TGID_Z_EN: 0
; COMPUTE_PGM_RSRC2:TIDIG_COMP_CNT: 0
; COMPUTE_PGM_RSRC3_GFX90A:ACCUM_OFFSET: 0
; COMPUTE_PGM_RSRC3_GFX90A:TG_SPLIT: 0
	.section	.text._ZN7rocprim17ROCPRIM_400000_NS6detail17trampoline_kernelINS0_14default_configENS1_25transform_config_selectorIhLb0EEEZNS1_14transform_implILb0ES3_S5_NS0_18transform_iteratorINS0_17counting_iteratorImlEEZNS1_24adjacent_difference_implIS3_Lb1ELb0EPKhPhN6thrust23THRUST_200600_302600_NS4plusIhEEEE10hipError_tPvRmT2_T3_mT4_P12ihipStream_tbEUlmE_hEESD_NS0_8identityIvEEEESI_SL_SM_mSN_SP_bEUlT_E_NS1_11comp_targetILNS1_3genE8ELNS1_11target_archE1030ELNS1_3gpuE2ELNS1_3repE0EEENS1_30default_config_static_selectorELNS0_4arch9wavefront6targetE1EEEvT1_,"axG",@progbits,_ZN7rocprim17ROCPRIM_400000_NS6detail17trampoline_kernelINS0_14default_configENS1_25transform_config_selectorIhLb0EEEZNS1_14transform_implILb0ES3_S5_NS0_18transform_iteratorINS0_17counting_iteratorImlEEZNS1_24adjacent_difference_implIS3_Lb1ELb0EPKhPhN6thrust23THRUST_200600_302600_NS4plusIhEEEE10hipError_tPvRmT2_T3_mT4_P12ihipStream_tbEUlmE_hEESD_NS0_8identityIvEEEESI_SL_SM_mSN_SP_bEUlT_E_NS1_11comp_targetILNS1_3genE8ELNS1_11target_archE1030ELNS1_3gpuE2ELNS1_3repE0EEENS1_30default_config_static_selectorELNS0_4arch9wavefront6targetE1EEEvT1_,comdat
	.protected	_ZN7rocprim17ROCPRIM_400000_NS6detail17trampoline_kernelINS0_14default_configENS1_25transform_config_selectorIhLb0EEEZNS1_14transform_implILb0ES3_S5_NS0_18transform_iteratorINS0_17counting_iteratorImlEEZNS1_24adjacent_difference_implIS3_Lb1ELb0EPKhPhN6thrust23THRUST_200600_302600_NS4plusIhEEEE10hipError_tPvRmT2_T3_mT4_P12ihipStream_tbEUlmE_hEESD_NS0_8identityIvEEEESI_SL_SM_mSN_SP_bEUlT_E_NS1_11comp_targetILNS1_3genE8ELNS1_11target_archE1030ELNS1_3gpuE2ELNS1_3repE0EEENS1_30default_config_static_selectorELNS0_4arch9wavefront6targetE1EEEvT1_ ; -- Begin function _ZN7rocprim17ROCPRIM_400000_NS6detail17trampoline_kernelINS0_14default_configENS1_25transform_config_selectorIhLb0EEEZNS1_14transform_implILb0ES3_S5_NS0_18transform_iteratorINS0_17counting_iteratorImlEEZNS1_24adjacent_difference_implIS3_Lb1ELb0EPKhPhN6thrust23THRUST_200600_302600_NS4plusIhEEEE10hipError_tPvRmT2_T3_mT4_P12ihipStream_tbEUlmE_hEESD_NS0_8identityIvEEEESI_SL_SM_mSN_SP_bEUlT_E_NS1_11comp_targetILNS1_3genE8ELNS1_11target_archE1030ELNS1_3gpuE2ELNS1_3repE0EEENS1_30default_config_static_selectorELNS0_4arch9wavefront6targetE1EEEvT1_
	.globl	_ZN7rocprim17ROCPRIM_400000_NS6detail17trampoline_kernelINS0_14default_configENS1_25transform_config_selectorIhLb0EEEZNS1_14transform_implILb0ES3_S5_NS0_18transform_iteratorINS0_17counting_iteratorImlEEZNS1_24adjacent_difference_implIS3_Lb1ELb0EPKhPhN6thrust23THRUST_200600_302600_NS4plusIhEEEE10hipError_tPvRmT2_T3_mT4_P12ihipStream_tbEUlmE_hEESD_NS0_8identityIvEEEESI_SL_SM_mSN_SP_bEUlT_E_NS1_11comp_targetILNS1_3genE8ELNS1_11target_archE1030ELNS1_3gpuE2ELNS1_3repE0EEENS1_30default_config_static_selectorELNS0_4arch9wavefront6targetE1EEEvT1_
	.p2align	8
	.type	_ZN7rocprim17ROCPRIM_400000_NS6detail17trampoline_kernelINS0_14default_configENS1_25transform_config_selectorIhLb0EEEZNS1_14transform_implILb0ES3_S5_NS0_18transform_iteratorINS0_17counting_iteratorImlEEZNS1_24adjacent_difference_implIS3_Lb1ELb0EPKhPhN6thrust23THRUST_200600_302600_NS4plusIhEEEE10hipError_tPvRmT2_T3_mT4_P12ihipStream_tbEUlmE_hEESD_NS0_8identityIvEEEESI_SL_SM_mSN_SP_bEUlT_E_NS1_11comp_targetILNS1_3genE8ELNS1_11target_archE1030ELNS1_3gpuE2ELNS1_3repE0EEENS1_30default_config_static_selectorELNS0_4arch9wavefront6targetE1EEEvT1_,@function
_ZN7rocprim17ROCPRIM_400000_NS6detail17trampoline_kernelINS0_14default_configENS1_25transform_config_selectorIhLb0EEEZNS1_14transform_implILb0ES3_S5_NS0_18transform_iteratorINS0_17counting_iteratorImlEEZNS1_24adjacent_difference_implIS3_Lb1ELb0EPKhPhN6thrust23THRUST_200600_302600_NS4plusIhEEEE10hipError_tPvRmT2_T3_mT4_P12ihipStream_tbEUlmE_hEESD_NS0_8identityIvEEEESI_SL_SM_mSN_SP_bEUlT_E_NS1_11comp_targetILNS1_3genE8ELNS1_11target_archE1030ELNS1_3gpuE2ELNS1_3repE0EEENS1_30default_config_static_selectorELNS0_4arch9wavefront6targetE1EEEvT1_: ; @_ZN7rocprim17ROCPRIM_400000_NS6detail17trampoline_kernelINS0_14default_configENS1_25transform_config_selectorIhLb0EEEZNS1_14transform_implILb0ES3_S5_NS0_18transform_iteratorINS0_17counting_iteratorImlEEZNS1_24adjacent_difference_implIS3_Lb1ELb0EPKhPhN6thrust23THRUST_200600_302600_NS4plusIhEEEE10hipError_tPvRmT2_T3_mT4_P12ihipStream_tbEUlmE_hEESD_NS0_8identityIvEEEESI_SL_SM_mSN_SP_bEUlT_E_NS1_11comp_targetILNS1_3genE8ELNS1_11target_archE1030ELNS1_3gpuE2ELNS1_3repE0EEENS1_30default_config_static_selectorELNS0_4arch9wavefront6targetE1EEEvT1_
; %bb.0:
	.section	.rodata,"a",@progbits
	.p2align	6, 0x0
	.amdhsa_kernel _ZN7rocprim17ROCPRIM_400000_NS6detail17trampoline_kernelINS0_14default_configENS1_25transform_config_selectorIhLb0EEEZNS1_14transform_implILb0ES3_S5_NS0_18transform_iteratorINS0_17counting_iteratorImlEEZNS1_24adjacent_difference_implIS3_Lb1ELb0EPKhPhN6thrust23THRUST_200600_302600_NS4plusIhEEEE10hipError_tPvRmT2_T3_mT4_P12ihipStream_tbEUlmE_hEESD_NS0_8identityIvEEEESI_SL_SM_mSN_SP_bEUlT_E_NS1_11comp_targetILNS1_3genE8ELNS1_11target_archE1030ELNS1_3gpuE2ELNS1_3repE0EEENS1_30default_config_static_selectorELNS0_4arch9wavefront6targetE1EEEvT1_
		.amdhsa_group_segment_fixed_size 0
		.amdhsa_private_segment_fixed_size 0
		.amdhsa_kernarg_size 56
		.amdhsa_user_sgpr_count 6
		.amdhsa_user_sgpr_private_segment_buffer 1
		.amdhsa_user_sgpr_dispatch_ptr 0
		.amdhsa_user_sgpr_queue_ptr 0
		.amdhsa_user_sgpr_kernarg_segment_ptr 1
		.amdhsa_user_sgpr_dispatch_id 0
		.amdhsa_user_sgpr_flat_scratch_init 0
		.amdhsa_user_sgpr_kernarg_preload_length 0
		.amdhsa_user_sgpr_kernarg_preload_offset 0
		.amdhsa_user_sgpr_private_segment_size 0
		.amdhsa_uses_dynamic_stack 0
		.amdhsa_system_sgpr_private_segment_wavefront_offset 0
		.amdhsa_system_sgpr_workgroup_id_x 1
		.amdhsa_system_sgpr_workgroup_id_y 0
		.amdhsa_system_sgpr_workgroup_id_z 0
		.amdhsa_system_sgpr_workgroup_info 0
		.amdhsa_system_vgpr_workitem_id 0
		.amdhsa_next_free_vgpr 1
		.amdhsa_next_free_sgpr 0
		.amdhsa_accum_offset 4
		.amdhsa_reserve_vcc 0
		.amdhsa_reserve_flat_scratch 0
		.amdhsa_float_round_mode_32 0
		.amdhsa_float_round_mode_16_64 0
		.amdhsa_float_denorm_mode_32 3
		.amdhsa_float_denorm_mode_16_64 3
		.amdhsa_dx10_clamp 1
		.amdhsa_ieee_mode 1
		.amdhsa_fp16_overflow 0
		.amdhsa_tg_split 0
		.amdhsa_exception_fp_ieee_invalid_op 0
		.amdhsa_exception_fp_denorm_src 0
		.amdhsa_exception_fp_ieee_div_zero 0
		.amdhsa_exception_fp_ieee_overflow 0
		.amdhsa_exception_fp_ieee_underflow 0
		.amdhsa_exception_fp_ieee_inexact 0
		.amdhsa_exception_int_div_zero 0
	.end_amdhsa_kernel
	.section	.text._ZN7rocprim17ROCPRIM_400000_NS6detail17trampoline_kernelINS0_14default_configENS1_25transform_config_selectorIhLb0EEEZNS1_14transform_implILb0ES3_S5_NS0_18transform_iteratorINS0_17counting_iteratorImlEEZNS1_24adjacent_difference_implIS3_Lb1ELb0EPKhPhN6thrust23THRUST_200600_302600_NS4plusIhEEEE10hipError_tPvRmT2_T3_mT4_P12ihipStream_tbEUlmE_hEESD_NS0_8identityIvEEEESI_SL_SM_mSN_SP_bEUlT_E_NS1_11comp_targetILNS1_3genE8ELNS1_11target_archE1030ELNS1_3gpuE2ELNS1_3repE0EEENS1_30default_config_static_selectorELNS0_4arch9wavefront6targetE1EEEvT1_,"axG",@progbits,_ZN7rocprim17ROCPRIM_400000_NS6detail17trampoline_kernelINS0_14default_configENS1_25transform_config_selectorIhLb0EEEZNS1_14transform_implILb0ES3_S5_NS0_18transform_iteratorINS0_17counting_iteratorImlEEZNS1_24adjacent_difference_implIS3_Lb1ELb0EPKhPhN6thrust23THRUST_200600_302600_NS4plusIhEEEE10hipError_tPvRmT2_T3_mT4_P12ihipStream_tbEUlmE_hEESD_NS0_8identityIvEEEESI_SL_SM_mSN_SP_bEUlT_E_NS1_11comp_targetILNS1_3genE8ELNS1_11target_archE1030ELNS1_3gpuE2ELNS1_3repE0EEENS1_30default_config_static_selectorELNS0_4arch9wavefront6targetE1EEEvT1_,comdat
.Lfunc_end507:
	.size	_ZN7rocprim17ROCPRIM_400000_NS6detail17trampoline_kernelINS0_14default_configENS1_25transform_config_selectorIhLb0EEEZNS1_14transform_implILb0ES3_S5_NS0_18transform_iteratorINS0_17counting_iteratorImlEEZNS1_24adjacent_difference_implIS3_Lb1ELb0EPKhPhN6thrust23THRUST_200600_302600_NS4plusIhEEEE10hipError_tPvRmT2_T3_mT4_P12ihipStream_tbEUlmE_hEESD_NS0_8identityIvEEEESI_SL_SM_mSN_SP_bEUlT_E_NS1_11comp_targetILNS1_3genE8ELNS1_11target_archE1030ELNS1_3gpuE2ELNS1_3repE0EEENS1_30default_config_static_selectorELNS0_4arch9wavefront6targetE1EEEvT1_, .Lfunc_end507-_ZN7rocprim17ROCPRIM_400000_NS6detail17trampoline_kernelINS0_14default_configENS1_25transform_config_selectorIhLb0EEEZNS1_14transform_implILb0ES3_S5_NS0_18transform_iteratorINS0_17counting_iteratorImlEEZNS1_24adjacent_difference_implIS3_Lb1ELb0EPKhPhN6thrust23THRUST_200600_302600_NS4plusIhEEEE10hipError_tPvRmT2_T3_mT4_P12ihipStream_tbEUlmE_hEESD_NS0_8identityIvEEEESI_SL_SM_mSN_SP_bEUlT_E_NS1_11comp_targetILNS1_3genE8ELNS1_11target_archE1030ELNS1_3gpuE2ELNS1_3repE0EEENS1_30default_config_static_selectorELNS0_4arch9wavefront6targetE1EEEvT1_
                                        ; -- End function
	.section	.AMDGPU.csdata,"",@progbits
; Kernel info:
; codeLenInByte = 0
; NumSgprs: 4
; NumVgprs: 0
; NumAgprs: 0
; TotalNumVgprs: 0
; ScratchSize: 0
; MemoryBound: 0
; FloatMode: 240
; IeeeMode: 1
; LDSByteSize: 0 bytes/workgroup (compile time only)
; SGPRBlocks: 0
; VGPRBlocks: 0
; NumSGPRsForWavesPerEU: 4
; NumVGPRsForWavesPerEU: 1
; AccumOffset: 4
; Occupancy: 8
; WaveLimiterHint : 0
; COMPUTE_PGM_RSRC2:SCRATCH_EN: 0
; COMPUTE_PGM_RSRC2:USER_SGPR: 6
; COMPUTE_PGM_RSRC2:TRAP_HANDLER: 0
; COMPUTE_PGM_RSRC2:TGID_X_EN: 1
; COMPUTE_PGM_RSRC2:TGID_Y_EN: 0
; COMPUTE_PGM_RSRC2:TGID_Z_EN: 0
; COMPUTE_PGM_RSRC2:TIDIG_COMP_CNT: 0
; COMPUTE_PGM_RSRC3_GFX90A:ACCUM_OFFSET: 0
; COMPUTE_PGM_RSRC3_GFX90A:TG_SPLIT: 0
	.section	.text._ZN7rocprim17ROCPRIM_400000_NS6detail17trampoline_kernelINS0_14default_configENS1_35adjacent_difference_config_selectorILb1EhEEZNS1_24adjacent_difference_implIS3_Lb1ELb0EPKhPhN6thrust23THRUST_200600_302600_NS4plusIhEEEE10hipError_tPvRmT2_T3_mT4_P12ihipStream_tbEUlT_E_NS1_11comp_targetILNS1_3genE0ELNS1_11target_archE4294967295ELNS1_3gpuE0ELNS1_3repE0EEENS1_30default_config_static_selectorELNS0_4arch9wavefront6targetE1EEEvT1_,"axG",@progbits,_ZN7rocprim17ROCPRIM_400000_NS6detail17trampoline_kernelINS0_14default_configENS1_35adjacent_difference_config_selectorILb1EhEEZNS1_24adjacent_difference_implIS3_Lb1ELb0EPKhPhN6thrust23THRUST_200600_302600_NS4plusIhEEEE10hipError_tPvRmT2_T3_mT4_P12ihipStream_tbEUlT_E_NS1_11comp_targetILNS1_3genE0ELNS1_11target_archE4294967295ELNS1_3gpuE0ELNS1_3repE0EEENS1_30default_config_static_selectorELNS0_4arch9wavefront6targetE1EEEvT1_,comdat
	.protected	_ZN7rocprim17ROCPRIM_400000_NS6detail17trampoline_kernelINS0_14default_configENS1_35adjacent_difference_config_selectorILb1EhEEZNS1_24adjacent_difference_implIS3_Lb1ELb0EPKhPhN6thrust23THRUST_200600_302600_NS4plusIhEEEE10hipError_tPvRmT2_T3_mT4_P12ihipStream_tbEUlT_E_NS1_11comp_targetILNS1_3genE0ELNS1_11target_archE4294967295ELNS1_3gpuE0ELNS1_3repE0EEENS1_30default_config_static_selectorELNS0_4arch9wavefront6targetE1EEEvT1_ ; -- Begin function _ZN7rocprim17ROCPRIM_400000_NS6detail17trampoline_kernelINS0_14default_configENS1_35adjacent_difference_config_selectorILb1EhEEZNS1_24adjacent_difference_implIS3_Lb1ELb0EPKhPhN6thrust23THRUST_200600_302600_NS4plusIhEEEE10hipError_tPvRmT2_T3_mT4_P12ihipStream_tbEUlT_E_NS1_11comp_targetILNS1_3genE0ELNS1_11target_archE4294967295ELNS1_3gpuE0ELNS1_3repE0EEENS1_30default_config_static_selectorELNS0_4arch9wavefront6targetE1EEEvT1_
	.globl	_ZN7rocprim17ROCPRIM_400000_NS6detail17trampoline_kernelINS0_14default_configENS1_35adjacent_difference_config_selectorILb1EhEEZNS1_24adjacent_difference_implIS3_Lb1ELb0EPKhPhN6thrust23THRUST_200600_302600_NS4plusIhEEEE10hipError_tPvRmT2_T3_mT4_P12ihipStream_tbEUlT_E_NS1_11comp_targetILNS1_3genE0ELNS1_11target_archE4294967295ELNS1_3gpuE0ELNS1_3repE0EEENS1_30default_config_static_selectorELNS0_4arch9wavefront6targetE1EEEvT1_
	.p2align	8
	.type	_ZN7rocprim17ROCPRIM_400000_NS6detail17trampoline_kernelINS0_14default_configENS1_35adjacent_difference_config_selectorILb1EhEEZNS1_24adjacent_difference_implIS3_Lb1ELb0EPKhPhN6thrust23THRUST_200600_302600_NS4plusIhEEEE10hipError_tPvRmT2_T3_mT4_P12ihipStream_tbEUlT_E_NS1_11comp_targetILNS1_3genE0ELNS1_11target_archE4294967295ELNS1_3gpuE0ELNS1_3repE0EEENS1_30default_config_static_selectorELNS0_4arch9wavefront6targetE1EEEvT1_,@function
_ZN7rocprim17ROCPRIM_400000_NS6detail17trampoline_kernelINS0_14default_configENS1_35adjacent_difference_config_selectorILb1EhEEZNS1_24adjacent_difference_implIS3_Lb1ELb0EPKhPhN6thrust23THRUST_200600_302600_NS4plusIhEEEE10hipError_tPvRmT2_T3_mT4_P12ihipStream_tbEUlT_E_NS1_11comp_targetILNS1_3genE0ELNS1_11target_archE4294967295ELNS1_3gpuE0ELNS1_3repE0EEENS1_30default_config_static_selectorELNS0_4arch9wavefront6targetE1EEEvT1_: ; @_ZN7rocprim17ROCPRIM_400000_NS6detail17trampoline_kernelINS0_14default_configENS1_35adjacent_difference_config_selectorILb1EhEEZNS1_24adjacent_difference_implIS3_Lb1ELb0EPKhPhN6thrust23THRUST_200600_302600_NS4plusIhEEEE10hipError_tPvRmT2_T3_mT4_P12ihipStream_tbEUlT_E_NS1_11comp_targetILNS1_3genE0ELNS1_11target_archE4294967295ELNS1_3gpuE0ELNS1_3repE0EEENS1_30default_config_static_selectorELNS0_4arch9wavefront6targetE1EEEvT1_
; %bb.0:
	.section	.rodata,"a",@progbits
	.p2align	6, 0x0
	.amdhsa_kernel _ZN7rocprim17ROCPRIM_400000_NS6detail17trampoline_kernelINS0_14default_configENS1_35adjacent_difference_config_selectorILb1EhEEZNS1_24adjacent_difference_implIS3_Lb1ELb0EPKhPhN6thrust23THRUST_200600_302600_NS4plusIhEEEE10hipError_tPvRmT2_T3_mT4_P12ihipStream_tbEUlT_E_NS1_11comp_targetILNS1_3genE0ELNS1_11target_archE4294967295ELNS1_3gpuE0ELNS1_3repE0EEENS1_30default_config_static_selectorELNS0_4arch9wavefront6targetE1EEEvT1_
		.amdhsa_group_segment_fixed_size 0
		.amdhsa_private_segment_fixed_size 0
		.amdhsa_kernarg_size 56
		.amdhsa_user_sgpr_count 6
		.amdhsa_user_sgpr_private_segment_buffer 1
		.amdhsa_user_sgpr_dispatch_ptr 0
		.amdhsa_user_sgpr_queue_ptr 0
		.amdhsa_user_sgpr_kernarg_segment_ptr 1
		.amdhsa_user_sgpr_dispatch_id 0
		.amdhsa_user_sgpr_flat_scratch_init 0
		.amdhsa_user_sgpr_kernarg_preload_length 0
		.amdhsa_user_sgpr_kernarg_preload_offset 0
		.amdhsa_user_sgpr_private_segment_size 0
		.amdhsa_uses_dynamic_stack 0
		.amdhsa_system_sgpr_private_segment_wavefront_offset 0
		.amdhsa_system_sgpr_workgroup_id_x 1
		.amdhsa_system_sgpr_workgroup_id_y 0
		.amdhsa_system_sgpr_workgroup_id_z 0
		.amdhsa_system_sgpr_workgroup_info 0
		.amdhsa_system_vgpr_workitem_id 0
		.amdhsa_next_free_vgpr 1
		.amdhsa_next_free_sgpr 0
		.amdhsa_accum_offset 4
		.amdhsa_reserve_vcc 0
		.amdhsa_reserve_flat_scratch 0
		.amdhsa_float_round_mode_32 0
		.amdhsa_float_round_mode_16_64 0
		.amdhsa_float_denorm_mode_32 3
		.amdhsa_float_denorm_mode_16_64 3
		.amdhsa_dx10_clamp 1
		.amdhsa_ieee_mode 1
		.amdhsa_fp16_overflow 0
		.amdhsa_tg_split 0
		.amdhsa_exception_fp_ieee_invalid_op 0
		.amdhsa_exception_fp_denorm_src 0
		.amdhsa_exception_fp_ieee_div_zero 0
		.amdhsa_exception_fp_ieee_overflow 0
		.amdhsa_exception_fp_ieee_underflow 0
		.amdhsa_exception_fp_ieee_inexact 0
		.amdhsa_exception_int_div_zero 0
	.end_amdhsa_kernel
	.section	.text._ZN7rocprim17ROCPRIM_400000_NS6detail17trampoline_kernelINS0_14default_configENS1_35adjacent_difference_config_selectorILb1EhEEZNS1_24adjacent_difference_implIS3_Lb1ELb0EPKhPhN6thrust23THRUST_200600_302600_NS4plusIhEEEE10hipError_tPvRmT2_T3_mT4_P12ihipStream_tbEUlT_E_NS1_11comp_targetILNS1_3genE0ELNS1_11target_archE4294967295ELNS1_3gpuE0ELNS1_3repE0EEENS1_30default_config_static_selectorELNS0_4arch9wavefront6targetE1EEEvT1_,"axG",@progbits,_ZN7rocprim17ROCPRIM_400000_NS6detail17trampoline_kernelINS0_14default_configENS1_35adjacent_difference_config_selectorILb1EhEEZNS1_24adjacent_difference_implIS3_Lb1ELb0EPKhPhN6thrust23THRUST_200600_302600_NS4plusIhEEEE10hipError_tPvRmT2_T3_mT4_P12ihipStream_tbEUlT_E_NS1_11comp_targetILNS1_3genE0ELNS1_11target_archE4294967295ELNS1_3gpuE0ELNS1_3repE0EEENS1_30default_config_static_selectorELNS0_4arch9wavefront6targetE1EEEvT1_,comdat
.Lfunc_end508:
	.size	_ZN7rocprim17ROCPRIM_400000_NS6detail17trampoline_kernelINS0_14default_configENS1_35adjacent_difference_config_selectorILb1EhEEZNS1_24adjacent_difference_implIS3_Lb1ELb0EPKhPhN6thrust23THRUST_200600_302600_NS4plusIhEEEE10hipError_tPvRmT2_T3_mT4_P12ihipStream_tbEUlT_E_NS1_11comp_targetILNS1_3genE0ELNS1_11target_archE4294967295ELNS1_3gpuE0ELNS1_3repE0EEENS1_30default_config_static_selectorELNS0_4arch9wavefront6targetE1EEEvT1_, .Lfunc_end508-_ZN7rocprim17ROCPRIM_400000_NS6detail17trampoline_kernelINS0_14default_configENS1_35adjacent_difference_config_selectorILb1EhEEZNS1_24adjacent_difference_implIS3_Lb1ELb0EPKhPhN6thrust23THRUST_200600_302600_NS4plusIhEEEE10hipError_tPvRmT2_T3_mT4_P12ihipStream_tbEUlT_E_NS1_11comp_targetILNS1_3genE0ELNS1_11target_archE4294967295ELNS1_3gpuE0ELNS1_3repE0EEENS1_30default_config_static_selectorELNS0_4arch9wavefront6targetE1EEEvT1_
                                        ; -- End function
	.section	.AMDGPU.csdata,"",@progbits
; Kernel info:
; codeLenInByte = 0
; NumSgprs: 4
; NumVgprs: 0
; NumAgprs: 0
; TotalNumVgprs: 0
; ScratchSize: 0
; MemoryBound: 0
; FloatMode: 240
; IeeeMode: 1
; LDSByteSize: 0 bytes/workgroup (compile time only)
; SGPRBlocks: 0
; VGPRBlocks: 0
; NumSGPRsForWavesPerEU: 4
; NumVGPRsForWavesPerEU: 1
; AccumOffset: 4
; Occupancy: 8
; WaveLimiterHint : 0
; COMPUTE_PGM_RSRC2:SCRATCH_EN: 0
; COMPUTE_PGM_RSRC2:USER_SGPR: 6
; COMPUTE_PGM_RSRC2:TRAP_HANDLER: 0
; COMPUTE_PGM_RSRC2:TGID_X_EN: 1
; COMPUTE_PGM_RSRC2:TGID_Y_EN: 0
; COMPUTE_PGM_RSRC2:TGID_Z_EN: 0
; COMPUTE_PGM_RSRC2:TIDIG_COMP_CNT: 0
; COMPUTE_PGM_RSRC3_GFX90A:ACCUM_OFFSET: 0
; COMPUTE_PGM_RSRC3_GFX90A:TG_SPLIT: 0
	.section	.text._ZN7rocprim17ROCPRIM_400000_NS6detail17trampoline_kernelINS0_14default_configENS1_35adjacent_difference_config_selectorILb1EhEEZNS1_24adjacent_difference_implIS3_Lb1ELb0EPKhPhN6thrust23THRUST_200600_302600_NS4plusIhEEEE10hipError_tPvRmT2_T3_mT4_P12ihipStream_tbEUlT_E_NS1_11comp_targetILNS1_3genE10ELNS1_11target_archE1201ELNS1_3gpuE5ELNS1_3repE0EEENS1_30default_config_static_selectorELNS0_4arch9wavefront6targetE1EEEvT1_,"axG",@progbits,_ZN7rocprim17ROCPRIM_400000_NS6detail17trampoline_kernelINS0_14default_configENS1_35adjacent_difference_config_selectorILb1EhEEZNS1_24adjacent_difference_implIS3_Lb1ELb0EPKhPhN6thrust23THRUST_200600_302600_NS4plusIhEEEE10hipError_tPvRmT2_T3_mT4_P12ihipStream_tbEUlT_E_NS1_11comp_targetILNS1_3genE10ELNS1_11target_archE1201ELNS1_3gpuE5ELNS1_3repE0EEENS1_30default_config_static_selectorELNS0_4arch9wavefront6targetE1EEEvT1_,comdat
	.protected	_ZN7rocprim17ROCPRIM_400000_NS6detail17trampoline_kernelINS0_14default_configENS1_35adjacent_difference_config_selectorILb1EhEEZNS1_24adjacent_difference_implIS3_Lb1ELb0EPKhPhN6thrust23THRUST_200600_302600_NS4plusIhEEEE10hipError_tPvRmT2_T3_mT4_P12ihipStream_tbEUlT_E_NS1_11comp_targetILNS1_3genE10ELNS1_11target_archE1201ELNS1_3gpuE5ELNS1_3repE0EEENS1_30default_config_static_selectorELNS0_4arch9wavefront6targetE1EEEvT1_ ; -- Begin function _ZN7rocprim17ROCPRIM_400000_NS6detail17trampoline_kernelINS0_14default_configENS1_35adjacent_difference_config_selectorILb1EhEEZNS1_24adjacent_difference_implIS3_Lb1ELb0EPKhPhN6thrust23THRUST_200600_302600_NS4plusIhEEEE10hipError_tPvRmT2_T3_mT4_P12ihipStream_tbEUlT_E_NS1_11comp_targetILNS1_3genE10ELNS1_11target_archE1201ELNS1_3gpuE5ELNS1_3repE0EEENS1_30default_config_static_selectorELNS0_4arch9wavefront6targetE1EEEvT1_
	.globl	_ZN7rocprim17ROCPRIM_400000_NS6detail17trampoline_kernelINS0_14default_configENS1_35adjacent_difference_config_selectorILb1EhEEZNS1_24adjacent_difference_implIS3_Lb1ELb0EPKhPhN6thrust23THRUST_200600_302600_NS4plusIhEEEE10hipError_tPvRmT2_T3_mT4_P12ihipStream_tbEUlT_E_NS1_11comp_targetILNS1_3genE10ELNS1_11target_archE1201ELNS1_3gpuE5ELNS1_3repE0EEENS1_30default_config_static_selectorELNS0_4arch9wavefront6targetE1EEEvT1_
	.p2align	8
	.type	_ZN7rocprim17ROCPRIM_400000_NS6detail17trampoline_kernelINS0_14default_configENS1_35adjacent_difference_config_selectorILb1EhEEZNS1_24adjacent_difference_implIS3_Lb1ELb0EPKhPhN6thrust23THRUST_200600_302600_NS4plusIhEEEE10hipError_tPvRmT2_T3_mT4_P12ihipStream_tbEUlT_E_NS1_11comp_targetILNS1_3genE10ELNS1_11target_archE1201ELNS1_3gpuE5ELNS1_3repE0EEENS1_30default_config_static_selectorELNS0_4arch9wavefront6targetE1EEEvT1_,@function
_ZN7rocprim17ROCPRIM_400000_NS6detail17trampoline_kernelINS0_14default_configENS1_35adjacent_difference_config_selectorILb1EhEEZNS1_24adjacent_difference_implIS3_Lb1ELb0EPKhPhN6thrust23THRUST_200600_302600_NS4plusIhEEEE10hipError_tPvRmT2_T3_mT4_P12ihipStream_tbEUlT_E_NS1_11comp_targetILNS1_3genE10ELNS1_11target_archE1201ELNS1_3gpuE5ELNS1_3repE0EEENS1_30default_config_static_selectorELNS0_4arch9wavefront6targetE1EEEvT1_: ; @_ZN7rocprim17ROCPRIM_400000_NS6detail17trampoline_kernelINS0_14default_configENS1_35adjacent_difference_config_selectorILb1EhEEZNS1_24adjacent_difference_implIS3_Lb1ELb0EPKhPhN6thrust23THRUST_200600_302600_NS4plusIhEEEE10hipError_tPvRmT2_T3_mT4_P12ihipStream_tbEUlT_E_NS1_11comp_targetILNS1_3genE10ELNS1_11target_archE1201ELNS1_3gpuE5ELNS1_3repE0EEENS1_30default_config_static_selectorELNS0_4arch9wavefront6targetE1EEEvT1_
; %bb.0:
	.section	.rodata,"a",@progbits
	.p2align	6, 0x0
	.amdhsa_kernel _ZN7rocprim17ROCPRIM_400000_NS6detail17trampoline_kernelINS0_14default_configENS1_35adjacent_difference_config_selectorILb1EhEEZNS1_24adjacent_difference_implIS3_Lb1ELb0EPKhPhN6thrust23THRUST_200600_302600_NS4plusIhEEEE10hipError_tPvRmT2_T3_mT4_P12ihipStream_tbEUlT_E_NS1_11comp_targetILNS1_3genE10ELNS1_11target_archE1201ELNS1_3gpuE5ELNS1_3repE0EEENS1_30default_config_static_selectorELNS0_4arch9wavefront6targetE1EEEvT1_
		.amdhsa_group_segment_fixed_size 0
		.amdhsa_private_segment_fixed_size 0
		.amdhsa_kernarg_size 56
		.amdhsa_user_sgpr_count 6
		.amdhsa_user_sgpr_private_segment_buffer 1
		.amdhsa_user_sgpr_dispatch_ptr 0
		.amdhsa_user_sgpr_queue_ptr 0
		.amdhsa_user_sgpr_kernarg_segment_ptr 1
		.amdhsa_user_sgpr_dispatch_id 0
		.amdhsa_user_sgpr_flat_scratch_init 0
		.amdhsa_user_sgpr_kernarg_preload_length 0
		.amdhsa_user_sgpr_kernarg_preload_offset 0
		.amdhsa_user_sgpr_private_segment_size 0
		.amdhsa_uses_dynamic_stack 0
		.amdhsa_system_sgpr_private_segment_wavefront_offset 0
		.amdhsa_system_sgpr_workgroup_id_x 1
		.amdhsa_system_sgpr_workgroup_id_y 0
		.amdhsa_system_sgpr_workgroup_id_z 0
		.amdhsa_system_sgpr_workgroup_info 0
		.amdhsa_system_vgpr_workitem_id 0
		.amdhsa_next_free_vgpr 1
		.amdhsa_next_free_sgpr 0
		.amdhsa_accum_offset 4
		.amdhsa_reserve_vcc 0
		.amdhsa_reserve_flat_scratch 0
		.amdhsa_float_round_mode_32 0
		.amdhsa_float_round_mode_16_64 0
		.amdhsa_float_denorm_mode_32 3
		.amdhsa_float_denorm_mode_16_64 3
		.amdhsa_dx10_clamp 1
		.amdhsa_ieee_mode 1
		.amdhsa_fp16_overflow 0
		.amdhsa_tg_split 0
		.amdhsa_exception_fp_ieee_invalid_op 0
		.amdhsa_exception_fp_denorm_src 0
		.amdhsa_exception_fp_ieee_div_zero 0
		.amdhsa_exception_fp_ieee_overflow 0
		.amdhsa_exception_fp_ieee_underflow 0
		.amdhsa_exception_fp_ieee_inexact 0
		.amdhsa_exception_int_div_zero 0
	.end_amdhsa_kernel
	.section	.text._ZN7rocprim17ROCPRIM_400000_NS6detail17trampoline_kernelINS0_14default_configENS1_35adjacent_difference_config_selectorILb1EhEEZNS1_24adjacent_difference_implIS3_Lb1ELb0EPKhPhN6thrust23THRUST_200600_302600_NS4plusIhEEEE10hipError_tPvRmT2_T3_mT4_P12ihipStream_tbEUlT_E_NS1_11comp_targetILNS1_3genE10ELNS1_11target_archE1201ELNS1_3gpuE5ELNS1_3repE0EEENS1_30default_config_static_selectorELNS0_4arch9wavefront6targetE1EEEvT1_,"axG",@progbits,_ZN7rocprim17ROCPRIM_400000_NS6detail17trampoline_kernelINS0_14default_configENS1_35adjacent_difference_config_selectorILb1EhEEZNS1_24adjacent_difference_implIS3_Lb1ELb0EPKhPhN6thrust23THRUST_200600_302600_NS4plusIhEEEE10hipError_tPvRmT2_T3_mT4_P12ihipStream_tbEUlT_E_NS1_11comp_targetILNS1_3genE10ELNS1_11target_archE1201ELNS1_3gpuE5ELNS1_3repE0EEENS1_30default_config_static_selectorELNS0_4arch9wavefront6targetE1EEEvT1_,comdat
.Lfunc_end509:
	.size	_ZN7rocprim17ROCPRIM_400000_NS6detail17trampoline_kernelINS0_14default_configENS1_35adjacent_difference_config_selectorILb1EhEEZNS1_24adjacent_difference_implIS3_Lb1ELb0EPKhPhN6thrust23THRUST_200600_302600_NS4plusIhEEEE10hipError_tPvRmT2_T3_mT4_P12ihipStream_tbEUlT_E_NS1_11comp_targetILNS1_3genE10ELNS1_11target_archE1201ELNS1_3gpuE5ELNS1_3repE0EEENS1_30default_config_static_selectorELNS0_4arch9wavefront6targetE1EEEvT1_, .Lfunc_end509-_ZN7rocprim17ROCPRIM_400000_NS6detail17trampoline_kernelINS0_14default_configENS1_35adjacent_difference_config_selectorILb1EhEEZNS1_24adjacent_difference_implIS3_Lb1ELb0EPKhPhN6thrust23THRUST_200600_302600_NS4plusIhEEEE10hipError_tPvRmT2_T3_mT4_P12ihipStream_tbEUlT_E_NS1_11comp_targetILNS1_3genE10ELNS1_11target_archE1201ELNS1_3gpuE5ELNS1_3repE0EEENS1_30default_config_static_selectorELNS0_4arch9wavefront6targetE1EEEvT1_
                                        ; -- End function
	.section	.AMDGPU.csdata,"",@progbits
; Kernel info:
; codeLenInByte = 0
; NumSgprs: 4
; NumVgprs: 0
; NumAgprs: 0
; TotalNumVgprs: 0
; ScratchSize: 0
; MemoryBound: 0
; FloatMode: 240
; IeeeMode: 1
; LDSByteSize: 0 bytes/workgroup (compile time only)
; SGPRBlocks: 0
; VGPRBlocks: 0
; NumSGPRsForWavesPerEU: 4
; NumVGPRsForWavesPerEU: 1
; AccumOffset: 4
; Occupancy: 8
; WaveLimiterHint : 0
; COMPUTE_PGM_RSRC2:SCRATCH_EN: 0
; COMPUTE_PGM_RSRC2:USER_SGPR: 6
; COMPUTE_PGM_RSRC2:TRAP_HANDLER: 0
; COMPUTE_PGM_RSRC2:TGID_X_EN: 1
; COMPUTE_PGM_RSRC2:TGID_Y_EN: 0
; COMPUTE_PGM_RSRC2:TGID_Z_EN: 0
; COMPUTE_PGM_RSRC2:TIDIG_COMP_CNT: 0
; COMPUTE_PGM_RSRC3_GFX90A:ACCUM_OFFSET: 0
; COMPUTE_PGM_RSRC3_GFX90A:TG_SPLIT: 0
	.section	.text._ZN7rocprim17ROCPRIM_400000_NS6detail17trampoline_kernelINS0_14default_configENS1_35adjacent_difference_config_selectorILb1EhEEZNS1_24adjacent_difference_implIS3_Lb1ELb0EPKhPhN6thrust23THRUST_200600_302600_NS4plusIhEEEE10hipError_tPvRmT2_T3_mT4_P12ihipStream_tbEUlT_E_NS1_11comp_targetILNS1_3genE5ELNS1_11target_archE942ELNS1_3gpuE9ELNS1_3repE0EEENS1_30default_config_static_selectorELNS0_4arch9wavefront6targetE1EEEvT1_,"axG",@progbits,_ZN7rocprim17ROCPRIM_400000_NS6detail17trampoline_kernelINS0_14default_configENS1_35adjacent_difference_config_selectorILb1EhEEZNS1_24adjacent_difference_implIS3_Lb1ELb0EPKhPhN6thrust23THRUST_200600_302600_NS4plusIhEEEE10hipError_tPvRmT2_T3_mT4_P12ihipStream_tbEUlT_E_NS1_11comp_targetILNS1_3genE5ELNS1_11target_archE942ELNS1_3gpuE9ELNS1_3repE0EEENS1_30default_config_static_selectorELNS0_4arch9wavefront6targetE1EEEvT1_,comdat
	.protected	_ZN7rocprim17ROCPRIM_400000_NS6detail17trampoline_kernelINS0_14default_configENS1_35adjacent_difference_config_selectorILb1EhEEZNS1_24adjacent_difference_implIS3_Lb1ELb0EPKhPhN6thrust23THRUST_200600_302600_NS4plusIhEEEE10hipError_tPvRmT2_T3_mT4_P12ihipStream_tbEUlT_E_NS1_11comp_targetILNS1_3genE5ELNS1_11target_archE942ELNS1_3gpuE9ELNS1_3repE0EEENS1_30default_config_static_selectorELNS0_4arch9wavefront6targetE1EEEvT1_ ; -- Begin function _ZN7rocprim17ROCPRIM_400000_NS6detail17trampoline_kernelINS0_14default_configENS1_35adjacent_difference_config_selectorILb1EhEEZNS1_24adjacent_difference_implIS3_Lb1ELb0EPKhPhN6thrust23THRUST_200600_302600_NS4plusIhEEEE10hipError_tPvRmT2_T3_mT4_P12ihipStream_tbEUlT_E_NS1_11comp_targetILNS1_3genE5ELNS1_11target_archE942ELNS1_3gpuE9ELNS1_3repE0EEENS1_30default_config_static_selectorELNS0_4arch9wavefront6targetE1EEEvT1_
	.globl	_ZN7rocprim17ROCPRIM_400000_NS6detail17trampoline_kernelINS0_14default_configENS1_35adjacent_difference_config_selectorILb1EhEEZNS1_24adjacent_difference_implIS3_Lb1ELb0EPKhPhN6thrust23THRUST_200600_302600_NS4plusIhEEEE10hipError_tPvRmT2_T3_mT4_P12ihipStream_tbEUlT_E_NS1_11comp_targetILNS1_3genE5ELNS1_11target_archE942ELNS1_3gpuE9ELNS1_3repE0EEENS1_30default_config_static_selectorELNS0_4arch9wavefront6targetE1EEEvT1_
	.p2align	8
	.type	_ZN7rocprim17ROCPRIM_400000_NS6detail17trampoline_kernelINS0_14default_configENS1_35adjacent_difference_config_selectorILb1EhEEZNS1_24adjacent_difference_implIS3_Lb1ELb0EPKhPhN6thrust23THRUST_200600_302600_NS4plusIhEEEE10hipError_tPvRmT2_T3_mT4_P12ihipStream_tbEUlT_E_NS1_11comp_targetILNS1_3genE5ELNS1_11target_archE942ELNS1_3gpuE9ELNS1_3repE0EEENS1_30default_config_static_selectorELNS0_4arch9wavefront6targetE1EEEvT1_,@function
_ZN7rocprim17ROCPRIM_400000_NS6detail17trampoline_kernelINS0_14default_configENS1_35adjacent_difference_config_selectorILb1EhEEZNS1_24adjacent_difference_implIS3_Lb1ELb0EPKhPhN6thrust23THRUST_200600_302600_NS4plusIhEEEE10hipError_tPvRmT2_T3_mT4_P12ihipStream_tbEUlT_E_NS1_11comp_targetILNS1_3genE5ELNS1_11target_archE942ELNS1_3gpuE9ELNS1_3repE0EEENS1_30default_config_static_selectorELNS0_4arch9wavefront6targetE1EEEvT1_: ; @_ZN7rocprim17ROCPRIM_400000_NS6detail17trampoline_kernelINS0_14default_configENS1_35adjacent_difference_config_selectorILb1EhEEZNS1_24adjacent_difference_implIS3_Lb1ELb0EPKhPhN6thrust23THRUST_200600_302600_NS4plusIhEEEE10hipError_tPvRmT2_T3_mT4_P12ihipStream_tbEUlT_E_NS1_11comp_targetILNS1_3genE5ELNS1_11target_archE942ELNS1_3gpuE9ELNS1_3repE0EEENS1_30default_config_static_selectorELNS0_4arch9wavefront6targetE1EEEvT1_
; %bb.0:
	.section	.rodata,"a",@progbits
	.p2align	6, 0x0
	.amdhsa_kernel _ZN7rocprim17ROCPRIM_400000_NS6detail17trampoline_kernelINS0_14default_configENS1_35adjacent_difference_config_selectorILb1EhEEZNS1_24adjacent_difference_implIS3_Lb1ELb0EPKhPhN6thrust23THRUST_200600_302600_NS4plusIhEEEE10hipError_tPvRmT2_T3_mT4_P12ihipStream_tbEUlT_E_NS1_11comp_targetILNS1_3genE5ELNS1_11target_archE942ELNS1_3gpuE9ELNS1_3repE0EEENS1_30default_config_static_selectorELNS0_4arch9wavefront6targetE1EEEvT1_
		.amdhsa_group_segment_fixed_size 0
		.amdhsa_private_segment_fixed_size 0
		.amdhsa_kernarg_size 56
		.amdhsa_user_sgpr_count 6
		.amdhsa_user_sgpr_private_segment_buffer 1
		.amdhsa_user_sgpr_dispatch_ptr 0
		.amdhsa_user_sgpr_queue_ptr 0
		.amdhsa_user_sgpr_kernarg_segment_ptr 1
		.amdhsa_user_sgpr_dispatch_id 0
		.amdhsa_user_sgpr_flat_scratch_init 0
		.amdhsa_user_sgpr_kernarg_preload_length 0
		.amdhsa_user_sgpr_kernarg_preload_offset 0
		.amdhsa_user_sgpr_private_segment_size 0
		.amdhsa_uses_dynamic_stack 0
		.amdhsa_system_sgpr_private_segment_wavefront_offset 0
		.amdhsa_system_sgpr_workgroup_id_x 1
		.amdhsa_system_sgpr_workgroup_id_y 0
		.amdhsa_system_sgpr_workgroup_id_z 0
		.amdhsa_system_sgpr_workgroup_info 0
		.amdhsa_system_vgpr_workitem_id 0
		.amdhsa_next_free_vgpr 1
		.amdhsa_next_free_sgpr 0
		.amdhsa_accum_offset 4
		.amdhsa_reserve_vcc 0
		.amdhsa_reserve_flat_scratch 0
		.amdhsa_float_round_mode_32 0
		.amdhsa_float_round_mode_16_64 0
		.amdhsa_float_denorm_mode_32 3
		.amdhsa_float_denorm_mode_16_64 3
		.amdhsa_dx10_clamp 1
		.amdhsa_ieee_mode 1
		.amdhsa_fp16_overflow 0
		.amdhsa_tg_split 0
		.amdhsa_exception_fp_ieee_invalid_op 0
		.amdhsa_exception_fp_denorm_src 0
		.amdhsa_exception_fp_ieee_div_zero 0
		.amdhsa_exception_fp_ieee_overflow 0
		.amdhsa_exception_fp_ieee_underflow 0
		.amdhsa_exception_fp_ieee_inexact 0
		.amdhsa_exception_int_div_zero 0
	.end_amdhsa_kernel
	.section	.text._ZN7rocprim17ROCPRIM_400000_NS6detail17trampoline_kernelINS0_14default_configENS1_35adjacent_difference_config_selectorILb1EhEEZNS1_24adjacent_difference_implIS3_Lb1ELb0EPKhPhN6thrust23THRUST_200600_302600_NS4plusIhEEEE10hipError_tPvRmT2_T3_mT4_P12ihipStream_tbEUlT_E_NS1_11comp_targetILNS1_3genE5ELNS1_11target_archE942ELNS1_3gpuE9ELNS1_3repE0EEENS1_30default_config_static_selectorELNS0_4arch9wavefront6targetE1EEEvT1_,"axG",@progbits,_ZN7rocprim17ROCPRIM_400000_NS6detail17trampoline_kernelINS0_14default_configENS1_35adjacent_difference_config_selectorILb1EhEEZNS1_24adjacent_difference_implIS3_Lb1ELb0EPKhPhN6thrust23THRUST_200600_302600_NS4plusIhEEEE10hipError_tPvRmT2_T3_mT4_P12ihipStream_tbEUlT_E_NS1_11comp_targetILNS1_3genE5ELNS1_11target_archE942ELNS1_3gpuE9ELNS1_3repE0EEENS1_30default_config_static_selectorELNS0_4arch9wavefront6targetE1EEEvT1_,comdat
.Lfunc_end510:
	.size	_ZN7rocprim17ROCPRIM_400000_NS6detail17trampoline_kernelINS0_14default_configENS1_35adjacent_difference_config_selectorILb1EhEEZNS1_24adjacent_difference_implIS3_Lb1ELb0EPKhPhN6thrust23THRUST_200600_302600_NS4plusIhEEEE10hipError_tPvRmT2_T3_mT4_P12ihipStream_tbEUlT_E_NS1_11comp_targetILNS1_3genE5ELNS1_11target_archE942ELNS1_3gpuE9ELNS1_3repE0EEENS1_30default_config_static_selectorELNS0_4arch9wavefront6targetE1EEEvT1_, .Lfunc_end510-_ZN7rocprim17ROCPRIM_400000_NS6detail17trampoline_kernelINS0_14default_configENS1_35adjacent_difference_config_selectorILb1EhEEZNS1_24adjacent_difference_implIS3_Lb1ELb0EPKhPhN6thrust23THRUST_200600_302600_NS4plusIhEEEE10hipError_tPvRmT2_T3_mT4_P12ihipStream_tbEUlT_E_NS1_11comp_targetILNS1_3genE5ELNS1_11target_archE942ELNS1_3gpuE9ELNS1_3repE0EEENS1_30default_config_static_selectorELNS0_4arch9wavefront6targetE1EEEvT1_
                                        ; -- End function
	.section	.AMDGPU.csdata,"",@progbits
; Kernel info:
; codeLenInByte = 0
; NumSgprs: 4
; NumVgprs: 0
; NumAgprs: 0
; TotalNumVgprs: 0
; ScratchSize: 0
; MemoryBound: 0
; FloatMode: 240
; IeeeMode: 1
; LDSByteSize: 0 bytes/workgroup (compile time only)
; SGPRBlocks: 0
; VGPRBlocks: 0
; NumSGPRsForWavesPerEU: 4
; NumVGPRsForWavesPerEU: 1
; AccumOffset: 4
; Occupancy: 8
; WaveLimiterHint : 0
; COMPUTE_PGM_RSRC2:SCRATCH_EN: 0
; COMPUTE_PGM_RSRC2:USER_SGPR: 6
; COMPUTE_PGM_RSRC2:TRAP_HANDLER: 0
; COMPUTE_PGM_RSRC2:TGID_X_EN: 1
; COMPUTE_PGM_RSRC2:TGID_Y_EN: 0
; COMPUTE_PGM_RSRC2:TGID_Z_EN: 0
; COMPUTE_PGM_RSRC2:TIDIG_COMP_CNT: 0
; COMPUTE_PGM_RSRC3_GFX90A:ACCUM_OFFSET: 0
; COMPUTE_PGM_RSRC3_GFX90A:TG_SPLIT: 0
	.section	.text._ZN7rocprim17ROCPRIM_400000_NS6detail17trampoline_kernelINS0_14default_configENS1_35adjacent_difference_config_selectorILb1EhEEZNS1_24adjacent_difference_implIS3_Lb1ELb0EPKhPhN6thrust23THRUST_200600_302600_NS4plusIhEEEE10hipError_tPvRmT2_T3_mT4_P12ihipStream_tbEUlT_E_NS1_11comp_targetILNS1_3genE4ELNS1_11target_archE910ELNS1_3gpuE8ELNS1_3repE0EEENS1_30default_config_static_selectorELNS0_4arch9wavefront6targetE1EEEvT1_,"axG",@progbits,_ZN7rocprim17ROCPRIM_400000_NS6detail17trampoline_kernelINS0_14default_configENS1_35adjacent_difference_config_selectorILb1EhEEZNS1_24adjacent_difference_implIS3_Lb1ELb0EPKhPhN6thrust23THRUST_200600_302600_NS4plusIhEEEE10hipError_tPvRmT2_T3_mT4_P12ihipStream_tbEUlT_E_NS1_11comp_targetILNS1_3genE4ELNS1_11target_archE910ELNS1_3gpuE8ELNS1_3repE0EEENS1_30default_config_static_selectorELNS0_4arch9wavefront6targetE1EEEvT1_,comdat
	.protected	_ZN7rocprim17ROCPRIM_400000_NS6detail17trampoline_kernelINS0_14default_configENS1_35adjacent_difference_config_selectorILb1EhEEZNS1_24adjacent_difference_implIS3_Lb1ELb0EPKhPhN6thrust23THRUST_200600_302600_NS4plusIhEEEE10hipError_tPvRmT2_T3_mT4_P12ihipStream_tbEUlT_E_NS1_11comp_targetILNS1_3genE4ELNS1_11target_archE910ELNS1_3gpuE8ELNS1_3repE0EEENS1_30default_config_static_selectorELNS0_4arch9wavefront6targetE1EEEvT1_ ; -- Begin function _ZN7rocprim17ROCPRIM_400000_NS6detail17trampoline_kernelINS0_14default_configENS1_35adjacent_difference_config_selectorILb1EhEEZNS1_24adjacent_difference_implIS3_Lb1ELb0EPKhPhN6thrust23THRUST_200600_302600_NS4plusIhEEEE10hipError_tPvRmT2_T3_mT4_P12ihipStream_tbEUlT_E_NS1_11comp_targetILNS1_3genE4ELNS1_11target_archE910ELNS1_3gpuE8ELNS1_3repE0EEENS1_30default_config_static_selectorELNS0_4arch9wavefront6targetE1EEEvT1_
	.globl	_ZN7rocprim17ROCPRIM_400000_NS6detail17trampoline_kernelINS0_14default_configENS1_35adjacent_difference_config_selectorILb1EhEEZNS1_24adjacent_difference_implIS3_Lb1ELb0EPKhPhN6thrust23THRUST_200600_302600_NS4plusIhEEEE10hipError_tPvRmT2_T3_mT4_P12ihipStream_tbEUlT_E_NS1_11comp_targetILNS1_3genE4ELNS1_11target_archE910ELNS1_3gpuE8ELNS1_3repE0EEENS1_30default_config_static_selectorELNS0_4arch9wavefront6targetE1EEEvT1_
	.p2align	8
	.type	_ZN7rocprim17ROCPRIM_400000_NS6detail17trampoline_kernelINS0_14default_configENS1_35adjacent_difference_config_selectorILb1EhEEZNS1_24adjacent_difference_implIS3_Lb1ELb0EPKhPhN6thrust23THRUST_200600_302600_NS4plusIhEEEE10hipError_tPvRmT2_T3_mT4_P12ihipStream_tbEUlT_E_NS1_11comp_targetILNS1_3genE4ELNS1_11target_archE910ELNS1_3gpuE8ELNS1_3repE0EEENS1_30default_config_static_selectorELNS0_4arch9wavefront6targetE1EEEvT1_,@function
_ZN7rocprim17ROCPRIM_400000_NS6detail17trampoline_kernelINS0_14default_configENS1_35adjacent_difference_config_selectorILb1EhEEZNS1_24adjacent_difference_implIS3_Lb1ELb0EPKhPhN6thrust23THRUST_200600_302600_NS4plusIhEEEE10hipError_tPvRmT2_T3_mT4_P12ihipStream_tbEUlT_E_NS1_11comp_targetILNS1_3genE4ELNS1_11target_archE910ELNS1_3gpuE8ELNS1_3repE0EEENS1_30default_config_static_selectorELNS0_4arch9wavefront6targetE1EEEvT1_: ; @_ZN7rocprim17ROCPRIM_400000_NS6detail17trampoline_kernelINS0_14default_configENS1_35adjacent_difference_config_selectorILb1EhEEZNS1_24adjacent_difference_implIS3_Lb1ELb0EPKhPhN6thrust23THRUST_200600_302600_NS4plusIhEEEE10hipError_tPvRmT2_T3_mT4_P12ihipStream_tbEUlT_E_NS1_11comp_targetILNS1_3genE4ELNS1_11target_archE910ELNS1_3gpuE8ELNS1_3repE0EEENS1_30default_config_static_selectorELNS0_4arch9wavefront6targetE1EEEvT1_
; %bb.0:
	s_load_dwordx8 s[40:47], s[4:5], 0x0
	s_mov_b32 s1, 0x5ca1aca0
	v_bfrev_b32_e32 v1, 6
	s_load_dwordx4 s[8:11], s[4:5], 0x28
	s_movk_i32 s0, 0x980
	s_waitcnt lgkmcnt(0)
	s_add_u32 s7, s40, s42
	s_addc_u32 s18, s41, s43
	s_add_u32 s1, 0x14a, s1
	s_addc_u32 s2, 0, 0
	v_add_co_u32_e32 v1, vcc, s1, v1
	s_cmp_lg_u64 vcc, 0
	v_readfirstlane_b32 s3, v1
	s_addc_u32 s1, s2, 0x1af286
	s_mul_hi_u32 s4, s3, 0xfffff680
	s_mul_i32 s2, s1, 0xfffff680
	s_sub_i32 s4, s4, s3
	s_add_i32 s4, s4, s2
	s_mul_i32 s12, s3, 0xfffff680
	s_mul_hi_u32 s2, s3, s4
	s_mul_i32 s5, s3, s4
	s_mul_hi_u32 s3, s3, s12
	s_add_u32 s3, s3, s5
	s_addc_u32 s2, 0, s2
	s_mul_hi_u32 s13, s1, s12
	s_mul_i32 s12, s1, s12
	s_add_u32 s3, s3, s12
	s_mul_hi_u32 s5, s1, s4
	s_addc_u32 s2, s2, s13
	s_addc_u32 s3, s5, 0
	s_mul_i32 s4, s1, s4
	s_add_u32 s2, s2, s4
	s_addc_u32 s3, 0, s3
	v_add_co_u32_e32 v1, vcc, s2, v1
	s_cmp_lg_u64 vcc, 0
	s_addc_u32 s1, s1, s3
	v_readfirstlane_b32 s4, v1
	s_mul_i32 s3, s46, s1
	s_mul_hi_u32 s5, s46, s4
	s_mul_hi_u32 s2, s46, s1
	s_add_u32 s3, s5, s3
	s_addc_u32 s2, 0, s2
	s_mul_hi_u32 s12, s47, s4
	s_mul_i32 s4, s47, s4
	s_add_u32 s3, s3, s4
	s_mul_hi_u32 s5, s47, s1
	s_addc_u32 s2, s2, s12
	s_addc_u32 s3, s5, 0
	s_mul_i32 s1, s47, s1
	s_add_u32 s1, s2, s1
	s_addc_u32 s2, 0, s3
	s_add_u32 s3, s1, 1
	s_addc_u32 s4, s2, 0
	s_add_u32 s5, s1, 2
	s_mul_i32 s13, s2, 0x980
	s_mul_hi_u32 s14, s1, 0x980
	s_addc_u32 s12, s2, 0
	s_add_i32 s14, s14, s13
	s_mul_i32 s13, s1, 0x980
	v_mov_b32_e32 v1, s13
	v_sub_co_u32_e32 v1, vcc, s46, v1
	s_cmp_lg_u64 vcc, 0
	s_subb_u32 s13, s47, s14
	v_subrev_co_u32_e32 v2, vcc, s0, v1
	s_cmp_lg_u64 vcc, 0
	s_subb_u32 s0, s13, 0
	v_readfirstlane_b32 s14, v2
	s_cmpk_gt_u32 s14, 0x97f
	s_cselect_b32 s14, -1, 0
	s_cmp_eq_u32 s0, 0
	s_cselect_b32 s0, s14, -1
	s_cmp_lg_u32 s0, 0
	s_cselect_b32 s0, s5, s3
	s_cselect_b32 s3, s12, s4
	v_readfirstlane_b32 s4, v1
	s_cmpk_gt_u32 s4, 0x97f
	s_cselect_b32 s4, -1, 0
	s_cmp_eq_u32 s13, 0
	s_cselect_b32 s4, s4, -1
	s_cmp_lg_u32 s4, 0
	s_cselect_b32 s3, s3, s2
	s_cselect_b32 s2, s0, s1
	s_mul_i32 s0, s3, 0x980
	s_mul_hi_u32 s1, s2, 0x980
	s_add_i32 s1, s1, s0
	s_mul_i32 s0, s2, 0x980
	s_sub_u32 s0, s46, s0
	s_subb_u32 s1, s47, s1
	s_cmp_lg_u64 s[0:1], 0
	s_cselect_b64 s[0:1], -1, 0
	v_cndmask_b32_e64 v1, 0, 1, s[0:1]
	v_readfirstlane_b32 s0, v1
	s_add_u32 s2, s2, s0
	s_addc_u32 s3, s3, 0
	s_add_u32 s4, s10, s6
	s_addc_u32 s5, s11, 0
	s_add_u32 s12, s2, -1
	s_addc_u32 s13, s3, -1
	v_pk_mov_b32 v[2:3], s[12:13], s[12:13] op_sel:[0,1]
	v_cmp_ge_u64_e64 s[0:1], s[4:5], v[2:3]
	s_mul_i32 s33, s6, 0x980
	s_mov_b64 s[14:15], -1
	s_and_b64 vcc, exec, s[0:1]
	s_mul_i32 s47, s12, 0xfffff680
	s_cbranch_vccz .LBB511_40
; %bb.1:
	s_add_i32 s19, s47, s46
	s_add_u32 s14, s7, s33
	s_addc_u32 s15, s18, 0
	v_cmp_gt_u32_e32 vcc, s19, v0
                                        ; implicit-def: $vgpr1
	s_and_saveexec_b64 s[16:17], vcc
	s_cbranch_execz .LBB511_3
; %bb.2:
	global_load_ubyte v1, v0, s[14:15]
.LBB511_3:
	s_or_b64 exec, exec, s[16:17]
	v_or_b32_e32 v2, 0x80, v0
	v_cmp_gt_u32_e32 vcc, s19, v2
                                        ; implicit-def: $vgpr2
	s_and_saveexec_b64 s[16:17], vcc
	s_cbranch_execz .LBB511_5
; %bb.4:
	global_load_ubyte v2, v0, s[14:15] offset:128
.LBB511_5:
	s_or_b64 exec, exec, s[16:17]
	v_or_b32_e32 v3, 0x100, v0
	v_cmp_gt_u32_e32 vcc, s19, v3
                                        ; implicit-def: $vgpr3
	s_and_saveexec_b64 s[16:17], vcc
	s_cbranch_execz .LBB511_7
; %bb.6:
	global_load_ubyte v3, v0, s[14:15] offset:256
.LBB511_7:
	s_or_b64 exec, exec, s[16:17]
	v_or_b32_e32 v4, 0x180, v0
	v_cmp_gt_u32_e32 vcc, s19, v4
                                        ; implicit-def: $vgpr4
	s_and_saveexec_b64 s[16:17], vcc
	s_cbranch_execz .LBB511_9
; %bb.8:
	global_load_ubyte v4, v0, s[14:15] offset:384
.LBB511_9:
	s_or_b64 exec, exec, s[16:17]
	v_or_b32_e32 v5, 0x200, v0
	v_cmp_gt_u32_e32 vcc, s19, v5
                                        ; implicit-def: $vgpr5
	s_and_saveexec_b64 s[16:17], vcc
	s_cbranch_execz .LBB511_11
; %bb.10:
	global_load_ubyte v5, v0, s[14:15] offset:512
.LBB511_11:
	s_or_b64 exec, exec, s[16:17]
	v_or_b32_e32 v6, 0x280, v0
	v_cmp_gt_u32_e32 vcc, s19, v6
                                        ; implicit-def: $vgpr6
	s_and_saveexec_b64 s[16:17], vcc
	s_cbranch_execz .LBB511_13
; %bb.12:
	global_load_ubyte v6, v0, s[14:15] offset:640
.LBB511_13:
	s_or_b64 exec, exec, s[16:17]
	v_or_b32_e32 v7, 0x300, v0
	v_cmp_gt_u32_e32 vcc, s19, v7
                                        ; implicit-def: $vgpr7
	s_and_saveexec_b64 s[16:17], vcc
	s_cbranch_execz .LBB511_15
; %bb.14:
	global_load_ubyte v7, v0, s[14:15] offset:768
.LBB511_15:
	s_or_b64 exec, exec, s[16:17]
	v_or_b32_e32 v8, 0x380, v0
	v_cmp_gt_u32_e32 vcc, s19, v8
                                        ; implicit-def: $vgpr8
	s_and_saveexec_b64 s[16:17], vcc
	s_cbranch_execz .LBB511_17
; %bb.16:
	global_load_ubyte v8, v0, s[14:15] offset:896
.LBB511_17:
	s_or_b64 exec, exec, s[16:17]
	v_or_b32_e32 v9, 0x400, v0
	v_cmp_gt_u32_e32 vcc, s19, v9
                                        ; implicit-def: $vgpr9
	s_and_saveexec_b64 s[16:17], vcc
	s_cbranch_execz .LBB511_19
; %bb.18:
	global_load_ubyte v9, v0, s[14:15] offset:1024
.LBB511_19:
	s_or_b64 exec, exec, s[16:17]
	v_or_b32_e32 v10, 0x480, v0
	v_cmp_gt_u32_e32 vcc, s19, v10
                                        ; implicit-def: $vgpr10
	s_and_saveexec_b64 s[16:17], vcc
	s_cbranch_execz .LBB511_21
; %bb.20:
	global_load_ubyte v10, v0, s[14:15] offset:1152
.LBB511_21:
	s_or_b64 exec, exec, s[16:17]
	v_or_b32_e32 v11, 0x500, v0
	v_cmp_gt_u32_e32 vcc, s19, v11
                                        ; implicit-def: $vgpr11
	s_and_saveexec_b64 s[16:17], vcc
	s_cbranch_execz .LBB511_23
; %bb.22:
	global_load_ubyte v11, v0, s[14:15] offset:1280
.LBB511_23:
	s_or_b64 exec, exec, s[16:17]
	v_or_b32_e32 v12, 0x580, v0
	v_cmp_gt_u32_e32 vcc, s19, v12
                                        ; implicit-def: $vgpr12
	s_and_saveexec_b64 s[16:17], vcc
	s_cbranch_execz .LBB511_25
; %bb.24:
	global_load_ubyte v12, v0, s[14:15] offset:1408
.LBB511_25:
	s_or_b64 exec, exec, s[16:17]
	v_or_b32_e32 v13, 0x600, v0
	v_cmp_gt_u32_e32 vcc, s19, v13
                                        ; implicit-def: $vgpr13
	s_and_saveexec_b64 s[16:17], vcc
	s_cbranch_execz .LBB511_27
; %bb.26:
	global_load_ubyte v13, v0, s[14:15] offset:1536
.LBB511_27:
	s_or_b64 exec, exec, s[16:17]
	v_or_b32_e32 v14, 0x680, v0
	v_cmp_gt_u32_e32 vcc, s19, v14
                                        ; implicit-def: $vgpr14
	s_and_saveexec_b64 s[16:17], vcc
	s_cbranch_execz .LBB511_29
; %bb.28:
	global_load_ubyte v14, v0, s[14:15] offset:1664
.LBB511_29:
	s_or_b64 exec, exec, s[16:17]
	v_or_b32_e32 v15, 0x700, v0
	v_cmp_gt_u32_e32 vcc, s19, v15
                                        ; implicit-def: $vgpr15
	s_and_saveexec_b64 s[16:17], vcc
	s_cbranch_execz .LBB511_31
; %bb.30:
	global_load_ubyte v15, v0, s[14:15] offset:1792
.LBB511_31:
	s_or_b64 exec, exec, s[16:17]
	v_or_b32_e32 v16, 0x780, v0
	v_cmp_gt_u32_e32 vcc, s19, v16
                                        ; implicit-def: $vgpr16
	s_and_saveexec_b64 s[16:17], vcc
	s_cbranch_execz .LBB511_33
; %bb.32:
	global_load_ubyte v16, v0, s[14:15] offset:1920
.LBB511_33:
	s_or_b64 exec, exec, s[16:17]
	v_or_b32_e32 v17, 0x800, v0
	v_cmp_gt_u32_e32 vcc, s19, v17
                                        ; implicit-def: $vgpr17
	s_and_saveexec_b64 s[16:17], vcc
	s_cbranch_execz .LBB511_35
; %bb.34:
	global_load_ubyte v17, v0, s[14:15] offset:2048
.LBB511_35:
	s_or_b64 exec, exec, s[16:17]
	v_or_b32_e32 v18, 0x880, v0
	v_cmp_gt_u32_e32 vcc, s19, v18
                                        ; implicit-def: $vgpr18
	s_and_saveexec_b64 s[16:17], vcc
	s_cbranch_execz .LBB511_37
; %bb.36:
	global_load_ubyte v18, v0, s[14:15] offset:2176
.LBB511_37:
	s_or_b64 exec, exec, s[16:17]
	v_or_b32_e32 v19, 0x900, v0
	v_cmp_gt_u32_e32 vcc, s19, v19
                                        ; implicit-def: $vgpr19
	s_and_saveexec_b64 s[16:17], vcc
	s_cbranch_execz .LBB511_39
; %bb.38:
	global_load_ubyte v19, v0, s[14:15] offset:2304
.LBB511_39:
	s_or_b64 exec, exec, s[16:17]
	s_mov_b64 s[14:15], 0
	s_waitcnt vmcnt(0)
	ds_write_b8 v0, v1
	ds_write_b8 v0, v2 offset:128
	ds_write_b8 v0, v3 offset:256
	;; [unrolled: 1-line block ×18, first 2 shown]
	s_waitcnt lgkmcnt(0)
	s_barrier
.LBB511_40:
	s_and_b64 vcc, exec, s[14:15]
	s_cbranch_vccz .LBB511_42
; %bb.41:
	s_add_u32 s14, s7, s33
	s_addc_u32 s15, s18, 0
	global_load_ubyte v1, v0, s[14:15]
	global_load_ubyte v2, v0, s[14:15] offset:128
	global_load_ubyte v3, v0, s[14:15] offset:256
	;; [unrolled: 1-line block ×18, first 2 shown]
	s_waitcnt vmcnt(18)
	ds_write_b8 v0, v1
	s_waitcnt vmcnt(17)
	ds_write_b8 v0, v2 offset:128
	s_waitcnt vmcnt(16)
	ds_write_b8 v0, v3 offset:256
	;; [unrolled: 2-line block ×18, first 2 shown]
	s_waitcnt lgkmcnt(0)
	s_barrier
.LBB511_42:
	v_mul_u32_u24_e32 v1, 19, v0
	ds_read_b128 v[2:5], v1
	ds_read_u8 v6, v1 offset:16
	ds_read_u8 v7, v1 offset:17
	;; [unrolled: 1-line block ×3, first 2 shown]
	s_cmp_eq_u64 s[4:5], 0
	s_waitcnt lgkmcnt(3)
	v_lshrrev_b32_e32 v9, 8, v2
	v_lshrrev_b32_e32 v10, 16, v2
	;; [unrolled: 1-line block ×12, first 2 shown]
	s_waitcnt lgkmcnt(0)
	s_barrier
	s_cbranch_scc1 .LBB511_47
; %bb.43:
	s_add_u32 s7, s8, s10
	s_addc_u32 s8, s9, s11
	s_add_u32 s6, s7, s6
	s_addc_u32 s7, s8, 0
	v_mov_b32_e32 v1, 0
	global_load_ubyte v38, v1, s[6:7] offset:-1
	s_cmp_eq_u64 s[4:5], s[12:13]
	s_cbranch_scc1 .LBB511_48
; %bb.44:
	v_cmp_ne_u32_e32 vcc, 0, v0
	s_waitcnt vmcnt(0)
	v_mov_b32_e32 v1, v38
	ds_write_b8 v0, v8
	s_waitcnt lgkmcnt(0)
	s_barrier
	s_and_saveexec_b64 s[6:7], vcc
	s_cbranch_execz .LBB511_46
; %bb.45:
	v_add_u32_e32 v1, -1, v0
	ds_read_u8 v1, v1
.LBB511_46:
	s_or_b64 exec, exec, s[6:7]
	s_waitcnt lgkmcnt(0)
	v_add_u16_e32 v1, v1, v2
	s_mov_b64 s[6:7], 0
	s_branch .LBB511_49
.LBB511_47:
                                        ; implicit-def: $vgpr1
                                        ; implicit-def: $vgpr39
                                        ; implicit-def: $vgpr37
                                        ; implicit-def: $vgpr36
                                        ; implicit-def: $vgpr35
                                        ; implicit-def: $vgpr34
                                        ; implicit-def: $vgpr33
                                        ; implicit-def: $vgpr32
                                        ; implicit-def: $vgpr31
                                        ; implicit-def: $vgpr30
                                        ; implicit-def: $vgpr28
                                        ; implicit-def: $vgpr27
                                        ; implicit-def: $vgpr26
                                        ; implicit-def: $vgpr25
                                        ; implicit-def: $vgpr24
                                        ; implicit-def: $vgpr23
                                        ; implicit-def: $vgpr22
                                        ; implicit-def: $vgpr21
                                        ; implicit-def: $vgpr29
	s_branch .LBB511_54
.LBB511_48:
	s_mov_b64 s[6:7], -1
                                        ; implicit-def: $vgpr1
.LBB511_49:
	s_and_b64 vcc, exec, s[6:7]
	v_mov_b32_e32 v39, v2
	v_mov_b32_e32 v37, v9
	;; [unrolled: 1-line block ×18, first 2 shown]
	s_cbranch_vccz .LBB511_53
; %bb.50:
	v_mul_u32_u24_e32 v1, 19, v0
	v_cmp_ne_u32_e32 vcc, 0, v0
	ds_write_b8 v0, v8
	s_waitcnt lgkmcnt(0)
	s_barrier
	s_and_saveexec_b64 s[6:7], vcc
	s_cbranch_execz .LBB511_52
; %bb.51:
	v_add_u32_e32 v21, -1, v0
	s_waitcnt vmcnt(0)
	ds_read_u8 v38, v21
.LBB511_52:
	s_or_b64 exec, exec, s[6:7]
	s_mulk_i32 s4, 0xf680
	s_add_i32 s4, s4, s46
	v_add_u32_e32 v21, 18, v1
	v_cmp_gt_u32_e32 vcc, s4, v21
	v_add_u32_e32 v21, 17, v1
	v_cndmask_b32_e32 v29, 0, v7, vcc
	v_cmp_gt_u32_e32 vcc, s4, v21
	v_add_u32_e32 v22, 16, v1
	v_cndmask_b32_e32 v21, 0, v6, vcc
	;; [unrolled: 3-line block ×17, first 2 shown]
	v_cmp_gt_u32_e32 vcc, s4, v39
	v_cndmask_b32_e32 v39, 0, v2, vcc
	v_cmp_gt_u32_e32 vcc, s4, v1
	s_waitcnt vmcnt(0) lgkmcnt(0)
	v_cndmask_b32_e32 v1, 0, v38, vcc
	v_add_u16_e32 v1, v1, v2
.LBB511_53:
	s_cbranch_execnz .LBB511_64
.LBB511_54:
	s_cmp_eq_u64 s[2:3], 1
	v_cmp_ne_u32_e32 vcc, 0, v0
	s_cbranch_scc1 .LBB511_58
; %bb.55:
	v_mov_b32_e32 v1, v2
	ds_write_b8 v0, v8
	s_waitcnt lgkmcnt(0)
	s_barrier
	s_and_saveexec_b64 s[2:3], vcc
	s_cbranch_execz .LBB511_57
; %bb.56:
	v_add_u32_e32 v1, -1, v0
	ds_read_u8 v1, v1
	s_waitcnt lgkmcnt(0)
	v_add_u16_e32 v1, v1, v2
.LBB511_57:
	s_or_b64 exec, exec, s[2:3]
	s_mov_b64 s[2:3], 0
	s_branch .LBB511_59
.LBB511_58:
	s_mov_b64 s[2:3], -1
                                        ; implicit-def: $vgpr1
.LBB511_59:
	s_andn2_b64 vcc, exec, s[2:3]
	v_mov_b32_e32 v37, v9
	v_mov_b32_e32 v36, v10
	;; [unrolled: 1-line block ×17, first 2 shown]
	s_cbranch_vccnz .LBB511_63
; %bb.60:
	v_mad_u32_u24 v21, v0, 19, 18
	v_cmp_gt_u32_e32 vcc, s46, v21
	v_mad_u32_u24 v21, v0, 19, 17
	v_cmp_gt_u32_e64 s[2:3], s46, v21
	v_mad_u32_u24 v21, v0, 19, 16
	v_cmp_gt_u32_e64 s[4:5], s46, v21
	;; [unrolled: 2-line block ×14, first 2 shown]
	v_mad_u32_u24 v21, v0, 19, 3
	v_mul_u32_u24_e32 v1, 19, v0
	v_cmp_gt_u32_e64 s[30:31], s46, v21
	v_mad_u32_u24 v21, v0, 19, 2
	v_cmp_gt_u32_e64 s[34:35], s46, v21
	v_mad_u32_u24 v21, v0, 19, 1
	v_cmp_ne_u32_e64 s[38:39], 0, v0
	v_cmp_gt_u32_e64 s[40:41], s46, v1
	v_cmp_gt_u32_e64 s[36:37], s46, v21
	s_and_b64 s[40:41], s[38:39], s[40:41]
	v_mov_b32_e32 v1, v2
	ds_write_b8 v0, v8
	s_waitcnt lgkmcnt(0)
	s_barrier
	s_and_saveexec_b64 s[38:39], s[40:41]
	s_cbranch_execz .LBB511_62
; %bb.61:
	v_add_u32_e32 v1, -1, v0
	ds_read_u8 v1, v1
	s_waitcnt lgkmcnt(0)
	v_add_u16_e32 v1, v1, v2
.LBB511_62:
	s_or_b64 exec, exec, s[38:39]
	v_cndmask_b32_e32 v29, 0, v7, vcc
	v_cndmask_b32_e64 v21, 0, v6, s[2:3]
	v_cndmask_b32_e64 v22, 0, v20, s[4:5]
	;; [unrolled: 1-line block ×17, first 2 shown]
.LBB511_63:
	v_mov_b32_e32 v39, v2
.LBB511_64:
	s_add_u32 s4, s44, s42
	v_add_u16_e32 v8, v29, v8
	v_add_u16_e32 v2, v39, v9
	;; [unrolled: 1-line block ×13, first 2 shown]
	s_addc_u32 s5, s45, s43
	v_add_u16_e32 v12, v31, v4
	v_add_u16_e32 v14, v26, v5
	;; [unrolled: 1-line block ×5, first 2 shown]
	s_and_b64 vcc, exec, s[0:1]
	v_mul_u32_u24_e32 v6, 19, v0
	v_lshlrev_b16_e32 v21, 8, v17
	v_lshlrev_b16_e32 v22, 8, v18
	;; [unrolled: 1-line block ×8, first 2 shown]
	s_barrier
	s_cbranch_vccz .LBB511_102
; %bb.65:
	v_or_b32_sdwa v2, v14, v21 dst_sel:DWORD dst_unused:UNUSED_PAD src0_sel:BYTE_0 src1_sel:DWORD
	v_or_b32_sdwa v3, v15, v22 dst_sel:WORD_1 dst_unused:UNUSED_PAD src0_sel:BYTE_0 src1_sel:DWORD
	v_or_b32_sdwa v27, v2, v3 dst_sel:DWORD dst_unused:UNUSED_PAD src0_sel:WORD_0 src1_sel:DWORD
	v_or_b32_sdwa v2, v12, v19 dst_sel:DWORD dst_unused:UNUSED_PAD src0_sel:BYTE_0 src1_sel:DWORD
	v_or_b32_sdwa v3, v13, v20 dst_sel:WORD_1 dst_unused:UNUSED_PAD src0_sel:BYTE_0 src1_sel:DWORD
	v_or_b32_sdwa v26, v2, v3 dst_sel:DWORD dst_unused:UNUSED_PAD src0_sel:WORD_0 src1_sel:DWORD
	;; [unrolled: 3-line block ×4, first 2 shown]
	ds_write_b128 v6, v[24:27]
	ds_write_b8 v6, v4 offset:16
	ds_write_b8 v6, v5 offset:17
	ds_write_b8 v6, v8 offset:18
	s_waitcnt lgkmcnt(0)
	s_barrier
	ds_read_u8 v40, v0 offset:128
	ds_read_u8 v39, v0 offset:256
	s_waitcnt vmcnt(0)
	ds_read_u8 v38, v0 offset:384
	ds_read_u8 v37, v0 offset:512
	;; [unrolled: 1-line block ×16, first 2 shown]
	s_add_i32 s47, s47, s46
	s_add_u32 s0, s4, s33
	s_addc_u32 s1, s5, 0
	v_mov_b32_e32 v3, s1
	v_add_co_u32_e32 v2, vcc, s0, v0
	v_addc_co_u32_e32 v3, vcc, 0, v3, vcc
	v_cmp_gt_u32_e32 vcc, s47, v0
	s_and_saveexec_b64 s[0:1], vcc
	s_cbranch_execz .LBB511_67
; %bb.66:
	ds_read_u8 v41, v0
	s_waitcnt lgkmcnt(0)
	global_store_byte v[2:3], v41, off
.LBB511_67:
	s_or_b64 exec, exec, s[0:1]
	v_or_b32_e32 v41, 0x80, v0
	v_cmp_gt_u32_e32 vcc, s47, v41
	s_and_saveexec_b64 s[0:1], vcc
	s_cbranch_execz .LBB511_69
; %bb.68:
	s_waitcnt lgkmcnt(14)
	global_store_byte v[2:3], v40, off offset:128
.LBB511_69:
	s_or_b64 exec, exec, s[0:1]
	s_waitcnt lgkmcnt(14)
	v_or_b32_e32 v40, 0x100, v0
	v_cmp_gt_u32_e32 vcc, s47, v40
	s_and_saveexec_b64 s[0:1], vcc
	s_cbranch_execz .LBB511_71
; %bb.70:
	global_store_byte v[2:3], v39, off offset:256
.LBB511_71:
	s_or_b64 exec, exec, s[0:1]
	v_or_b32_e32 v39, 0x180, v0
	v_cmp_gt_u32_e32 vcc, s47, v39
	s_and_saveexec_b64 s[0:1], vcc
	s_cbranch_execz .LBB511_73
; %bb.72:
	global_store_byte v[2:3], v38, off offset:384
.LBB511_73:
	s_or_b64 exec, exec, s[0:1]
	;; [unrolled: 8-line block ×3, first 2 shown]
	v_or_b32_e32 v37, 0x280, v0
	v_cmp_gt_u32_e32 vcc, s47, v37
	s_and_saveexec_b64 s[0:1], vcc
	s_cbranch_execz .LBB511_77
; %bb.76:
	s_waitcnt lgkmcnt(13)
	global_store_byte v[2:3], v36, off offset:640
.LBB511_77:
	s_or_b64 exec, exec, s[0:1]
	s_waitcnt lgkmcnt(13)
	v_or_b32_e32 v36, 0x300, v0
	v_cmp_gt_u32_e32 vcc, s47, v36
	s_and_saveexec_b64 s[0:1], vcc
	s_cbranch_execz .LBB511_79
; %bb.78:
	s_waitcnt lgkmcnt(12)
	global_store_byte v[2:3], v35, off offset:768
.LBB511_79:
	s_or_b64 exec, exec, s[0:1]
	s_waitcnt lgkmcnt(12)
	v_or_b32_e32 v35, 0x380, v0
	v_cmp_gt_u32_e32 vcc, s47, v35
	s_and_saveexec_b64 s[0:1], vcc
	s_cbranch_execz .LBB511_81
; %bb.80:
	s_waitcnt lgkmcnt(11)
	global_store_byte v[2:3], v34, off offset:896
.LBB511_81:
	s_or_b64 exec, exec, s[0:1]
	s_waitcnt lgkmcnt(11)
	v_or_b32_e32 v34, 0x400, v0
	v_cmp_gt_u32_e32 vcc, s47, v34
	s_and_saveexec_b64 s[0:1], vcc
	s_cbranch_execz .LBB511_83
; %bb.82:
	s_waitcnt lgkmcnt(10)
	global_store_byte v[2:3], v33, off offset:1024
.LBB511_83:
	s_or_b64 exec, exec, s[0:1]
	s_waitcnt lgkmcnt(10)
	v_or_b32_e32 v33, 0x480, v0
	v_cmp_gt_u32_e32 vcc, s47, v33
	s_and_saveexec_b64 s[0:1], vcc
	s_cbranch_execz .LBB511_85
; %bb.84:
	s_waitcnt lgkmcnt(9)
	global_store_byte v[2:3], v32, off offset:1152
.LBB511_85:
	s_or_b64 exec, exec, s[0:1]
	s_waitcnt lgkmcnt(9)
	v_or_b32_e32 v32, 0x500, v0
	v_cmp_gt_u32_e32 vcc, s47, v32
	s_and_saveexec_b64 s[0:1], vcc
	s_cbranch_execz .LBB511_87
; %bb.86:
	s_waitcnt lgkmcnt(8)
	global_store_byte v[2:3], v31, off offset:1280
.LBB511_87:
	s_or_b64 exec, exec, s[0:1]
	s_waitcnt lgkmcnt(8)
	v_or_b32_e32 v31, 0x580, v0
	v_cmp_gt_u32_e32 vcc, s47, v31
	s_and_saveexec_b64 s[0:1], vcc
	s_cbranch_execz .LBB511_89
; %bb.88:
	s_waitcnt lgkmcnt(7)
	global_store_byte v[2:3], v30, off offset:1408
.LBB511_89:
	s_or_b64 exec, exec, s[0:1]
	s_waitcnt lgkmcnt(7)
	v_or_b32_e32 v30, 0x600, v0
	v_cmp_gt_u32_e32 vcc, s47, v30
	s_and_saveexec_b64 s[0:1], vcc
	s_cbranch_execz .LBB511_91
; %bb.90:
	s_waitcnt lgkmcnt(6)
	global_store_byte v[2:3], v29, off offset:1536
.LBB511_91:
	s_or_b64 exec, exec, s[0:1]
	s_waitcnt lgkmcnt(6)
	v_or_b32_e32 v29, 0x680, v0
	v_cmp_gt_u32_e32 vcc, s47, v29
	s_and_saveexec_b64 s[0:1], vcc
	s_cbranch_execz .LBB511_93
; %bb.92:
	s_waitcnt lgkmcnt(5)
	global_store_byte v[2:3], v28, off offset:1664
.LBB511_93:
	s_or_b64 exec, exec, s[0:1]
	s_waitcnt lgkmcnt(5)
	v_or_b32_e32 v28, 0x700, v0
	v_cmp_gt_u32_e32 vcc, s47, v28
	s_and_saveexec_b64 s[0:1], vcc
	s_cbranch_execz .LBB511_95
; %bb.94:
	s_waitcnt lgkmcnt(4)
	global_store_byte v[2:3], v27, off offset:1792
.LBB511_95:
	s_or_b64 exec, exec, s[0:1]
	s_waitcnt lgkmcnt(4)
	v_or_b32_e32 v27, 0x780, v0
	v_cmp_gt_u32_e32 vcc, s47, v27
	s_and_saveexec_b64 s[0:1], vcc
	s_cbranch_execz .LBB511_97
; %bb.96:
	s_waitcnt lgkmcnt(3)
	global_store_byte v[2:3], v26, off offset:1920
.LBB511_97:
	s_or_b64 exec, exec, s[0:1]
	s_waitcnt lgkmcnt(3)
	v_or_b32_e32 v26, 0x800, v0
	v_cmp_gt_u32_e32 vcc, s47, v26
	s_and_saveexec_b64 s[0:1], vcc
	s_cbranch_execz .LBB511_99
; %bb.98:
	s_waitcnt lgkmcnt(2)
	global_store_byte v[2:3], v25, off offset:2048
.LBB511_99:
	s_or_b64 exec, exec, s[0:1]
	s_waitcnt lgkmcnt(2)
	v_or_b32_e32 v25, 0x880, v0
	v_cmp_gt_u32_e32 vcc, s47, v25
	s_and_saveexec_b64 s[0:1], vcc
	s_cbranch_execz .LBB511_101
; %bb.100:
	s_waitcnt lgkmcnt(1)
	global_store_byte v[2:3], v24, off offset:2176
.LBB511_101:
	s_or_b64 exec, exec, s[0:1]
	s_waitcnt lgkmcnt(1)
	v_or_b32_e32 v24, 0x900, v0
	v_cmp_gt_u32_e64 s[0:1], s47, v24
	s_branch .LBB511_104
.LBB511_102:
	s_mov_b64 s[0:1], 0
                                        ; implicit-def: $vgpr23
                                        ; implicit-def: $vgpr2_vgpr3
	s_cbranch_execz .LBB511_104
; %bb.103:
	v_or_b32_sdwa v2, v14, v21 dst_sel:DWORD dst_unused:UNUSED_PAD src0_sel:BYTE_0 src1_sel:DWORD
	v_or_b32_sdwa v3, v15, v22 dst_sel:WORD_1 dst_unused:UNUSED_PAD src0_sel:BYTE_0 src1_sel:DWORD
	v_or_b32_sdwa v15, v2, v3 dst_sel:DWORD dst_unused:UNUSED_PAD src0_sel:WORD_0 src1_sel:DWORD
	v_or_b32_sdwa v2, v12, v19 dst_sel:DWORD dst_unused:UNUSED_PAD src0_sel:BYTE_0 src1_sel:DWORD
	v_or_b32_sdwa v3, v13, v20 dst_sel:WORD_1 dst_unused:UNUSED_PAD src0_sel:BYTE_0 src1_sel:DWORD
	v_or_b32_sdwa v14, v2, v3 dst_sel:DWORD dst_unused:UNUSED_PAD src0_sel:WORD_0 src1_sel:DWORD
	;; [unrolled: 3-line block ×4, first 2 shown]
	s_add_u32 s2, s4, s33
	ds_write_b128 v6, v[12:15]
	ds_write_b8 v6, v4 offset:16
	ds_write_b8 v6, v5 offset:17
	;; [unrolled: 1-line block ×3, first 2 shown]
	s_waitcnt lgkmcnt(0)
	s_barrier
	ds_read_u8 v1, v0
	ds_read_u8 v4, v0 offset:128
	ds_read_u8 v5, v0 offset:256
	ds_read_u8 v6, v0 offset:384
	ds_read_u8 v7, v0 offset:512
	ds_read_u8 v8, v0 offset:640
	ds_read_u8 v9, v0 offset:768
	ds_read_u8 v10, v0 offset:896
	ds_read_u8 v11, v0 offset:1024
	ds_read_u8 v12, v0 offset:1152
	ds_read_u8 v13, v0 offset:1280
	ds_read_u8 v14, v0 offset:1408
	ds_read_u8 v15, v0 offset:1536
	ds_read_u8 v16, v0 offset:1664
	ds_read_u8 v17, v0 offset:1792
	ds_read_u8 v18, v0 offset:1920
	ds_read_u8 v19, v0 offset:2048
	ds_read_u8 v20, v0 offset:2176
	ds_read_u8 v23, v0 offset:2304
	s_addc_u32 s3, s5, 0
	v_mov_b32_e32 v3, s3
	v_add_co_u32_e32 v2, vcc, s2, v0
	v_addc_co_u32_e32 v3, vcc, 0, v3, vcc
	s_or_b64 s[0:1], s[0:1], exec
	s_waitcnt lgkmcnt(14)
	global_store_byte v0, v1, s[2:3]
	global_store_byte v0, v4, s[2:3] offset:128
	global_store_byte v0, v5, s[2:3] offset:256
	;; [unrolled: 1-line block ×4, first 2 shown]
	s_waitcnt lgkmcnt(13)
	global_store_byte v0, v8, s[2:3] offset:640
	s_waitcnt lgkmcnt(12)
	global_store_byte v0, v9, s[2:3] offset:768
	s_waitcnt lgkmcnt(11)
	global_store_byte v0, v10, s[2:3] offset:896
	s_waitcnt lgkmcnt(10)
	global_store_byte v0, v11, s[2:3] offset:1024
	s_waitcnt lgkmcnt(9)
	global_store_byte v0, v12, s[2:3] offset:1152
	s_waitcnt lgkmcnt(8)
	global_store_byte v0, v13, s[2:3] offset:1280
	s_waitcnt lgkmcnt(7)
	global_store_byte v0, v14, s[2:3] offset:1408
	s_waitcnt lgkmcnt(6)
	global_store_byte v0, v15, s[2:3] offset:1536
	s_waitcnt lgkmcnt(5)
	global_store_byte v0, v16, s[2:3] offset:1664
	s_waitcnt lgkmcnt(4)
	global_store_byte v0, v17, s[2:3] offset:1792
	s_waitcnt lgkmcnt(3)
	global_store_byte v0, v18, s[2:3] offset:1920
	s_waitcnt lgkmcnt(2)
	global_store_byte v0, v19, s[2:3] offset:2048
	s_waitcnt lgkmcnt(1)
	global_store_byte v0, v20, s[2:3] offset:2176
.LBB511_104:
	s_and_saveexec_b64 s[2:3], s[0:1]
	s_cbranch_execnz .LBB511_106
; %bb.105:
	s_endpgm
.LBB511_106:
	s_waitcnt lgkmcnt(0)
	global_store_byte v[2:3], v23, off offset:2304
	s_endpgm
	.section	.rodata,"a",@progbits
	.p2align	6, 0x0
	.amdhsa_kernel _ZN7rocprim17ROCPRIM_400000_NS6detail17trampoline_kernelINS0_14default_configENS1_35adjacent_difference_config_selectorILb1EhEEZNS1_24adjacent_difference_implIS3_Lb1ELb0EPKhPhN6thrust23THRUST_200600_302600_NS4plusIhEEEE10hipError_tPvRmT2_T3_mT4_P12ihipStream_tbEUlT_E_NS1_11comp_targetILNS1_3genE4ELNS1_11target_archE910ELNS1_3gpuE8ELNS1_3repE0EEENS1_30default_config_static_selectorELNS0_4arch9wavefront6targetE1EEEvT1_
		.amdhsa_group_segment_fixed_size 2432
		.amdhsa_private_segment_fixed_size 0
		.amdhsa_kernarg_size 56
		.amdhsa_user_sgpr_count 6
		.amdhsa_user_sgpr_private_segment_buffer 1
		.amdhsa_user_sgpr_dispatch_ptr 0
		.amdhsa_user_sgpr_queue_ptr 0
		.amdhsa_user_sgpr_kernarg_segment_ptr 1
		.amdhsa_user_sgpr_dispatch_id 0
		.amdhsa_user_sgpr_flat_scratch_init 0
		.amdhsa_user_sgpr_kernarg_preload_length 0
		.amdhsa_user_sgpr_kernarg_preload_offset 0
		.amdhsa_user_sgpr_private_segment_size 0
		.amdhsa_uses_dynamic_stack 0
		.amdhsa_system_sgpr_private_segment_wavefront_offset 0
		.amdhsa_system_sgpr_workgroup_id_x 1
		.amdhsa_system_sgpr_workgroup_id_y 0
		.amdhsa_system_sgpr_workgroup_id_z 0
		.amdhsa_system_sgpr_workgroup_info 0
		.amdhsa_system_vgpr_workitem_id 0
		.amdhsa_next_free_vgpr 42
		.amdhsa_next_free_sgpr 48
		.amdhsa_accum_offset 44
		.amdhsa_reserve_vcc 1
		.amdhsa_reserve_flat_scratch 0
		.amdhsa_float_round_mode_32 0
		.amdhsa_float_round_mode_16_64 0
		.amdhsa_float_denorm_mode_32 3
		.amdhsa_float_denorm_mode_16_64 3
		.amdhsa_dx10_clamp 1
		.amdhsa_ieee_mode 1
		.amdhsa_fp16_overflow 0
		.amdhsa_tg_split 0
		.amdhsa_exception_fp_ieee_invalid_op 0
		.amdhsa_exception_fp_denorm_src 0
		.amdhsa_exception_fp_ieee_div_zero 0
		.amdhsa_exception_fp_ieee_overflow 0
		.amdhsa_exception_fp_ieee_underflow 0
		.amdhsa_exception_fp_ieee_inexact 0
		.amdhsa_exception_int_div_zero 0
	.end_amdhsa_kernel
	.section	.text._ZN7rocprim17ROCPRIM_400000_NS6detail17trampoline_kernelINS0_14default_configENS1_35adjacent_difference_config_selectorILb1EhEEZNS1_24adjacent_difference_implIS3_Lb1ELb0EPKhPhN6thrust23THRUST_200600_302600_NS4plusIhEEEE10hipError_tPvRmT2_T3_mT4_P12ihipStream_tbEUlT_E_NS1_11comp_targetILNS1_3genE4ELNS1_11target_archE910ELNS1_3gpuE8ELNS1_3repE0EEENS1_30default_config_static_selectorELNS0_4arch9wavefront6targetE1EEEvT1_,"axG",@progbits,_ZN7rocprim17ROCPRIM_400000_NS6detail17trampoline_kernelINS0_14default_configENS1_35adjacent_difference_config_selectorILb1EhEEZNS1_24adjacent_difference_implIS3_Lb1ELb0EPKhPhN6thrust23THRUST_200600_302600_NS4plusIhEEEE10hipError_tPvRmT2_T3_mT4_P12ihipStream_tbEUlT_E_NS1_11comp_targetILNS1_3genE4ELNS1_11target_archE910ELNS1_3gpuE8ELNS1_3repE0EEENS1_30default_config_static_selectorELNS0_4arch9wavefront6targetE1EEEvT1_,comdat
.Lfunc_end511:
	.size	_ZN7rocprim17ROCPRIM_400000_NS6detail17trampoline_kernelINS0_14default_configENS1_35adjacent_difference_config_selectorILb1EhEEZNS1_24adjacent_difference_implIS3_Lb1ELb0EPKhPhN6thrust23THRUST_200600_302600_NS4plusIhEEEE10hipError_tPvRmT2_T3_mT4_P12ihipStream_tbEUlT_E_NS1_11comp_targetILNS1_3genE4ELNS1_11target_archE910ELNS1_3gpuE8ELNS1_3repE0EEENS1_30default_config_static_selectorELNS0_4arch9wavefront6targetE1EEEvT1_, .Lfunc_end511-_ZN7rocprim17ROCPRIM_400000_NS6detail17trampoline_kernelINS0_14default_configENS1_35adjacent_difference_config_selectorILb1EhEEZNS1_24adjacent_difference_implIS3_Lb1ELb0EPKhPhN6thrust23THRUST_200600_302600_NS4plusIhEEEE10hipError_tPvRmT2_T3_mT4_P12ihipStream_tbEUlT_E_NS1_11comp_targetILNS1_3genE4ELNS1_11target_archE910ELNS1_3gpuE8ELNS1_3repE0EEENS1_30default_config_static_selectorELNS0_4arch9wavefront6targetE1EEEvT1_
                                        ; -- End function
	.section	.AMDGPU.csdata,"",@progbits
; Kernel info:
; codeLenInByte = 4624
; NumSgprs: 52
; NumVgprs: 42
; NumAgprs: 0
; TotalNumVgprs: 42
; ScratchSize: 0
; MemoryBound: 0
; FloatMode: 240
; IeeeMode: 1
; LDSByteSize: 2432 bytes/workgroup (compile time only)
; SGPRBlocks: 6
; VGPRBlocks: 5
; NumSGPRsForWavesPerEU: 52
; NumVGPRsForWavesPerEU: 42
; AccumOffset: 44
; Occupancy: 8
; WaveLimiterHint : 1
; COMPUTE_PGM_RSRC2:SCRATCH_EN: 0
; COMPUTE_PGM_RSRC2:USER_SGPR: 6
; COMPUTE_PGM_RSRC2:TRAP_HANDLER: 0
; COMPUTE_PGM_RSRC2:TGID_X_EN: 1
; COMPUTE_PGM_RSRC2:TGID_Y_EN: 0
; COMPUTE_PGM_RSRC2:TGID_Z_EN: 0
; COMPUTE_PGM_RSRC2:TIDIG_COMP_CNT: 0
; COMPUTE_PGM_RSRC3_GFX90A:ACCUM_OFFSET: 10
; COMPUTE_PGM_RSRC3_GFX90A:TG_SPLIT: 0
	.section	.text._ZN7rocprim17ROCPRIM_400000_NS6detail17trampoline_kernelINS0_14default_configENS1_35adjacent_difference_config_selectorILb1EhEEZNS1_24adjacent_difference_implIS3_Lb1ELb0EPKhPhN6thrust23THRUST_200600_302600_NS4plusIhEEEE10hipError_tPvRmT2_T3_mT4_P12ihipStream_tbEUlT_E_NS1_11comp_targetILNS1_3genE3ELNS1_11target_archE908ELNS1_3gpuE7ELNS1_3repE0EEENS1_30default_config_static_selectorELNS0_4arch9wavefront6targetE1EEEvT1_,"axG",@progbits,_ZN7rocprim17ROCPRIM_400000_NS6detail17trampoline_kernelINS0_14default_configENS1_35adjacent_difference_config_selectorILb1EhEEZNS1_24adjacent_difference_implIS3_Lb1ELb0EPKhPhN6thrust23THRUST_200600_302600_NS4plusIhEEEE10hipError_tPvRmT2_T3_mT4_P12ihipStream_tbEUlT_E_NS1_11comp_targetILNS1_3genE3ELNS1_11target_archE908ELNS1_3gpuE7ELNS1_3repE0EEENS1_30default_config_static_selectorELNS0_4arch9wavefront6targetE1EEEvT1_,comdat
	.protected	_ZN7rocprim17ROCPRIM_400000_NS6detail17trampoline_kernelINS0_14default_configENS1_35adjacent_difference_config_selectorILb1EhEEZNS1_24adjacent_difference_implIS3_Lb1ELb0EPKhPhN6thrust23THRUST_200600_302600_NS4plusIhEEEE10hipError_tPvRmT2_T3_mT4_P12ihipStream_tbEUlT_E_NS1_11comp_targetILNS1_3genE3ELNS1_11target_archE908ELNS1_3gpuE7ELNS1_3repE0EEENS1_30default_config_static_selectorELNS0_4arch9wavefront6targetE1EEEvT1_ ; -- Begin function _ZN7rocprim17ROCPRIM_400000_NS6detail17trampoline_kernelINS0_14default_configENS1_35adjacent_difference_config_selectorILb1EhEEZNS1_24adjacent_difference_implIS3_Lb1ELb0EPKhPhN6thrust23THRUST_200600_302600_NS4plusIhEEEE10hipError_tPvRmT2_T3_mT4_P12ihipStream_tbEUlT_E_NS1_11comp_targetILNS1_3genE3ELNS1_11target_archE908ELNS1_3gpuE7ELNS1_3repE0EEENS1_30default_config_static_selectorELNS0_4arch9wavefront6targetE1EEEvT1_
	.globl	_ZN7rocprim17ROCPRIM_400000_NS6detail17trampoline_kernelINS0_14default_configENS1_35adjacent_difference_config_selectorILb1EhEEZNS1_24adjacent_difference_implIS3_Lb1ELb0EPKhPhN6thrust23THRUST_200600_302600_NS4plusIhEEEE10hipError_tPvRmT2_T3_mT4_P12ihipStream_tbEUlT_E_NS1_11comp_targetILNS1_3genE3ELNS1_11target_archE908ELNS1_3gpuE7ELNS1_3repE0EEENS1_30default_config_static_selectorELNS0_4arch9wavefront6targetE1EEEvT1_
	.p2align	8
	.type	_ZN7rocprim17ROCPRIM_400000_NS6detail17trampoline_kernelINS0_14default_configENS1_35adjacent_difference_config_selectorILb1EhEEZNS1_24adjacent_difference_implIS3_Lb1ELb0EPKhPhN6thrust23THRUST_200600_302600_NS4plusIhEEEE10hipError_tPvRmT2_T3_mT4_P12ihipStream_tbEUlT_E_NS1_11comp_targetILNS1_3genE3ELNS1_11target_archE908ELNS1_3gpuE7ELNS1_3repE0EEENS1_30default_config_static_selectorELNS0_4arch9wavefront6targetE1EEEvT1_,@function
_ZN7rocprim17ROCPRIM_400000_NS6detail17trampoline_kernelINS0_14default_configENS1_35adjacent_difference_config_selectorILb1EhEEZNS1_24adjacent_difference_implIS3_Lb1ELb0EPKhPhN6thrust23THRUST_200600_302600_NS4plusIhEEEE10hipError_tPvRmT2_T3_mT4_P12ihipStream_tbEUlT_E_NS1_11comp_targetILNS1_3genE3ELNS1_11target_archE908ELNS1_3gpuE7ELNS1_3repE0EEENS1_30default_config_static_selectorELNS0_4arch9wavefront6targetE1EEEvT1_: ; @_ZN7rocprim17ROCPRIM_400000_NS6detail17trampoline_kernelINS0_14default_configENS1_35adjacent_difference_config_selectorILb1EhEEZNS1_24adjacent_difference_implIS3_Lb1ELb0EPKhPhN6thrust23THRUST_200600_302600_NS4plusIhEEEE10hipError_tPvRmT2_T3_mT4_P12ihipStream_tbEUlT_E_NS1_11comp_targetILNS1_3genE3ELNS1_11target_archE908ELNS1_3gpuE7ELNS1_3repE0EEENS1_30default_config_static_selectorELNS0_4arch9wavefront6targetE1EEEvT1_
; %bb.0:
	.section	.rodata,"a",@progbits
	.p2align	6, 0x0
	.amdhsa_kernel _ZN7rocprim17ROCPRIM_400000_NS6detail17trampoline_kernelINS0_14default_configENS1_35adjacent_difference_config_selectorILb1EhEEZNS1_24adjacent_difference_implIS3_Lb1ELb0EPKhPhN6thrust23THRUST_200600_302600_NS4plusIhEEEE10hipError_tPvRmT2_T3_mT4_P12ihipStream_tbEUlT_E_NS1_11comp_targetILNS1_3genE3ELNS1_11target_archE908ELNS1_3gpuE7ELNS1_3repE0EEENS1_30default_config_static_selectorELNS0_4arch9wavefront6targetE1EEEvT1_
		.amdhsa_group_segment_fixed_size 0
		.amdhsa_private_segment_fixed_size 0
		.amdhsa_kernarg_size 56
		.amdhsa_user_sgpr_count 6
		.amdhsa_user_sgpr_private_segment_buffer 1
		.amdhsa_user_sgpr_dispatch_ptr 0
		.amdhsa_user_sgpr_queue_ptr 0
		.amdhsa_user_sgpr_kernarg_segment_ptr 1
		.amdhsa_user_sgpr_dispatch_id 0
		.amdhsa_user_sgpr_flat_scratch_init 0
		.amdhsa_user_sgpr_kernarg_preload_length 0
		.amdhsa_user_sgpr_kernarg_preload_offset 0
		.amdhsa_user_sgpr_private_segment_size 0
		.amdhsa_uses_dynamic_stack 0
		.amdhsa_system_sgpr_private_segment_wavefront_offset 0
		.amdhsa_system_sgpr_workgroup_id_x 1
		.amdhsa_system_sgpr_workgroup_id_y 0
		.amdhsa_system_sgpr_workgroup_id_z 0
		.amdhsa_system_sgpr_workgroup_info 0
		.amdhsa_system_vgpr_workitem_id 0
		.amdhsa_next_free_vgpr 1
		.amdhsa_next_free_sgpr 0
		.amdhsa_accum_offset 4
		.amdhsa_reserve_vcc 0
		.amdhsa_reserve_flat_scratch 0
		.amdhsa_float_round_mode_32 0
		.amdhsa_float_round_mode_16_64 0
		.amdhsa_float_denorm_mode_32 3
		.amdhsa_float_denorm_mode_16_64 3
		.amdhsa_dx10_clamp 1
		.amdhsa_ieee_mode 1
		.amdhsa_fp16_overflow 0
		.amdhsa_tg_split 0
		.amdhsa_exception_fp_ieee_invalid_op 0
		.amdhsa_exception_fp_denorm_src 0
		.amdhsa_exception_fp_ieee_div_zero 0
		.amdhsa_exception_fp_ieee_overflow 0
		.amdhsa_exception_fp_ieee_underflow 0
		.amdhsa_exception_fp_ieee_inexact 0
		.amdhsa_exception_int_div_zero 0
	.end_amdhsa_kernel
	.section	.text._ZN7rocprim17ROCPRIM_400000_NS6detail17trampoline_kernelINS0_14default_configENS1_35adjacent_difference_config_selectorILb1EhEEZNS1_24adjacent_difference_implIS3_Lb1ELb0EPKhPhN6thrust23THRUST_200600_302600_NS4plusIhEEEE10hipError_tPvRmT2_T3_mT4_P12ihipStream_tbEUlT_E_NS1_11comp_targetILNS1_3genE3ELNS1_11target_archE908ELNS1_3gpuE7ELNS1_3repE0EEENS1_30default_config_static_selectorELNS0_4arch9wavefront6targetE1EEEvT1_,"axG",@progbits,_ZN7rocprim17ROCPRIM_400000_NS6detail17trampoline_kernelINS0_14default_configENS1_35adjacent_difference_config_selectorILb1EhEEZNS1_24adjacent_difference_implIS3_Lb1ELb0EPKhPhN6thrust23THRUST_200600_302600_NS4plusIhEEEE10hipError_tPvRmT2_T3_mT4_P12ihipStream_tbEUlT_E_NS1_11comp_targetILNS1_3genE3ELNS1_11target_archE908ELNS1_3gpuE7ELNS1_3repE0EEENS1_30default_config_static_selectorELNS0_4arch9wavefront6targetE1EEEvT1_,comdat
.Lfunc_end512:
	.size	_ZN7rocprim17ROCPRIM_400000_NS6detail17trampoline_kernelINS0_14default_configENS1_35adjacent_difference_config_selectorILb1EhEEZNS1_24adjacent_difference_implIS3_Lb1ELb0EPKhPhN6thrust23THRUST_200600_302600_NS4plusIhEEEE10hipError_tPvRmT2_T3_mT4_P12ihipStream_tbEUlT_E_NS1_11comp_targetILNS1_3genE3ELNS1_11target_archE908ELNS1_3gpuE7ELNS1_3repE0EEENS1_30default_config_static_selectorELNS0_4arch9wavefront6targetE1EEEvT1_, .Lfunc_end512-_ZN7rocprim17ROCPRIM_400000_NS6detail17trampoline_kernelINS0_14default_configENS1_35adjacent_difference_config_selectorILb1EhEEZNS1_24adjacent_difference_implIS3_Lb1ELb0EPKhPhN6thrust23THRUST_200600_302600_NS4plusIhEEEE10hipError_tPvRmT2_T3_mT4_P12ihipStream_tbEUlT_E_NS1_11comp_targetILNS1_3genE3ELNS1_11target_archE908ELNS1_3gpuE7ELNS1_3repE0EEENS1_30default_config_static_selectorELNS0_4arch9wavefront6targetE1EEEvT1_
                                        ; -- End function
	.section	.AMDGPU.csdata,"",@progbits
; Kernel info:
; codeLenInByte = 0
; NumSgprs: 4
; NumVgprs: 0
; NumAgprs: 0
; TotalNumVgprs: 0
; ScratchSize: 0
; MemoryBound: 0
; FloatMode: 240
; IeeeMode: 1
; LDSByteSize: 0 bytes/workgroup (compile time only)
; SGPRBlocks: 0
; VGPRBlocks: 0
; NumSGPRsForWavesPerEU: 4
; NumVGPRsForWavesPerEU: 1
; AccumOffset: 4
; Occupancy: 8
; WaveLimiterHint : 0
; COMPUTE_PGM_RSRC2:SCRATCH_EN: 0
; COMPUTE_PGM_RSRC2:USER_SGPR: 6
; COMPUTE_PGM_RSRC2:TRAP_HANDLER: 0
; COMPUTE_PGM_RSRC2:TGID_X_EN: 1
; COMPUTE_PGM_RSRC2:TGID_Y_EN: 0
; COMPUTE_PGM_RSRC2:TGID_Z_EN: 0
; COMPUTE_PGM_RSRC2:TIDIG_COMP_CNT: 0
; COMPUTE_PGM_RSRC3_GFX90A:ACCUM_OFFSET: 0
; COMPUTE_PGM_RSRC3_GFX90A:TG_SPLIT: 0
	.section	.text._ZN7rocprim17ROCPRIM_400000_NS6detail17trampoline_kernelINS0_14default_configENS1_35adjacent_difference_config_selectorILb1EhEEZNS1_24adjacent_difference_implIS3_Lb1ELb0EPKhPhN6thrust23THRUST_200600_302600_NS4plusIhEEEE10hipError_tPvRmT2_T3_mT4_P12ihipStream_tbEUlT_E_NS1_11comp_targetILNS1_3genE2ELNS1_11target_archE906ELNS1_3gpuE6ELNS1_3repE0EEENS1_30default_config_static_selectorELNS0_4arch9wavefront6targetE1EEEvT1_,"axG",@progbits,_ZN7rocprim17ROCPRIM_400000_NS6detail17trampoline_kernelINS0_14default_configENS1_35adjacent_difference_config_selectorILb1EhEEZNS1_24adjacent_difference_implIS3_Lb1ELb0EPKhPhN6thrust23THRUST_200600_302600_NS4plusIhEEEE10hipError_tPvRmT2_T3_mT4_P12ihipStream_tbEUlT_E_NS1_11comp_targetILNS1_3genE2ELNS1_11target_archE906ELNS1_3gpuE6ELNS1_3repE0EEENS1_30default_config_static_selectorELNS0_4arch9wavefront6targetE1EEEvT1_,comdat
	.protected	_ZN7rocprim17ROCPRIM_400000_NS6detail17trampoline_kernelINS0_14default_configENS1_35adjacent_difference_config_selectorILb1EhEEZNS1_24adjacent_difference_implIS3_Lb1ELb0EPKhPhN6thrust23THRUST_200600_302600_NS4plusIhEEEE10hipError_tPvRmT2_T3_mT4_P12ihipStream_tbEUlT_E_NS1_11comp_targetILNS1_3genE2ELNS1_11target_archE906ELNS1_3gpuE6ELNS1_3repE0EEENS1_30default_config_static_selectorELNS0_4arch9wavefront6targetE1EEEvT1_ ; -- Begin function _ZN7rocprim17ROCPRIM_400000_NS6detail17trampoline_kernelINS0_14default_configENS1_35adjacent_difference_config_selectorILb1EhEEZNS1_24adjacent_difference_implIS3_Lb1ELb0EPKhPhN6thrust23THRUST_200600_302600_NS4plusIhEEEE10hipError_tPvRmT2_T3_mT4_P12ihipStream_tbEUlT_E_NS1_11comp_targetILNS1_3genE2ELNS1_11target_archE906ELNS1_3gpuE6ELNS1_3repE0EEENS1_30default_config_static_selectorELNS0_4arch9wavefront6targetE1EEEvT1_
	.globl	_ZN7rocprim17ROCPRIM_400000_NS6detail17trampoline_kernelINS0_14default_configENS1_35adjacent_difference_config_selectorILb1EhEEZNS1_24adjacent_difference_implIS3_Lb1ELb0EPKhPhN6thrust23THRUST_200600_302600_NS4plusIhEEEE10hipError_tPvRmT2_T3_mT4_P12ihipStream_tbEUlT_E_NS1_11comp_targetILNS1_3genE2ELNS1_11target_archE906ELNS1_3gpuE6ELNS1_3repE0EEENS1_30default_config_static_selectorELNS0_4arch9wavefront6targetE1EEEvT1_
	.p2align	8
	.type	_ZN7rocprim17ROCPRIM_400000_NS6detail17trampoline_kernelINS0_14default_configENS1_35adjacent_difference_config_selectorILb1EhEEZNS1_24adjacent_difference_implIS3_Lb1ELb0EPKhPhN6thrust23THRUST_200600_302600_NS4plusIhEEEE10hipError_tPvRmT2_T3_mT4_P12ihipStream_tbEUlT_E_NS1_11comp_targetILNS1_3genE2ELNS1_11target_archE906ELNS1_3gpuE6ELNS1_3repE0EEENS1_30default_config_static_selectorELNS0_4arch9wavefront6targetE1EEEvT1_,@function
_ZN7rocprim17ROCPRIM_400000_NS6detail17trampoline_kernelINS0_14default_configENS1_35adjacent_difference_config_selectorILb1EhEEZNS1_24adjacent_difference_implIS3_Lb1ELb0EPKhPhN6thrust23THRUST_200600_302600_NS4plusIhEEEE10hipError_tPvRmT2_T3_mT4_P12ihipStream_tbEUlT_E_NS1_11comp_targetILNS1_3genE2ELNS1_11target_archE906ELNS1_3gpuE6ELNS1_3repE0EEENS1_30default_config_static_selectorELNS0_4arch9wavefront6targetE1EEEvT1_: ; @_ZN7rocprim17ROCPRIM_400000_NS6detail17trampoline_kernelINS0_14default_configENS1_35adjacent_difference_config_selectorILb1EhEEZNS1_24adjacent_difference_implIS3_Lb1ELb0EPKhPhN6thrust23THRUST_200600_302600_NS4plusIhEEEE10hipError_tPvRmT2_T3_mT4_P12ihipStream_tbEUlT_E_NS1_11comp_targetILNS1_3genE2ELNS1_11target_archE906ELNS1_3gpuE6ELNS1_3repE0EEENS1_30default_config_static_selectorELNS0_4arch9wavefront6targetE1EEEvT1_
; %bb.0:
	.section	.rodata,"a",@progbits
	.p2align	6, 0x0
	.amdhsa_kernel _ZN7rocprim17ROCPRIM_400000_NS6detail17trampoline_kernelINS0_14default_configENS1_35adjacent_difference_config_selectorILb1EhEEZNS1_24adjacent_difference_implIS3_Lb1ELb0EPKhPhN6thrust23THRUST_200600_302600_NS4plusIhEEEE10hipError_tPvRmT2_T3_mT4_P12ihipStream_tbEUlT_E_NS1_11comp_targetILNS1_3genE2ELNS1_11target_archE906ELNS1_3gpuE6ELNS1_3repE0EEENS1_30default_config_static_selectorELNS0_4arch9wavefront6targetE1EEEvT1_
		.amdhsa_group_segment_fixed_size 0
		.amdhsa_private_segment_fixed_size 0
		.amdhsa_kernarg_size 56
		.amdhsa_user_sgpr_count 6
		.amdhsa_user_sgpr_private_segment_buffer 1
		.amdhsa_user_sgpr_dispatch_ptr 0
		.amdhsa_user_sgpr_queue_ptr 0
		.amdhsa_user_sgpr_kernarg_segment_ptr 1
		.amdhsa_user_sgpr_dispatch_id 0
		.amdhsa_user_sgpr_flat_scratch_init 0
		.amdhsa_user_sgpr_kernarg_preload_length 0
		.amdhsa_user_sgpr_kernarg_preload_offset 0
		.amdhsa_user_sgpr_private_segment_size 0
		.amdhsa_uses_dynamic_stack 0
		.amdhsa_system_sgpr_private_segment_wavefront_offset 0
		.amdhsa_system_sgpr_workgroup_id_x 1
		.amdhsa_system_sgpr_workgroup_id_y 0
		.amdhsa_system_sgpr_workgroup_id_z 0
		.amdhsa_system_sgpr_workgroup_info 0
		.amdhsa_system_vgpr_workitem_id 0
		.amdhsa_next_free_vgpr 1
		.amdhsa_next_free_sgpr 0
		.amdhsa_accum_offset 4
		.amdhsa_reserve_vcc 0
		.amdhsa_reserve_flat_scratch 0
		.amdhsa_float_round_mode_32 0
		.amdhsa_float_round_mode_16_64 0
		.amdhsa_float_denorm_mode_32 3
		.amdhsa_float_denorm_mode_16_64 3
		.amdhsa_dx10_clamp 1
		.amdhsa_ieee_mode 1
		.amdhsa_fp16_overflow 0
		.amdhsa_tg_split 0
		.amdhsa_exception_fp_ieee_invalid_op 0
		.amdhsa_exception_fp_denorm_src 0
		.amdhsa_exception_fp_ieee_div_zero 0
		.amdhsa_exception_fp_ieee_overflow 0
		.amdhsa_exception_fp_ieee_underflow 0
		.amdhsa_exception_fp_ieee_inexact 0
		.amdhsa_exception_int_div_zero 0
	.end_amdhsa_kernel
	.section	.text._ZN7rocprim17ROCPRIM_400000_NS6detail17trampoline_kernelINS0_14default_configENS1_35adjacent_difference_config_selectorILb1EhEEZNS1_24adjacent_difference_implIS3_Lb1ELb0EPKhPhN6thrust23THRUST_200600_302600_NS4plusIhEEEE10hipError_tPvRmT2_T3_mT4_P12ihipStream_tbEUlT_E_NS1_11comp_targetILNS1_3genE2ELNS1_11target_archE906ELNS1_3gpuE6ELNS1_3repE0EEENS1_30default_config_static_selectorELNS0_4arch9wavefront6targetE1EEEvT1_,"axG",@progbits,_ZN7rocprim17ROCPRIM_400000_NS6detail17trampoline_kernelINS0_14default_configENS1_35adjacent_difference_config_selectorILb1EhEEZNS1_24adjacent_difference_implIS3_Lb1ELb0EPKhPhN6thrust23THRUST_200600_302600_NS4plusIhEEEE10hipError_tPvRmT2_T3_mT4_P12ihipStream_tbEUlT_E_NS1_11comp_targetILNS1_3genE2ELNS1_11target_archE906ELNS1_3gpuE6ELNS1_3repE0EEENS1_30default_config_static_selectorELNS0_4arch9wavefront6targetE1EEEvT1_,comdat
.Lfunc_end513:
	.size	_ZN7rocprim17ROCPRIM_400000_NS6detail17trampoline_kernelINS0_14default_configENS1_35adjacent_difference_config_selectorILb1EhEEZNS1_24adjacent_difference_implIS3_Lb1ELb0EPKhPhN6thrust23THRUST_200600_302600_NS4plusIhEEEE10hipError_tPvRmT2_T3_mT4_P12ihipStream_tbEUlT_E_NS1_11comp_targetILNS1_3genE2ELNS1_11target_archE906ELNS1_3gpuE6ELNS1_3repE0EEENS1_30default_config_static_selectorELNS0_4arch9wavefront6targetE1EEEvT1_, .Lfunc_end513-_ZN7rocprim17ROCPRIM_400000_NS6detail17trampoline_kernelINS0_14default_configENS1_35adjacent_difference_config_selectorILb1EhEEZNS1_24adjacent_difference_implIS3_Lb1ELb0EPKhPhN6thrust23THRUST_200600_302600_NS4plusIhEEEE10hipError_tPvRmT2_T3_mT4_P12ihipStream_tbEUlT_E_NS1_11comp_targetILNS1_3genE2ELNS1_11target_archE906ELNS1_3gpuE6ELNS1_3repE0EEENS1_30default_config_static_selectorELNS0_4arch9wavefront6targetE1EEEvT1_
                                        ; -- End function
	.section	.AMDGPU.csdata,"",@progbits
; Kernel info:
; codeLenInByte = 0
; NumSgprs: 4
; NumVgprs: 0
; NumAgprs: 0
; TotalNumVgprs: 0
; ScratchSize: 0
; MemoryBound: 0
; FloatMode: 240
; IeeeMode: 1
; LDSByteSize: 0 bytes/workgroup (compile time only)
; SGPRBlocks: 0
; VGPRBlocks: 0
; NumSGPRsForWavesPerEU: 4
; NumVGPRsForWavesPerEU: 1
; AccumOffset: 4
; Occupancy: 8
; WaveLimiterHint : 0
; COMPUTE_PGM_RSRC2:SCRATCH_EN: 0
; COMPUTE_PGM_RSRC2:USER_SGPR: 6
; COMPUTE_PGM_RSRC2:TRAP_HANDLER: 0
; COMPUTE_PGM_RSRC2:TGID_X_EN: 1
; COMPUTE_PGM_RSRC2:TGID_Y_EN: 0
; COMPUTE_PGM_RSRC2:TGID_Z_EN: 0
; COMPUTE_PGM_RSRC2:TIDIG_COMP_CNT: 0
; COMPUTE_PGM_RSRC3_GFX90A:ACCUM_OFFSET: 0
; COMPUTE_PGM_RSRC3_GFX90A:TG_SPLIT: 0
	.section	.text._ZN7rocprim17ROCPRIM_400000_NS6detail17trampoline_kernelINS0_14default_configENS1_35adjacent_difference_config_selectorILb1EhEEZNS1_24adjacent_difference_implIS3_Lb1ELb0EPKhPhN6thrust23THRUST_200600_302600_NS4plusIhEEEE10hipError_tPvRmT2_T3_mT4_P12ihipStream_tbEUlT_E_NS1_11comp_targetILNS1_3genE9ELNS1_11target_archE1100ELNS1_3gpuE3ELNS1_3repE0EEENS1_30default_config_static_selectorELNS0_4arch9wavefront6targetE1EEEvT1_,"axG",@progbits,_ZN7rocprim17ROCPRIM_400000_NS6detail17trampoline_kernelINS0_14default_configENS1_35adjacent_difference_config_selectorILb1EhEEZNS1_24adjacent_difference_implIS3_Lb1ELb0EPKhPhN6thrust23THRUST_200600_302600_NS4plusIhEEEE10hipError_tPvRmT2_T3_mT4_P12ihipStream_tbEUlT_E_NS1_11comp_targetILNS1_3genE9ELNS1_11target_archE1100ELNS1_3gpuE3ELNS1_3repE0EEENS1_30default_config_static_selectorELNS0_4arch9wavefront6targetE1EEEvT1_,comdat
	.protected	_ZN7rocprim17ROCPRIM_400000_NS6detail17trampoline_kernelINS0_14default_configENS1_35adjacent_difference_config_selectorILb1EhEEZNS1_24adjacent_difference_implIS3_Lb1ELb0EPKhPhN6thrust23THRUST_200600_302600_NS4plusIhEEEE10hipError_tPvRmT2_T3_mT4_P12ihipStream_tbEUlT_E_NS1_11comp_targetILNS1_3genE9ELNS1_11target_archE1100ELNS1_3gpuE3ELNS1_3repE0EEENS1_30default_config_static_selectorELNS0_4arch9wavefront6targetE1EEEvT1_ ; -- Begin function _ZN7rocprim17ROCPRIM_400000_NS6detail17trampoline_kernelINS0_14default_configENS1_35adjacent_difference_config_selectorILb1EhEEZNS1_24adjacent_difference_implIS3_Lb1ELb0EPKhPhN6thrust23THRUST_200600_302600_NS4plusIhEEEE10hipError_tPvRmT2_T3_mT4_P12ihipStream_tbEUlT_E_NS1_11comp_targetILNS1_3genE9ELNS1_11target_archE1100ELNS1_3gpuE3ELNS1_3repE0EEENS1_30default_config_static_selectorELNS0_4arch9wavefront6targetE1EEEvT1_
	.globl	_ZN7rocprim17ROCPRIM_400000_NS6detail17trampoline_kernelINS0_14default_configENS1_35adjacent_difference_config_selectorILb1EhEEZNS1_24adjacent_difference_implIS3_Lb1ELb0EPKhPhN6thrust23THRUST_200600_302600_NS4plusIhEEEE10hipError_tPvRmT2_T3_mT4_P12ihipStream_tbEUlT_E_NS1_11comp_targetILNS1_3genE9ELNS1_11target_archE1100ELNS1_3gpuE3ELNS1_3repE0EEENS1_30default_config_static_selectorELNS0_4arch9wavefront6targetE1EEEvT1_
	.p2align	8
	.type	_ZN7rocprim17ROCPRIM_400000_NS6detail17trampoline_kernelINS0_14default_configENS1_35adjacent_difference_config_selectorILb1EhEEZNS1_24adjacent_difference_implIS3_Lb1ELb0EPKhPhN6thrust23THRUST_200600_302600_NS4plusIhEEEE10hipError_tPvRmT2_T3_mT4_P12ihipStream_tbEUlT_E_NS1_11comp_targetILNS1_3genE9ELNS1_11target_archE1100ELNS1_3gpuE3ELNS1_3repE0EEENS1_30default_config_static_selectorELNS0_4arch9wavefront6targetE1EEEvT1_,@function
_ZN7rocprim17ROCPRIM_400000_NS6detail17trampoline_kernelINS0_14default_configENS1_35adjacent_difference_config_selectorILb1EhEEZNS1_24adjacent_difference_implIS3_Lb1ELb0EPKhPhN6thrust23THRUST_200600_302600_NS4plusIhEEEE10hipError_tPvRmT2_T3_mT4_P12ihipStream_tbEUlT_E_NS1_11comp_targetILNS1_3genE9ELNS1_11target_archE1100ELNS1_3gpuE3ELNS1_3repE0EEENS1_30default_config_static_selectorELNS0_4arch9wavefront6targetE1EEEvT1_: ; @_ZN7rocprim17ROCPRIM_400000_NS6detail17trampoline_kernelINS0_14default_configENS1_35adjacent_difference_config_selectorILb1EhEEZNS1_24adjacent_difference_implIS3_Lb1ELb0EPKhPhN6thrust23THRUST_200600_302600_NS4plusIhEEEE10hipError_tPvRmT2_T3_mT4_P12ihipStream_tbEUlT_E_NS1_11comp_targetILNS1_3genE9ELNS1_11target_archE1100ELNS1_3gpuE3ELNS1_3repE0EEENS1_30default_config_static_selectorELNS0_4arch9wavefront6targetE1EEEvT1_
; %bb.0:
	.section	.rodata,"a",@progbits
	.p2align	6, 0x0
	.amdhsa_kernel _ZN7rocprim17ROCPRIM_400000_NS6detail17trampoline_kernelINS0_14default_configENS1_35adjacent_difference_config_selectorILb1EhEEZNS1_24adjacent_difference_implIS3_Lb1ELb0EPKhPhN6thrust23THRUST_200600_302600_NS4plusIhEEEE10hipError_tPvRmT2_T3_mT4_P12ihipStream_tbEUlT_E_NS1_11comp_targetILNS1_3genE9ELNS1_11target_archE1100ELNS1_3gpuE3ELNS1_3repE0EEENS1_30default_config_static_selectorELNS0_4arch9wavefront6targetE1EEEvT1_
		.amdhsa_group_segment_fixed_size 0
		.amdhsa_private_segment_fixed_size 0
		.amdhsa_kernarg_size 56
		.amdhsa_user_sgpr_count 6
		.amdhsa_user_sgpr_private_segment_buffer 1
		.amdhsa_user_sgpr_dispatch_ptr 0
		.amdhsa_user_sgpr_queue_ptr 0
		.amdhsa_user_sgpr_kernarg_segment_ptr 1
		.amdhsa_user_sgpr_dispatch_id 0
		.amdhsa_user_sgpr_flat_scratch_init 0
		.amdhsa_user_sgpr_kernarg_preload_length 0
		.amdhsa_user_sgpr_kernarg_preload_offset 0
		.amdhsa_user_sgpr_private_segment_size 0
		.amdhsa_uses_dynamic_stack 0
		.amdhsa_system_sgpr_private_segment_wavefront_offset 0
		.amdhsa_system_sgpr_workgroup_id_x 1
		.amdhsa_system_sgpr_workgroup_id_y 0
		.amdhsa_system_sgpr_workgroup_id_z 0
		.amdhsa_system_sgpr_workgroup_info 0
		.amdhsa_system_vgpr_workitem_id 0
		.amdhsa_next_free_vgpr 1
		.amdhsa_next_free_sgpr 0
		.amdhsa_accum_offset 4
		.amdhsa_reserve_vcc 0
		.amdhsa_reserve_flat_scratch 0
		.amdhsa_float_round_mode_32 0
		.amdhsa_float_round_mode_16_64 0
		.amdhsa_float_denorm_mode_32 3
		.amdhsa_float_denorm_mode_16_64 3
		.amdhsa_dx10_clamp 1
		.amdhsa_ieee_mode 1
		.amdhsa_fp16_overflow 0
		.amdhsa_tg_split 0
		.amdhsa_exception_fp_ieee_invalid_op 0
		.amdhsa_exception_fp_denorm_src 0
		.amdhsa_exception_fp_ieee_div_zero 0
		.amdhsa_exception_fp_ieee_overflow 0
		.amdhsa_exception_fp_ieee_underflow 0
		.amdhsa_exception_fp_ieee_inexact 0
		.amdhsa_exception_int_div_zero 0
	.end_amdhsa_kernel
	.section	.text._ZN7rocprim17ROCPRIM_400000_NS6detail17trampoline_kernelINS0_14default_configENS1_35adjacent_difference_config_selectorILb1EhEEZNS1_24adjacent_difference_implIS3_Lb1ELb0EPKhPhN6thrust23THRUST_200600_302600_NS4plusIhEEEE10hipError_tPvRmT2_T3_mT4_P12ihipStream_tbEUlT_E_NS1_11comp_targetILNS1_3genE9ELNS1_11target_archE1100ELNS1_3gpuE3ELNS1_3repE0EEENS1_30default_config_static_selectorELNS0_4arch9wavefront6targetE1EEEvT1_,"axG",@progbits,_ZN7rocprim17ROCPRIM_400000_NS6detail17trampoline_kernelINS0_14default_configENS1_35adjacent_difference_config_selectorILb1EhEEZNS1_24adjacent_difference_implIS3_Lb1ELb0EPKhPhN6thrust23THRUST_200600_302600_NS4plusIhEEEE10hipError_tPvRmT2_T3_mT4_P12ihipStream_tbEUlT_E_NS1_11comp_targetILNS1_3genE9ELNS1_11target_archE1100ELNS1_3gpuE3ELNS1_3repE0EEENS1_30default_config_static_selectorELNS0_4arch9wavefront6targetE1EEEvT1_,comdat
.Lfunc_end514:
	.size	_ZN7rocprim17ROCPRIM_400000_NS6detail17trampoline_kernelINS0_14default_configENS1_35adjacent_difference_config_selectorILb1EhEEZNS1_24adjacent_difference_implIS3_Lb1ELb0EPKhPhN6thrust23THRUST_200600_302600_NS4plusIhEEEE10hipError_tPvRmT2_T3_mT4_P12ihipStream_tbEUlT_E_NS1_11comp_targetILNS1_3genE9ELNS1_11target_archE1100ELNS1_3gpuE3ELNS1_3repE0EEENS1_30default_config_static_selectorELNS0_4arch9wavefront6targetE1EEEvT1_, .Lfunc_end514-_ZN7rocprim17ROCPRIM_400000_NS6detail17trampoline_kernelINS0_14default_configENS1_35adjacent_difference_config_selectorILb1EhEEZNS1_24adjacent_difference_implIS3_Lb1ELb0EPKhPhN6thrust23THRUST_200600_302600_NS4plusIhEEEE10hipError_tPvRmT2_T3_mT4_P12ihipStream_tbEUlT_E_NS1_11comp_targetILNS1_3genE9ELNS1_11target_archE1100ELNS1_3gpuE3ELNS1_3repE0EEENS1_30default_config_static_selectorELNS0_4arch9wavefront6targetE1EEEvT1_
                                        ; -- End function
	.section	.AMDGPU.csdata,"",@progbits
; Kernel info:
; codeLenInByte = 0
; NumSgprs: 4
; NumVgprs: 0
; NumAgprs: 0
; TotalNumVgprs: 0
; ScratchSize: 0
; MemoryBound: 0
; FloatMode: 240
; IeeeMode: 1
; LDSByteSize: 0 bytes/workgroup (compile time only)
; SGPRBlocks: 0
; VGPRBlocks: 0
; NumSGPRsForWavesPerEU: 4
; NumVGPRsForWavesPerEU: 1
; AccumOffset: 4
; Occupancy: 8
; WaveLimiterHint : 0
; COMPUTE_PGM_RSRC2:SCRATCH_EN: 0
; COMPUTE_PGM_RSRC2:USER_SGPR: 6
; COMPUTE_PGM_RSRC2:TRAP_HANDLER: 0
; COMPUTE_PGM_RSRC2:TGID_X_EN: 1
; COMPUTE_PGM_RSRC2:TGID_Y_EN: 0
; COMPUTE_PGM_RSRC2:TGID_Z_EN: 0
; COMPUTE_PGM_RSRC2:TIDIG_COMP_CNT: 0
; COMPUTE_PGM_RSRC3_GFX90A:ACCUM_OFFSET: 0
; COMPUTE_PGM_RSRC3_GFX90A:TG_SPLIT: 0
	.section	.text._ZN7rocprim17ROCPRIM_400000_NS6detail17trampoline_kernelINS0_14default_configENS1_35adjacent_difference_config_selectorILb1EhEEZNS1_24adjacent_difference_implIS3_Lb1ELb0EPKhPhN6thrust23THRUST_200600_302600_NS4plusIhEEEE10hipError_tPvRmT2_T3_mT4_P12ihipStream_tbEUlT_E_NS1_11comp_targetILNS1_3genE8ELNS1_11target_archE1030ELNS1_3gpuE2ELNS1_3repE0EEENS1_30default_config_static_selectorELNS0_4arch9wavefront6targetE1EEEvT1_,"axG",@progbits,_ZN7rocprim17ROCPRIM_400000_NS6detail17trampoline_kernelINS0_14default_configENS1_35adjacent_difference_config_selectorILb1EhEEZNS1_24adjacent_difference_implIS3_Lb1ELb0EPKhPhN6thrust23THRUST_200600_302600_NS4plusIhEEEE10hipError_tPvRmT2_T3_mT4_P12ihipStream_tbEUlT_E_NS1_11comp_targetILNS1_3genE8ELNS1_11target_archE1030ELNS1_3gpuE2ELNS1_3repE0EEENS1_30default_config_static_selectorELNS0_4arch9wavefront6targetE1EEEvT1_,comdat
	.protected	_ZN7rocprim17ROCPRIM_400000_NS6detail17trampoline_kernelINS0_14default_configENS1_35adjacent_difference_config_selectorILb1EhEEZNS1_24adjacent_difference_implIS3_Lb1ELb0EPKhPhN6thrust23THRUST_200600_302600_NS4plusIhEEEE10hipError_tPvRmT2_T3_mT4_P12ihipStream_tbEUlT_E_NS1_11comp_targetILNS1_3genE8ELNS1_11target_archE1030ELNS1_3gpuE2ELNS1_3repE0EEENS1_30default_config_static_selectorELNS0_4arch9wavefront6targetE1EEEvT1_ ; -- Begin function _ZN7rocprim17ROCPRIM_400000_NS6detail17trampoline_kernelINS0_14default_configENS1_35adjacent_difference_config_selectorILb1EhEEZNS1_24adjacent_difference_implIS3_Lb1ELb0EPKhPhN6thrust23THRUST_200600_302600_NS4plusIhEEEE10hipError_tPvRmT2_T3_mT4_P12ihipStream_tbEUlT_E_NS1_11comp_targetILNS1_3genE8ELNS1_11target_archE1030ELNS1_3gpuE2ELNS1_3repE0EEENS1_30default_config_static_selectorELNS0_4arch9wavefront6targetE1EEEvT1_
	.globl	_ZN7rocprim17ROCPRIM_400000_NS6detail17trampoline_kernelINS0_14default_configENS1_35adjacent_difference_config_selectorILb1EhEEZNS1_24adjacent_difference_implIS3_Lb1ELb0EPKhPhN6thrust23THRUST_200600_302600_NS4plusIhEEEE10hipError_tPvRmT2_T3_mT4_P12ihipStream_tbEUlT_E_NS1_11comp_targetILNS1_3genE8ELNS1_11target_archE1030ELNS1_3gpuE2ELNS1_3repE0EEENS1_30default_config_static_selectorELNS0_4arch9wavefront6targetE1EEEvT1_
	.p2align	8
	.type	_ZN7rocprim17ROCPRIM_400000_NS6detail17trampoline_kernelINS0_14default_configENS1_35adjacent_difference_config_selectorILb1EhEEZNS1_24adjacent_difference_implIS3_Lb1ELb0EPKhPhN6thrust23THRUST_200600_302600_NS4plusIhEEEE10hipError_tPvRmT2_T3_mT4_P12ihipStream_tbEUlT_E_NS1_11comp_targetILNS1_3genE8ELNS1_11target_archE1030ELNS1_3gpuE2ELNS1_3repE0EEENS1_30default_config_static_selectorELNS0_4arch9wavefront6targetE1EEEvT1_,@function
_ZN7rocprim17ROCPRIM_400000_NS6detail17trampoline_kernelINS0_14default_configENS1_35adjacent_difference_config_selectorILb1EhEEZNS1_24adjacent_difference_implIS3_Lb1ELb0EPKhPhN6thrust23THRUST_200600_302600_NS4plusIhEEEE10hipError_tPvRmT2_T3_mT4_P12ihipStream_tbEUlT_E_NS1_11comp_targetILNS1_3genE8ELNS1_11target_archE1030ELNS1_3gpuE2ELNS1_3repE0EEENS1_30default_config_static_selectorELNS0_4arch9wavefront6targetE1EEEvT1_: ; @_ZN7rocprim17ROCPRIM_400000_NS6detail17trampoline_kernelINS0_14default_configENS1_35adjacent_difference_config_selectorILb1EhEEZNS1_24adjacent_difference_implIS3_Lb1ELb0EPKhPhN6thrust23THRUST_200600_302600_NS4plusIhEEEE10hipError_tPvRmT2_T3_mT4_P12ihipStream_tbEUlT_E_NS1_11comp_targetILNS1_3genE8ELNS1_11target_archE1030ELNS1_3gpuE2ELNS1_3repE0EEENS1_30default_config_static_selectorELNS0_4arch9wavefront6targetE1EEEvT1_
; %bb.0:
	.section	.rodata,"a",@progbits
	.p2align	6, 0x0
	.amdhsa_kernel _ZN7rocprim17ROCPRIM_400000_NS6detail17trampoline_kernelINS0_14default_configENS1_35adjacent_difference_config_selectorILb1EhEEZNS1_24adjacent_difference_implIS3_Lb1ELb0EPKhPhN6thrust23THRUST_200600_302600_NS4plusIhEEEE10hipError_tPvRmT2_T3_mT4_P12ihipStream_tbEUlT_E_NS1_11comp_targetILNS1_3genE8ELNS1_11target_archE1030ELNS1_3gpuE2ELNS1_3repE0EEENS1_30default_config_static_selectorELNS0_4arch9wavefront6targetE1EEEvT1_
		.amdhsa_group_segment_fixed_size 0
		.amdhsa_private_segment_fixed_size 0
		.amdhsa_kernarg_size 56
		.amdhsa_user_sgpr_count 6
		.amdhsa_user_sgpr_private_segment_buffer 1
		.amdhsa_user_sgpr_dispatch_ptr 0
		.amdhsa_user_sgpr_queue_ptr 0
		.amdhsa_user_sgpr_kernarg_segment_ptr 1
		.amdhsa_user_sgpr_dispatch_id 0
		.amdhsa_user_sgpr_flat_scratch_init 0
		.amdhsa_user_sgpr_kernarg_preload_length 0
		.amdhsa_user_sgpr_kernarg_preload_offset 0
		.amdhsa_user_sgpr_private_segment_size 0
		.amdhsa_uses_dynamic_stack 0
		.amdhsa_system_sgpr_private_segment_wavefront_offset 0
		.amdhsa_system_sgpr_workgroup_id_x 1
		.amdhsa_system_sgpr_workgroup_id_y 0
		.amdhsa_system_sgpr_workgroup_id_z 0
		.amdhsa_system_sgpr_workgroup_info 0
		.amdhsa_system_vgpr_workitem_id 0
		.amdhsa_next_free_vgpr 1
		.amdhsa_next_free_sgpr 0
		.amdhsa_accum_offset 4
		.amdhsa_reserve_vcc 0
		.amdhsa_reserve_flat_scratch 0
		.amdhsa_float_round_mode_32 0
		.amdhsa_float_round_mode_16_64 0
		.amdhsa_float_denorm_mode_32 3
		.amdhsa_float_denorm_mode_16_64 3
		.amdhsa_dx10_clamp 1
		.amdhsa_ieee_mode 1
		.amdhsa_fp16_overflow 0
		.amdhsa_tg_split 0
		.amdhsa_exception_fp_ieee_invalid_op 0
		.amdhsa_exception_fp_denorm_src 0
		.amdhsa_exception_fp_ieee_div_zero 0
		.amdhsa_exception_fp_ieee_overflow 0
		.amdhsa_exception_fp_ieee_underflow 0
		.amdhsa_exception_fp_ieee_inexact 0
		.amdhsa_exception_int_div_zero 0
	.end_amdhsa_kernel
	.section	.text._ZN7rocprim17ROCPRIM_400000_NS6detail17trampoline_kernelINS0_14default_configENS1_35adjacent_difference_config_selectorILb1EhEEZNS1_24adjacent_difference_implIS3_Lb1ELb0EPKhPhN6thrust23THRUST_200600_302600_NS4plusIhEEEE10hipError_tPvRmT2_T3_mT4_P12ihipStream_tbEUlT_E_NS1_11comp_targetILNS1_3genE8ELNS1_11target_archE1030ELNS1_3gpuE2ELNS1_3repE0EEENS1_30default_config_static_selectorELNS0_4arch9wavefront6targetE1EEEvT1_,"axG",@progbits,_ZN7rocprim17ROCPRIM_400000_NS6detail17trampoline_kernelINS0_14default_configENS1_35adjacent_difference_config_selectorILb1EhEEZNS1_24adjacent_difference_implIS3_Lb1ELb0EPKhPhN6thrust23THRUST_200600_302600_NS4plusIhEEEE10hipError_tPvRmT2_T3_mT4_P12ihipStream_tbEUlT_E_NS1_11comp_targetILNS1_3genE8ELNS1_11target_archE1030ELNS1_3gpuE2ELNS1_3repE0EEENS1_30default_config_static_selectorELNS0_4arch9wavefront6targetE1EEEvT1_,comdat
.Lfunc_end515:
	.size	_ZN7rocprim17ROCPRIM_400000_NS6detail17trampoline_kernelINS0_14default_configENS1_35adjacent_difference_config_selectorILb1EhEEZNS1_24adjacent_difference_implIS3_Lb1ELb0EPKhPhN6thrust23THRUST_200600_302600_NS4plusIhEEEE10hipError_tPvRmT2_T3_mT4_P12ihipStream_tbEUlT_E_NS1_11comp_targetILNS1_3genE8ELNS1_11target_archE1030ELNS1_3gpuE2ELNS1_3repE0EEENS1_30default_config_static_selectorELNS0_4arch9wavefront6targetE1EEEvT1_, .Lfunc_end515-_ZN7rocprim17ROCPRIM_400000_NS6detail17trampoline_kernelINS0_14default_configENS1_35adjacent_difference_config_selectorILb1EhEEZNS1_24adjacent_difference_implIS3_Lb1ELb0EPKhPhN6thrust23THRUST_200600_302600_NS4plusIhEEEE10hipError_tPvRmT2_T3_mT4_P12ihipStream_tbEUlT_E_NS1_11comp_targetILNS1_3genE8ELNS1_11target_archE1030ELNS1_3gpuE2ELNS1_3repE0EEENS1_30default_config_static_selectorELNS0_4arch9wavefront6targetE1EEEvT1_
                                        ; -- End function
	.section	.AMDGPU.csdata,"",@progbits
; Kernel info:
; codeLenInByte = 0
; NumSgprs: 4
; NumVgprs: 0
; NumAgprs: 0
; TotalNumVgprs: 0
; ScratchSize: 0
; MemoryBound: 0
; FloatMode: 240
; IeeeMode: 1
; LDSByteSize: 0 bytes/workgroup (compile time only)
; SGPRBlocks: 0
; VGPRBlocks: 0
; NumSGPRsForWavesPerEU: 4
; NumVGPRsForWavesPerEU: 1
; AccumOffset: 4
; Occupancy: 8
; WaveLimiterHint : 0
; COMPUTE_PGM_RSRC2:SCRATCH_EN: 0
; COMPUTE_PGM_RSRC2:USER_SGPR: 6
; COMPUTE_PGM_RSRC2:TRAP_HANDLER: 0
; COMPUTE_PGM_RSRC2:TGID_X_EN: 1
; COMPUTE_PGM_RSRC2:TGID_Y_EN: 0
; COMPUTE_PGM_RSRC2:TGID_Z_EN: 0
; COMPUTE_PGM_RSRC2:TIDIG_COMP_CNT: 0
; COMPUTE_PGM_RSRC3_GFX90A:ACCUM_OFFSET: 0
; COMPUTE_PGM_RSRC3_GFX90A:TG_SPLIT: 0
	.section	.text._ZN7rocprim17ROCPRIM_400000_NS6detail17trampoline_kernelINS0_14default_configENS1_35adjacent_difference_config_selectorILb0EsEEZNS1_24adjacent_difference_implIS3_Lb0ELb0EPKsPsN6thrust23THRUST_200600_302600_NS4plusIsEEEE10hipError_tPvRmT2_T3_mT4_P12ihipStream_tbEUlT_E_NS1_11comp_targetILNS1_3genE0ELNS1_11target_archE4294967295ELNS1_3gpuE0ELNS1_3repE0EEENS1_30default_config_static_selectorELNS0_4arch9wavefront6targetE1EEEvT1_,"axG",@progbits,_ZN7rocprim17ROCPRIM_400000_NS6detail17trampoline_kernelINS0_14default_configENS1_35adjacent_difference_config_selectorILb0EsEEZNS1_24adjacent_difference_implIS3_Lb0ELb0EPKsPsN6thrust23THRUST_200600_302600_NS4plusIsEEEE10hipError_tPvRmT2_T3_mT4_P12ihipStream_tbEUlT_E_NS1_11comp_targetILNS1_3genE0ELNS1_11target_archE4294967295ELNS1_3gpuE0ELNS1_3repE0EEENS1_30default_config_static_selectorELNS0_4arch9wavefront6targetE1EEEvT1_,comdat
	.protected	_ZN7rocprim17ROCPRIM_400000_NS6detail17trampoline_kernelINS0_14default_configENS1_35adjacent_difference_config_selectorILb0EsEEZNS1_24adjacent_difference_implIS3_Lb0ELb0EPKsPsN6thrust23THRUST_200600_302600_NS4plusIsEEEE10hipError_tPvRmT2_T3_mT4_P12ihipStream_tbEUlT_E_NS1_11comp_targetILNS1_3genE0ELNS1_11target_archE4294967295ELNS1_3gpuE0ELNS1_3repE0EEENS1_30default_config_static_selectorELNS0_4arch9wavefront6targetE1EEEvT1_ ; -- Begin function _ZN7rocprim17ROCPRIM_400000_NS6detail17trampoline_kernelINS0_14default_configENS1_35adjacent_difference_config_selectorILb0EsEEZNS1_24adjacent_difference_implIS3_Lb0ELb0EPKsPsN6thrust23THRUST_200600_302600_NS4plusIsEEEE10hipError_tPvRmT2_T3_mT4_P12ihipStream_tbEUlT_E_NS1_11comp_targetILNS1_3genE0ELNS1_11target_archE4294967295ELNS1_3gpuE0ELNS1_3repE0EEENS1_30default_config_static_selectorELNS0_4arch9wavefront6targetE1EEEvT1_
	.globl	_ZN7rocprim17ROCPRIM_400000_NS6detail17trampoline_kernelINS0_14default_configENS1_35adjacent_difference_config_selectorILb0EsEEZNS1_24adjacent_difference_implIS3_Lb0ELb0EPKsPsN6thrust23THRUST_200600_302600_NS4plusIsEEEE10hipError_tPvRmT2_T3_mT4_P12ihipStream_tbEUlT_E_NS1_11comp_targetILNS1_3genE0ELNS1_11target_archE4294967295ELNS1_3gpuE0ELNS1_3repE0EEENS1_30default_config_static_selectorELNS0_4arch9wavefront6targetE1EEEvT1_
	.p2align	8
	.type	_ZN7rocprim17ROCPRIM_400000_NS6detail17trampoline_kernelINS0_14default_configENS1_35adjacent_difference_config_selectorILb0EsEEZNS1_24adjacent_difference_implIS3_Lb0ELb0EPKsPsN6thrust23THRUST_200600_302600_NS4plusIsEEEE10hipError_tPvRmT2_T3_mT4_P12ihipStream_tbEUlT_E_NS1_11comp_targetILNS1_3genE0ELNS1_11target_archE4294967295ELNS1_3gpuE0ELNS1_3repE0EEENS1_30default_config_static_selectorELNS0_4arch9wavefront6targetE1EEEvT1_,@function
_ZN7rocprim17ROCPRIM_400000_NS6detail17trampoline_kernelINS0_14default_configENS1_35adjacent_difference_config_selectorILb0EsEEZNS1_24adjacent_difference_implIS3_Lb0ELb0EPKsPsN6thrust23THRUST_200600_302600_NS4plusIsEEEE10hipError_tPvRmT2_T3_mT4_P12ihipStream_tbEUlT_E_NS1_11comp_targetILNS1_3genE0ELNS1_11target_archE4294967295ELNS1_3gpuE0ELNS1_3repE0EEENS1_30default_config_static_selectorELNS0_4arch9wavefront6targetE1EEEvT1_: ; @_ZN7rocprim17ROCPRIM_400000_NS6detail17trampoline_kernelINS0_14default_configENS1_35adjacent_difference_config_selectorILb0EsEEZNS1_24adjacent_difference_implIS3_Lb0ELb0EPKsPsN6thrust23THRUST_200600_302600_NS4plusIsEEEE10hipError_tPvRmT2_T3_mT4_P12ihipStream_tbEUlT_E_NS1_11comp_targetILNS1_3genE0ELNS1_11target_archE4294967295ELNS1_3gpuE0ELNS1_3repE0EEENS1_30default_config_static_selectorELNS0_4arch9wavefront6targetE1EEEvT1_
; %bb.0:
	.section	.rodata,"a",@progbits
	.p2align	6, 0x0
	.amdhsa_kernel _ZN7rocprim17ROCPRIM_400000_NS6detail17trampoline_kernelINS0_14default_configENS1_35adjacent_difference_config_selectorILb0EsEEZNS1_24adjacent_difference_implIS3_Lb0ELb0EPKsPsN6thrust23THRUST_200600_302600_NS4plusIsEEEE10hipError_tPvRmT2_T3_mT4_P12ihipStream_tbEUlT_E_NS1_11comp_targetILNS1_3genE0ELNS1_11target_archE4294967295ELNS1_3gpuE0ELNS1_3repE0EEENS1_30default_config_static_selectorELNS0_4arch9wavefront6targetE1EEEvT1_
		.amdhsa_group_segment_fixed_size 0
		.amdhsa_private_segment_fixed_size 0
		.amdhsa_kernarg_size 56
		.amdhsa_user_sgpr_count 6
		.amdhsa_user_sgpr_private_segment_buffer 1
		.amdhsa_user_sgpr_dispatch_ptr 0
		.amdhsa_user_sgpr_queue_ptr 0
		.amdhsa_user_sgpr_kernarg_segment_ptr 1
		.amdhsa_user_sgpr_dispatch_id 0
		.amdhsa_user_sgpr_flat_scratch_init 0
		.amdhsa_user_sgpr_kernarg_preload_length 0
		.amdhsa_user_sgpr_kernarg_preload_offset 0
		.amdhsa_user_sgpr_private_segment_size 0
		.amdhsa_uses_dynamic_stack 0
		.amdhsa_system_sgpr_private_segment_wavefront_offset 0
		.amdhsa_system_sgpr_workgroup_id_x 1
		.amdhsa_system_sgpr_workgroup_id_y 0
		.amdhsa_system_sgpr_workgroup_id_z 0
		.amdhsa_system_sgpr_workgroup_info 0
		.amdhsa_system_vgpr_workitem_id 0
		.amdhsa_next_free_vgpr 1
		.amdhsa_next_free_sgpr 0
		.amdhsa_accum_offset 4
		.amdhsa_reserve_vcc 0
		.amdhsa_reserve_flat_scratch 0
		.amdhsa_float_round_mode_32 0
		.amdhsa_float_round_mode_16_64 0
		.amdhsa_float_denorm_mode_32 3
		.amdhsa_float_denorm_mode_16_64 3
		.amdhsa_dx10_clamp 1
		.amdhsa_ieee_mode 1
		.amdhsa_fp16_overflow 0
		.amdhsa_tg_split 0
		.amdhsa_exception_fp_ieee_invalid_op 0
		.amdhsa_exception_fp_denorm_src 0
		.amdhsa_exception_fp_ieee_div_zero 0
		.amdhsa_exception_fp_ieee_overflow 0
		.amdhsa_exception_fp_ieee_underflow 0
		.amdhsa_exception_fp_ieee_inexact 0
		.amdhsa_exception_int_div_zero 0
	.end_amdhsa_kernel
	.section	.text._ZN7rocprim17ROCPRIM_400000_NS6detail17trampoline_kernelINS0_14default_configENS1_35adjacent_difference_config_selectorILb0EsEEZNS1_24adjacent_difference_implIS3_Lb0ELb0EPKsPsN6thrust23THRUST_200600_302600_NS4plusIsEEEE10hipError_tPvRmT2_T3_mT4_P12ihipStream_tbEUlT_E_NS1_11comp_targetILNS1_3genE0ELNS1_11target_archE4294967295ELNS1_3gpuE0ELNS1_3repE0EEENS1_30default_config_static_selectorELNS0_4arch9wavefront6targetE1EEEvT1_,"axG",@progbits,_ZN7rocprim17ROCPRIM_400000_NS6detail17trampoline_kernelINS0_14default_configENS1_35adjacent_difference_config_selectorILb0EsEEZNS1_24adjacent_difference_implIS3_Lb0ELb0EPKsPsN6thrust23THRUST_200600_302600_NS4plusIsEEEE10hipError_tPvRmT2_T3_mT4_P12ihipStream_tbEUlT_E_NS1_11comp_targetILNS1_3genE0ELNS1_11target_archE4294967295ELNS1_3gpuE0ELNS1_3repE0EEENS1_30default_config_static_selectorELNS0_4arch9wavefront6targetE1EEEvT1_,comdat
.Lfunc_end516:
	.size	_ZN7rocprim17ROCPRIM_400000_NS6detail17trampoline_kernelINS0_14default_configENS1_35adjacent_difference_config_selectorILb0EsEEZNS1_24adjacent_difference_implIS3_Lb0ELb0EPKsPsN6thrust23THRUST_200600_302600_NS4plusIsEEEE10hipError_tPvRmT2_T3_mT4_P12ihipStream_tbEUlT_E_NS1_11comp_targetILNS1_3genE0ELNS1_11target_archE4294967295ELNS1_3gpuE0ELNS1_3repE0EEENS1_30default_config_static_selectorELNS0_4arch9wavefront6targetE1EEEvT1_, .Lfunc_end516-_ZN7rocprim17ROCPRIM_400000_NS6detail17trampoline_kernelINS0_14default_configENS1_35adjacent_difference_config_selectorILb0EsEEZNS1_24adjacent_difference_implIS3_Lb0ELb0EPKsPsN6thrust23THRUST_200600_302600_NS4plusIsEEEE10hipError_tPvRmT2_T3_mT4_P12ihipStream_tbEUlT_E_NS1_11comp_targetILNS1_3genE0ELNS1_11target_archE4294967295ELNS1_3gpuE0ELNS1_3repE0EEENS1_30default_config_static_selectorELNS0_4arch9wavefront6targetE1EEEvT1_
                                        ; -- End function
	.section	.AMDGPU.csdata,"",@progbits
; Kernel info:
; codeLenInByte = 0
; NumSgprs: 4
; NumVgprs: 0
; NumAgprs: 0
; TotalNumVgprs: 0
; ScratchSize: 0
; MemoryBound: 0
; FloatMode: 240
; IeeeMode: 1
; LDSByteSize: 0 bytes/workgroup (compile time only)
; SGPRBlocks: 0
; VGPRBlocks: 0
; NumSGPRsForWavesPerEU: 4
; NumVGPRsForWavesPerEU: 1
; AccumOffset: 4
; Occupancy: 8
; WaveLimiterHint : 0
; COMPUTE_PGM_RSRC2:SCRATCH_EN: 0
; COMPUTE_PGM_RSRC2:USER_SGPR: 6
; COMPUTE_PGM_RSRC2:TRAP_HANDLER: 0
; COMPUTE_PGM_RSRC2:TGID_X_EN: 1
; COMPUTE_PGM_RSRC2:TGID_Y_EN: 0
; COMPUTE_PGM_RSRC2:TGID_Z_EN: 0
; COMPUTE_PGM_RSRC2:TIDIG_COMP_CNT: 0
; COMPUTE_PGM_RSRC3_GFX90A:ACCUM_OFFSET: 0
; COMPUTE_PGM_RSRC3_GFX90A:TG_SPLIT: 0
	.section	.text._ZN7rocprim17ROCPRIM_400000_NS6detail17trampoline_kernelINS0_14default_configENS1_35adjacent_difference_config_selectorILb0EsEEZNS1_24adjacent_difference_implIS3_Lb0ELb0EPKsPsN6thrust23THRUST_200600_302600_NS4plusIsEEEE10hipError_tPvRmT2_T3_mT4_P12ihipStream_tbEUlT_E_NS1_11comp_targetILNS1_3genE10ELNS1_11target_archE1201ELNS1_3gpuE5ELNS1_3repE0EEENS1_30default_config_static_selectorELNS0_4arch9wavefront6targetE1EEEvT1_,"axG",@progbits,_ZN7rocprim17ROCPRIM_400000_NS6detail17trampoline_kernelINS0_14default_configENS1_35adjacent_difference_config_selectorILb0EsEEZNS1_24adjacent_difference_implIS3_Lb0ELb0EPKsPsN6thrust23THRUST_200600_302600_NS4plusIsEEEE10hipError_tPvRmT2_T3_mT4_P12ihipStream_tbEUlT_E_NS1_11comp_targetILNS1_3genE10ELNS1_11target_archE1201ELNS1_3gpuE5ELNS1_3repE0EEENS1_30default_config_static_selectorELNS0_4arch9wavefront6targetE1EEEvT1_,comdat
	.protected	_ZN7rocprim17ROCPRIM_400000_NS6detail17trampoline_kernelINS0_14default_configENS1_35adjacent_difference_config_selectorILb0EsEEZNS1_24adjacent_difference_implIS3_Lb0ELb0EPKsPsN6thrust23THRUST_200600_302600_NS4plusIsEEEE10hipError_tPvRmT2_T3_mT4_P12ihipStream_tbEUlT_E_NS1_11comp_targetILNS1_3genE10ELNS1_11target_archE1201ELNS1_3gpuE5ELNS1_3repE0EEENS1_30default_config_static_selectorELNS0_4arch9wavefront6targetE1EEEvT1_ ; -- Begin function _ZN7rocprim17ROCPRIM_400000_NS6detail17trampoline_kernelINS0_14default_configENS1_35adjacent_difference_config_selectorILb0EsEEZNS1_24adjacent_difference_implIS3_Lb0ELb0EPKsPsN6thrust23THRUST_200600_302600_NS4plusIsEEEE10hipError_tPvRmT2_T3_mT4_P12ihipStream_tbEUlT_E_NS1_11comp_targetILNS1_3genE10ELNS1_11target_archE1201ELNS1_3gpuE5ELNS1_3repE0EEENS1_30default_config_static_selectorELNS0_4arch9wavefront6targetE1EEEvT1_
	.globl	_ZN7rocprim17ROCPRIM_400000_NS6detail17trampoline_kernelINS0_14default_configENS1_35adjacent_difference_config_selectorILb0EsEEZNS1_24adjacent_difference_implIS3_Lb0ELb0EPKsPsN6thrust23THRUST_200600_302600_NS4plusIsEEEE10hipError_tPvRmT2_T3_mT4_P12ihipStream_tbEUlT_E_NS1_11comp_targetILNS1_3genE10ELNS1_11target_archE1201ELNS1_3gpuE5ELNS1_3repE0EEENS1_30default_config_static_selectorELNS0_4arch9wavefront6targetE1EEEvT1_
	.p2align	8
	.type	_ZN7rocprim17ROCPRIM_400000_NS6detail17trampoline_kernelINS0_14default_configENS1_35adjacent_difference_config_selectorILb0EsEEZNS1_24adjacent_difference_implIS3_Lb0ELb0EPKsPsN6thrust23THRUST_200600_302600_NS4plusIsEEEE10hipError_tPvRmT2_T3_mT4_P12ihipStream_tbEUlT_E_NS1_11comp_targetILNS1_3genE10ELNS1_11target_archE1201ELNS1_3gpuE5ELNS1_3repE0EEENS1_30default_config_static_selectorELNS0_4arch9wavefront6targetE1EEEvT1_,@function
_ZN7rocprim17ROCPRIM_400000_NS6detail17trampoline_kernelINS0_14default_configENS1_35adjacent_difference_config_selectorILb0EsEEZNS1_24adjacent_difference_implIS3_Lb0ELb0EPKsPsN6thrust23THRUST_200600_302600_NS4plusIsEEEE10hipError_tPvRmT2_T3_mT4_P12ihipStream_tbEUlT_E_NS1_11comp_targetILNS1_3genE10ELNS1_11target_archE1201ELNS1_3gpuE5ELNS1_3repE0EEENS1_30default_config_static_selectorELNS0_4arch9wavefront6targetE1EEEvT1_: ; @_ZN7rocprim17ROCPRIM_400000_NS6detail17trampoline_kernelINS0_14default_configENS1_35adjacent_difference_config_selectorILb0EsEEZNS1_24adjacent_difference_implIS3_Lb0ELb0EPKsPsN6thrust23THRUST_200600_302600_NS4plusIsEEEE10hipError_tPvRmT2_T3_mT4_P12ihipStream_tbEUlT_E_NS1_11comp_targetILNS1_3genE10ELNS1_11target_archE1201ELNS1_3gpuE5ELNS1_3repE0EEENS1_30default_config_static_selectorELNS0_4arch9wavefront6targetE1EEEvT1_
; %bb.0:
	.section	.rodata,"a",@progbits
	.p2align	6, 0x0
	.amdhsa_kernel _ZN7rocprim17ROCPRIM_400000_NS6detail17trampoline_kernelINS0_14default_configENS1_35adjacent_difference_config_selectorILb0EsEEZNS1_24adjacent_difference_implIS3_Lb0ELb0EPKsPsN6thrust23THRUST_200600_302600_NS4plusIsEEEE10hipError_tPvRmT2_T3_mT4_P12ihipStream_tbEUlT_E_NS1_11comp_targetILNS1_3genE10ELNS1_11target_archE1201ELNS1_3gpuE5ELNS1_3repE0EEENS1_30default_config_static_selectorELNS0_4arch9wavefront6targetE1EEEvT1_
		.amdhsa_group_segment_fixed_size 0
		.amdhsa_private_segment_fixed_size 0
		.amdhsa_kernarg_size 56
		.amdhsa_user_sgpr_count 6
		.amdhsa_user_sgpr_private_segment_buffer 1
		.amdhsa_user_sgpr_dispatch_ptr 0
		.amdhsa_user_sgpr_queue_ptr 0
		.amdhsa_user_sgpr_kernarg_segment_ptr 1
		.amdhsa_user_sgpr_dispatch_id 0
		.amdhsa_user_sgpr_flat_scratch_init 0
		.amdhsa_user_sgpr_kernarg_preload_length 0
		.amdhsa_user_sgpr_kernarg_preload_offset 0
		.amdhsa_user_sgpr_private_segment_size 0
		.amdhsa_uses_dynamic_stack 0
		.amdhsa_system_sgpr_private_segment_wavefront_offset 0
		.amdhsa_system_sgpr_workgroup_id_x 1
		.amdhsa_system_sgpr_workgroup_id_y 0
		.amdhsa_system_sgpr_workgroup_id_z 0
		.amdhsa_system_sgpr_workgroup_info 0
		.amdhsa_system_vgpr_workitem_id 0
		.amdhsa_next_free_vgpr 1
		.amdhsa_next_free_sgpr 0
		.amdhsa_accum_offset 4
		.amdhsa_reserve_vcc 0
		.amdhsa_reserve_flat_scratch 0
		.amdhsa_float_round_mode_32 0
		.amdhsa_float_round_mode_16_64 0
		.amdhsa_float_denorm_mode_32 3
		.amdhsa_float_denorm_mode_16_64 3
		.amdhsa_dx10_clamp 1
		.amdhsa_ieee_mode 1
		.amdhsa_fp16_overflow 0
		.amdhsa_tg_split 0
		.amdhsa_exception_fp_ieee_invalid_op 0
		.amdhsa_exception_fp_denorm_src 0
		.amdhsa_exception_fp_ieee_div_zero 0
		.amdhsa_exception_fp_ieee_overflow 0
		.amdhsa_exception_fp_ieee_underflow 0
		.amdhsa_exception_fp_ieee_inexact 0
		.amdhsa_exception_int_div_zero 0
	.end_amdhsa_kernel
	.section	.text._ZN7rocprim17ROCPRIM_400000_NS6detail17trampoline_kernelINS0_14default_configENS1_35adjacent_difference_config_selectorILb0EsEEZNS1_24adjacent_difference_implIS3_Lb0ELb0EPKsPsN6thrust23THRUST_200600_302600_NS4plusIsEEEE10hipError_tPvRmT2_T3_mT4_P12ihipStream_tbEUlT_E_NS1_11comp_targetILNS1_3genE10ELNS1_11target_archE1201ELNS1_3gpuE5ELNS1_3repE0EEENS1_30default_config_static_selectorELNS0_4arch9wavefront6targetE1EEEvT1_,"axG",@progbits,_ZN7rocprim17ROCPRIM_400000_NS6detail17trampoline_kernelINS0_14default_configENS1_35adjacent_difference_config_selectorILb0EsEEZNS1_24adjacent_difference_implIS3_Lb0ELb0EPKsPsN6thrust23THRUST_200600_302600_NS4plusIsEEEE10hipError_tPvRmT2_T3_mT4_P12ihipStream_tbEUlT_E_NS1_11comp_targetILNS1_3genE10ELNS1_11target_archE1201ELNS1_3gpuE5ELNS1_3repE0EEENS1_30default_config_static_selectorELNS0_4arch9wavefront6targetE1EEEvT1_,comdat
.Lfunc_end517:
	.size	_ZN7rocprim17ROCPRIM_400000_NS6detail17trampoline_kernelINS0_14default_configENS1_35adjacent_difference_config_selectorILb0EsEEZNS1_24adjacent_difference_implIS3_Lb0ELb0EPKsPsN6thrust23THRUST_200600_302600_NS4plusIsEEEE10hipError_tPvRmT2_T3_mT4_P12ihipStream_tbEUlT_E_NS1_11comp_targetILNS1_3genE10ELNS1_11target_archE1201ELNS1_3gpuE5ELNS1_3repE0EEENS1_30default_config_static_selectorELNS0_4arch9wavefront6targetE1EEEvT1_, .Lfunc_end517-_ZN7rocprim17ROCPRIM_400000_NS6detail17trampoline_kernelINS0_14default_configENS1_35adjacent_difference_config_selectorILb0EsEEZNS1_24adjacent_difference_implIS3_Lb0ELb0EPKsPsN6thrust23THRUST_200600_302600_NS4plusIsEEEE10hipError_tPvRmT2_T3_mT4_P12ihipStream_tbEUlT_E_NS1_11comp_targetILNS1_3genE10ELNS1_11target_archE1201ELNS1_3gpuE5ELNS1_3repE0EEENS1_30default_config_static_selectorELNS0_4arch9wavefront6targetE1EEEvT1_
                                        ; -- End function
	.section	.AMDGPU.csdata,"",@progbits
; Kernel info:
; codeLenInByte = 0
; NumSgprs: 4
; NumVgprs: 0
; NumAgprs: 0
; TotalNumVgprs: 0
; ScratchSize: 0
; MemoryBound: 0
; FloatMode: 240
; IeeeMode: 1
; LDSByteSize: 0 bytes/workgroup (compile time only)
; SGPRBlocks: 0
; VGPRBlocks: 0
; NumSGPRsForWavesPerEU: 4
; NumVGPRsForWavesPerEU: 1
; AccumOffset: 4
; Occupancy: 8
; WaveLimiterHint : 0
; COMPUTE_PGM_RSRC2:SCRATCH_EN: 0
; COMPUTE_PGM_RSRC2:USER_SGPR: 6
; COMPUTE_PGM_RSRC2:TRAP_HANDLER: 0
; COMPUTE_PGM_RSRC2:TGID_X_EN: 1
; COMPUTE_PGM_RSRC2:TGID_Y_EN: 0
; COMPUTE_PGM_RSRC2:TGID_Z_EN: 0
; COMPUTE_PGM_RSRC2:TIDIG_COMP_CNT: 0
; COMPUTE_PGM_RSRC3_GFX90A:ACCUM_OFFSET: 0
; COMPUTE_PGM_RSRC3_GFX90A:TG_SPLIT: 0
	.section	.text._ZN7rocprim17ROCPRIM_400000_NS6detail17trampoline_kernelINS0_14default_configENS1_35adjacent_difference_config_selectorILb0EsEEZNS1_24adjacent_difference_implIS3_Lb0ELb0EPKsPsN6thrust23THRUST_200600_302600_NS4plusIsEEEE10hipError_tPvRmT2_T3_mT4_P12ihipStream_tbEUlT_E_NS1_11comp_targetILNS1_3genE5ELNS1_11target_archE942ELNS1_3gpuE9ELNS1_3repE0EEENS1_30default_config_static_selectorELNS0_4arch9wavefront6targetE1EEEvT1_,"axG",@progbits,_ZN7rocprim17ROCPRIM_400000_NS6detail17trampoline_kernelINS0_14default_configENS1_35adjacent_difference_config_selectorILb0EsEEZNS1_24adjacent_difference_implIS3_Lb0ELb0EPKsPsN6thrust23THRUST_200600_302600_NS4plusIsEEEE10hipError_tPvRmT2_T3_mT4_P12ihipStream_tbEUlT_E_NS1_11comp_targetILNS1_3genE5ELNS1_11target_archE942ELNS1_3gpuE9ELNS1_3repE0EEENS1_30default_config_static_selectorELNS0_4arch9wavefront6targetE1EEEvT1_,comdat
	.protected	_ZN7rocprim17ROCPRIM_400000_NS6detail17trampoline_kernelINS0_14default_configENS1_35adjacent_difference_config_selectorILb0EsEEZNS1_24adjacent_difference_implIS3_Lb0ELb0EPKsPsN6thrust23THRUST_200600_302600_NS4plusIsEEEE10hipError_tPvRmT2_T3_mT4_P12ihipStream_tbEUlT_E_NS1_11comp_targetILNS1_3genE5ELNS1_11target_archE942ELNS1_3gpuE9ELNS1_3repE0EEENS1_30default_config_static_selectorELNS0_4arch9wavefront6targetE1EEEvT1_ ; -- Begin function _ZN7rocprim17ROCPRIM_400000_NS6detail17trampoline_kernelINS0_14default_configENS1_35adjacent_difference_config_selectorILb0EsEEZNS1_24adjacent_difference_implIS3_Lb0ELb0EPKsPsN6thrust23THRUST_200600_302600_NS4plusIsEEEE10hipError_tPvRmT2_T3_mT4_P12ihipStream_tbEUlT_E_NS1_11comp_targetILNS1_3genE5ELNS1_11target_archE942ELNS1_3gpuE9ELNS1_3repE0EEENS1_30default_config_static_selectorELNS0_4arch9wavefront6targetE1EEEvT1_
	.globl	_ZN7rocprim17ROCPRIM_400000_NS6detail17trampoline_kernelINS0_14default_configENS1_35adjacent_difference_config_selectorILb0EsEEZNS1_24adjacent_difference_implIS3_Lb0ELb0EPKsPsN6thrust23THRUST_200600_302600_NS4plusIsEEEE10hipError_tPvRmT2_T3_mT4_P12ihipStream_tbEUlT_E_NS1_11comp_targetILNS1_3genE5ELNS1_11target_archE942ELNS1_3gpuE9ELNS1_3repE0EEENS1_30default_config_static_selectorELNS0_4arch9wavefront6targetE1EEEvT1_
	.p2align	8
	.type	_ZN7rocprim17ROCPRIM_400000_NS6detail17trampoline_kernelINS0_14default_configENS1_35adjacent_difference_config_selectorILb0EsEEZNS1_24adjacent_difference_implIS3_Lb0ELb0EPKsPsN6thrust23THRUST_200600_302600_NS4plusIsEEEE10hipError_tPvRmT2_T3_mT4_P12ihipStream_tbEUlT_E_NS1_11comp_targetILNS1_3genE5ELNS1_11target_archE942ELNS1_3gpuE9ELNS1_3repE0EEENS1_30default_config_static_selectorELNS0_4arch9wavefront6targetE1EEEvT1_,@function
_ZN7rocprim17ROCPRIM_400000_NS6detail17trampoline_kernelINS0_14default_configENS1_35adjacent_difference_config_selectorILb0EsEEZNS1_24adjacent_difference_implIS3_Lb0ELb0EPKsPsN6thrust23THRUST_200600_302600_NS4plusIsEEEE10hipError_tPvRmT2_T3_mT4_P12ihipStream_tbEUlT_E_NS1_11comp_targetILNS1_3genE5ELNS1_11target_archE942ELNS1_3gpuE9ELNS1_3repE0EEENS1_30default_config_static_selectorELNS0_4arch9wavefront6targetE1EEEvT1_: ; @_ZN7rocprim17ROCPRIM_400000_NS6detail17trampoline_kernelINS0_14default_configENS1_35adjacent_difference_config_selectorILb0EsEEZNS1_24adjacent_difference_implIS3_Lb0ELb0EPKsPsN6thrust23THRUST_200600_302600_NS4plusIsEEEE10hipError_tPvRmT2_T3_mT4_P12ihipStream_tbEUlT_E_NS1_11comp_targetILNS1_3genE5ELNS1_11target_archE942ELNS1_3gpuE9ELNS1_3repE0EEENS1_30default_config_static_selectorELNS0_4arch9wavefront6targetE1EEEvT1_
; %bb.0:
	.section	.rodata,"a",@progbits
	.p2align	6, 0x0
	.amdhsa_kernel _ZN7rocprim17ROCPRIM_400000_NS6detail17trampoline_kernelINS0_14default_configENS1_35adjacent_difference_config_selectorILb0EsEEZNS1_24adjacent_difference_implIS3_Lb0ELb0EPKsPsN6thrust23THRUST_200600_302600_NS4plusIsEEEE10hipError_tPvRmT2_T3_mT4_P12ihipStream_tbEUlT_E_NS1_11comp_targetILNS1_3genE5ELNS1_11target_archE942ELNS1_3gpuE9ELNS1_3repE0EEENS1_30default_config_static_selectorELNS0_4arch9wavefront6targetE1EEEvT1_
		.amdhsa_group_segment_fixed_size 0
		.amdhsa_private_segment_fixed_size 0
		.amdhsa_kernarg_size 56
		.amdhsa_user_sgpr_count 6
		.amdhsa_user_sgpr_private_segment_buffer 1
		.amdhsa_user_sgpr_dispatch_ptr 0
		.amdhsa_user_sgpr_queue_ptr 0
		.amdhsa_user_sgpr_kernarg_segment_ptr 1
		.amdhsa_user_sgpr_dispatch_id 0
		.amdhsa_user_sgpr_flat_scratch_init 0
		.amdhsa_user_sgpr_kernarg_preload_length 0
		.amdhsa_user_sgpr_kernarg_preload_offset 0
		.amdhsa_user_sgpr_private_segment_size 0
		.amdhsa_uses_dynamic_stack 0
		.amdhsa_system_sgpr_private_segment_wavefront_offset 0
		.amdhsa_system_sgpr_workgroup_id_x 1
		.amdhsa_system_sgpr_workgroup_id_y 0
		.amdhsa_system_sgpr_workgroup_id_z 0
		.amdhsa_system_sgpr_workgroup_info 0
		.amdhsa_system_vgpr_workitem_id 0
		.amdhsa_next_free_vgpr 1
		.amdhsa_next_free_sgpr 0
		.amdhsa_accum_offset 4
		.amdhsa_reserve_vcc 0
		.amdhsa_reserve_flat_scratch 0
		.amdhsa_float_round_mode_32 0
		.amdhsa_float_round_mode_16_64 0
		.amdhsa_float_denorm_mode_32 3
		.amdhsa_float_denorm_mode_16_64 3
		.amdhsa_dx10_clamp 1
		.amdhsa_ieee_mode 1
		.amdhsa_fp16_overflow 0
		.amdhsa_tg_split 0
		.amdhsa_exception_fp_ieee_invalid_op 0
		.amdhsa_exception_fp_denorm_src 0
		.amdhsa_exception_fp_ieee_div_zero 0
		.amdhsa_exception_fp_ieee_overflow 0
		.amdhsa_exception_fp_ieee_underflow 0
		.amdhsa_exception_fp_ieee_inexact 0
		.amdhsa_exception_int_div_zero 0
	.end_amdhsa_kernel
	.section	.text._ZN7rocprim17ROCPRIM_400000_NS6detail17trampoline_kernelINS0_14default_configENS1_35adjacent_difference_config_selectorILb0EsEEZNS1_24adjacent_difference_implIS3_Lb0ELb0EPKsPsN6thrust23THRUST_200600_302600_NS4plusIsEEEE10hipError_tPvRmT2_T3_mT4_P12ihipStream_tbEUlT_E_NS1_11comp_targetILNS1_3genE5ELNS1_11target_archE942ELNS1_3gpuE9ELNS1_3repE0EEENS1_30default_config_static_selectorELNS0_4arch9wavefront6targetE1EEEvT1_,"axG",@progbits,_ZN7rocprim17ROCPRIM_400000_NS6detail17trampoline_kernelINS0_14default_configENS1_35adjacent_difference_config_selectorILb0EsEEZNS1_24adjacent_difference_implIS3_Lb0ELb0EPKsPsN6thrust23THRUST_200600_302600_NS4plusIsEEEE10hipError_tPvRmT2_T3_mT4_P12ihipStream_tbEUlT_E_NS1_11comp_targetILNS1_3genE5ELNS1_11target_archE942ELNS1_3gpuE9ELNS1_3repE0EEENS1_30default_config_static_selectorELNS0_4arch9wavefront6targetE1EEEvT1_,comdat
.Lfunc_end518:
	.size	_ZN7rocprim17ROCPRIM_400000_NS6detail17trampoline_kernelINS0_14default_configENS1_35adjacent_difference_config_selectorILb0EsEEZNS1_24adjacent_difference_implIS3_Lb0ELb0EPKsPsN6thrust23THRUST_200600_302600_NS4plusIsEEEE10hipError_tPvRmT2_T3_mT4_P12ihipStream_tbEUlT_E_NS1_11comp_targetILNS1_3genE5ELNS1_11target_archE942ELNS1_3gpuE9ELNS1_3repE0EEENS1_30default_config_static_selectorELNS0_4arch9wavefront6targetE1EEEvT1_, .Lfunc_end518-_ZN7rocprim17ROCPRIM_400000_NS6detail17trampoline_kernelINS0_14default_configENS1_35adjacent_difference_config_selectorILb0EsEEZNS1_24adjacent_difference_implIS3_Lb0ELb0EPKsPsN6thrust23THRUST_200600_302600_NS4plusIsEEEE10hipError_tPvRmT2_T3_mT4_P12ihipStream_tbEUlT_E_NS1_11comp_targetILNS1_3genE5ELNS1_11target_archE942ELNS1_3gpuE9ELNS1_3repE0EEENS1_30default_config_static_selectorELNS0_4arch9wavefront6targetE1EEEvT1_
                                        ; -- End function
	.section	.AMDGPU.csdata,"",@progbits
; Kernel info:
; codeLenInByte = 0
; NumSgprs: 4
; NumVgprs: 0
; NumAgprs: 0
; TotalNumVgprs: 0
; ScratchSize: 0
; MemoryBound: 0
; FloatMode: 240
; IeeeMode: 1
; LDSByteSize: 0 bytes/workgroup (compile time only)
; SGPRBlocks: 0
; VGPRBlocks: 0
; NumSGPRsForWavesPerEU: 4
; NumVGPRsForWavesPerEU: 1
; AccumOffset: 4
; Occupancy: 8
; WaveLimiterHint : 0
; COMPUTE_PGM_RSRC2:SCRATCH_EN: 0
; COMPUTE_PGM_RSRC2:USER_SGPR: 6
; COMPUTE_PGM_RSRC2:TRAP_HANDLER: 0
; COMPUTE_PGM_RSRC2:TGID_X_EN: 1
; COMPUTE_PGM_RSRC2:TGID_Y_EN: 0
; COMPUTE_PGM_RSRC2:TGID_Z_EN: 0
; COMPUTE_PGM_RSRC2:TIDIG_COMP_CNT: 0
; COMPUTE_PGM_RSRC3_GFX90A:ACCUM_OFFSET: 0
; COMPUTE_PGM_RSRC3_GFX90A:TG_SPLIT: 0
	.section	.text._ZN7rocprim17ROCPRIM_400000_NS6detail17trampoline_kernelINS0_14default_configENS1_35adjacent_difference_config_selectorILb0EsEEZNS1_24adjacent_difference_implIS3_Lb0ELb0EPKsPsN6thrust23THRUST_200600_302600_NS4plusIsEEEE10hipError_tPvRmT2_T3_mT4_P12ihipStream_tbEUlT_E_NS1_11comp_targetILNS1_3genE4ELNS1_11target_archE910ELNS1_3gpuE8ELNS1_3repE0EEENS1_30default_config_static_selectorELNS0_4arch9wavefront6targetE1EEEvT1_,"axG",@progbits,_ZN7rocprim17ROCPRIM_400000_NS6detail17trampoline_kernelINS0_14default_configENS1_35adjacent_difference_config_selectorILb0EsEEZNS1_24adjacent_difference_implIS3_Lb0ELb0EPKsPsN6thrust23THRUST_200600_302600_NS4plusIsEEEE10hipError_tPvRmT2_T3_mT4_P12ihipStream_tbEUlT_E_NS1_11comp_targetILNS1_3genE4ELNS1_11target_archE910ELNS1_3gpuE8ELNS1_3repE0EEENS1_30default_config_static_selectorELNS0_4arch9wavefront6targetE1EEEvT1_,comdat
	.protected	_ZN7rocprim17ROCPRIM_400000_NS6detail17trampoline_kernelINS0_14default_configENS1_35adjacent_difference_config_selectorILb0EsEEZNS1_24adjacent_difference_implIS3_Lb0ELb0EPKsPsN6thrust23THRUST_200600_302600_NS4plusIsEEEE10hipError_tPvRmT2_T3_mT4_P12ihipStream_tbEUlT_E_NS1_11comp_targetILNS1_3genE4ELNS1_11target_archE910ELNS1_3gpuE8ELNS1_3repE0EEENS1_30default_config_static_selectorELNS0_4arch9wavefront6targetE1EEEvT1_ ; -- Begin function _ZN7rocprim17ROCPRIM_400000_NS6detail17trampoline_kernelINS0_14default_configENS1_35adjacent_difference_config_selectorILb0EsEEZNS1_24adjacent_difference_implIS3_Lb0ELb0EPKsPsN6thrust23THRUST_200600_302600_NS4plusIsEEEE10hipError_tPvRmT2_T3_mT4_P12ihipStream_tbEUlT_E_NS1_11comp_targetILNS1_3genE4ELNS1_11target_archE910ELNS1_3gpuE8ELNS1_3repE0EEENS1_30default_config_static_selectorELNS0_4arch9wavefront6targetE1EEEvT1_
	.globl	_ZN7rocprim17ROCPRIM_400000_NS6detail17trampoline_kernelINS0_14default_configENS1_35adjacent_difference_config_selectorILb0EsEEZNS1_24adjacent_difference_implIS3_Lb0ELb0EPKsPsN6thrust23THRUST_200600_302600_NS4plusIsEEEE10hipError_tPvRmT2_T3_mT4_P12ihipStream_tbEUlT_E_NS1_11comp_targetILNS1_3genE4ELNS1_11target_archE910ELNS1_3gpuE8ELNS1_3repE0EEENS1_30default_config_static_selectorELNS0_4arch9wavefront6targetE1EEEvT1_
	.p2align	8
	.type	_ZN7rocprim17ROCPRIM_400000_NS6detail17trampoline_kernelINS0_14default_configENS1_35adjacent_difference_config_selectorILb0EsEEZNS1_24adjacent_difference_implIS3_Lb0ELb0EPKsPsN6thrust23THRUST_200600_302600_NS4plusIsEEEE10hipError_tPvRmT2_T3_mT4_P12ihipStream_tbEUlT_E_NS1_11comp_targetILNS1_3genE4ELNS1_11target_archE910ELNS1_3gpuE8ELNS1_3repE0EEENS1_30default_config_static_selectorELNS0_4arch9wavefront6targetE1EEEvT1_,@function
_ZN7rocprim17ROCPRIM_400000_NS6detail17trampoline_kernelINS0_14default_configENS1_35adjacent_difference_config_selectorILb0EsEEZNS1_24adjacent_difference_implIS3_Lb0ELb0EPKsPsN6thrust23THRUST_200600_302600_NS4plusIsEEEE10hipError_tPvRmT2_T3_mT4_P12ihipStream_tbEUlT_E_NS1_11comp_targetILNS1_3genE4ELNS1_11target_archE910ELNS1_3gpuE8ELNS1_3repE0EEENS1_30default_config_static_selectorELNS0_4arch9wavefront6targetE1EEEvT1_: ; @_ZN7rocprim17ROCPRIM_400000_NS6detail17trampoline_kernelINS0_14default_configENS1_35adjacent_difference_config_selectorILb0EsEEZNS1_24adjacent_difference_implIS3_Lb0ELb0EPKsPsN6thrust23THRUST_200600_302600_NS4plusIsEEEE10hipError_tPvRmT2_T3_mT4_P12ihipStream_tbEUlT_E_NS1_11comp_targetILNS1_3genE4ELNS1_11target_archE910ELNS1_3gpuE8ELNS1_3repE0EEENS1_30default_config_static_selectorELNS0_4arch9wavefront6targetE1EEEvT1_
; %bb.0:
	s_load_dwordx8 s[8:15], s[4:5], 0x0
	s_mov_b32 s2, 0xfc3c3710
	s_movk_i32 s7, 0x440
	s_load_dwordx2 s[0:1], s[4:5], 0x30
	s_mul_i32 s4, s6, 0x440
	s_waitcnt lgkmcnt(0)
	s_lshl_b64 s[10:11], s[10:11], 1
	s_add_u32 s20, s8, s10
	s_addc_u32 s21, s9, s11
	s_add_u32 s2, 0x10c, s2
	s_addc_u32 s8, 0, 0
	v_add_co_u32_e64 v1, s[2:3], s2, 2.0
	s_cmp_lg_u64 s[2:3], 0
	s_addc_u32 s2, s8, 0x3c3c3b
	v_readfirstlane_b32 s8, v1
	s_mul_hi_u32 s9, s8, 0xfffffbc0
	s_mul_i32 s3, s2, 0xfffffbc0
	s_sub_i32 s9, s9, s8
	s_add_i32 s9, s9, s3
	s_mul_i32 s17, s8, 0xfffffbc0
	s_mul_hi_u32 s3, s8, s9
	s_mul_i32 s16, s8, s9
	s_mul_hi_u32 s8, s8, s17
	s_add_u32 s8, s8, s16
	s_addc_u32 s3, 0, s3
	s_mul_hi_u32 s18, s2, s17
	s_mul_i32 s17, s2, s17
	s_add_u32 s8, s8, s17
	s_mul_hi_u32 s16, s2, s9
	s_addc_u32 s3, s3, s18
	s_addc_u32 s8, s16, 0
	s_mul_i32 s9, s2, s9
	s_add_u32 s3, s3, s9
	s_addc_u32 s8, 0, s8
	v_add_co_u32_e32 v1, vcc, s3, v1
	s_cmp_lg_u64 vcc, 0
	s_addc_u32 s2, s2, s8
	v_readfirstlane_b32 s9, v1
	s_mul_i32 s8, s14, s2
	s_mul_hi_u32 s16, s14, s9
	s_mul_hi_u32 s3, s14, s2
	s_add_u32 s8, s16, s8
	s_addc_u32 s3, 0, s3
	s_mul_hi_u32 s17, s15, s9
	s_mul_i32 s9, s15, s9
	s_add_u32 s8, s8, s9
	s_mul_hi_u32 s16, s15, s2
	s_addc_u32 s3, s3, s17
	s_addc_u32 s8, s16, 0
	s_mul_i32 s2, s15, s2
	s_add_u32 s2, s3, s2
	s_addc_u32 s3, 0, s8
	s_add_u32 s8, s2, 1
	s_addc_u32 s9, s3, 0
	s_add_u32 s16, s2, 2
	s_mul_i32 s18, s3, 0x440
	s_mul_hi_u32 s19, s2, 0x440
	s_addc_u32 s17, s3, 0
	s_add_i32 s19, s19, s18
	s_mul_i32 s18, s2, 0x440
	v_mov_b32_e32 v1, s18
	v_sub_co_u32_e32 v1, vcc, s14, v1
	s_cmp_lg_u64 vcc, 0
	s_subb_u32 s18, s15, s19
	v_subrev_co_u32_e32 v2, vcc, s7, v1
	s_cmp_lg_u64 vcc, 0
	s_subb_u32 s7, s18, 0
	v_readfirstlane_b32 s19, v2
	s_cmpk_gt_u32 s19, 0x43f
	s_cselect_b32 s19, -1, 0
	s_cmp_eq_u32 s7, 0
	s_cselect_b32 s7, s19, -1
	s_cmp_lg_u32 s7, 0
	s_cselect_b32 s7, s16, s8
	s_cselect_b32 s8, s17, s9
	v_readfirstlane_b32 s9, v1
	s_cmpk_gt_u32 s9, 0x43f
	s_cselect_b32 s9, -1, 0
	s_cmp_eq_u32 s18, 0
	s_cselect_b32 s9, s9, -1
	s_cmp_lg_u32 s9, 0
	s_cselect_b32 s8, s8, s3
	s_cselect_b32 s7, s7, s2
	s_mul_i32 s2, s8, 0x440
	s_mul_hi_u32 s3, s7, 0x440
	s_add_i32 s3, s3, s2
	s_mul_i32 s2, s7, 0x440
	s_sub_u32 s2, s14, s2
	s_subb_u32 s3, s15, s3
	s_cmp_lg_u64 s[2:3], 0
	s_cselect_b64 s[2:3], -1, 0
	v_cndmask_b32_e64 v1, 0, 1, s[2:3]
	v_readfirstlane_b32 s2, v1
	s_add_u32 s2, s7, s2
	s_addc_u32 s3, s8, 0
	s_add_u32 s6, s0, s6
	s_addc_u32 s7, s1, 0
	s_add_u32 s8, s2, -1
	s_addc_u32 s9, s3, -1
	v_pk_mov_b32 v[2:3], s[8:9], s[8:9] op_sel:[0,1]
	v_cmp_ge_u64_e64 s[0:1], s[6:7], v[2:3]
	s_mov_b32 s5, 0
	s_mov_b64 s[16:17], -1
	s_and_b64 vcc, exec, s[0:1]
	s_mul_i32 s15, s8, 0xfffffbc0
	s_cbranch_vccz .LBB519_36
; %bb.1:
	s_add_i32 s22, s15, s14
	s_lshl_b64 s[16:17], s[4:5], 1
	s_add_u32 s16, s20, s16
	s_addc_u32 s17, s21, s17
	v_cmp_gt_u32_e32 vcc, s22, v0
                                        ; implicit-def: $vgpr1
	s_and_saveexec_b64 s[18:19], vcc
	s_cbranch_execz .LBB519_3
; %bb.2:
	v_lshlrev_b32_e32 v1, 1, v0
	global_load_ushort v1, v1, s[16:17]
.LBB519_3:
	s_or_b64 exec, exec, s[18:19]
	v_or_b32_e32 v2, 64, v0
	v_cmp_gt_u32_e32 vcc, s22, v2
                                        ; implicit-def: $vgpr2
	s_and_saveexec_b64 s[18:19], vcc
	s_cbranch_execz .LBB519_5
; %bb.4:
	v_lshlrev_b32_e32 v2, 1, v0
	global_load_ushort v2, v2, s[16:17] offset:128
.LBB519_5:
	s_or_b64 exec, exec, s[18:19]
	v_or_b32_e32 v3, 0x80, v0
	v_cmp_gt_u32_e32 vcc, s22, v3
                                        ; implicit-def: $vgpr3
	s_and_saveexec_b64 s[18:19], vcc
	s_cbranch_execz .LBB519_7
; %bb.6:
	v_lshlrev_b32_e32 v3, 1, v0
	global_load_ushort v3, v3, s[16:17] offset:256
.LBB519_7:
	s_or_b64 exec, exec, s[18:19]
	v_or_b32_e32 v4, 0xc0, v0
	v_cmp_gt_u32_e32 vcc, s22, v4
                                        ; implicit-def: $vgpr4
	s_and_saveexec_b64 s[18:19], vcc
	s_cbranch_execz .LBB519_9
; %bb.8:
	v_lshlrev_b32_e32 v4, 1, v0
	global_load_ushort v4, v4, s[16:17] offset:384
.LBB519_9:
	s_or_b64 exec, exec, s[18:19]
	v_or_b32_e32 v5, 0x100, v0
	v_cmp_gt_u32_e32 vcc, s22, v5
                                        ; implicit-def: $vgpr5
	s_and_saveexec_b64 s[18:19], vcc
	s_cbranch_execz .LBB519_11
; %bb.10:
	v_lshlrev_b32_e32 v5, 1, v0
	global_load_ushort v5, v5, s[16:17] offset:512
.LBB519_11:
	s_or_b64 exec, exec, s[18:19]
	v_or_b32_e32 v6, 0x140, v0
	v_cmp_gt_u32_e32 vcc, s22, v6
                                        ; implicit-def: $vgpr6
	s_and_saveexec_b64 s[18:19], vcc
	s_cbranch_execz .LBB519_13
; %bb.12:
	v_lshlrev_b32_e32 v6, 1, v0
	global_load_ushort v6, v6, s[16:17] offset:640
.LBB519_13:
	s_or_b64 exec, exec, s[18:19]
	v_or_b32_e32 v7, 0x180, v0
	v_cmp_gt_u32_e32 vcc, s22, v7
                                        ; implicit-def: $vgpr7
	s_and_saveexec_b64 s[18:19], vcc
	s_cbranch_execz .LBB519_15
; %bb.14:
	v_lshlrev_b32_e32 v7, 1, v0
	global_load_ushort v7, v7, s[16:17] offset:768
.LBB519_15:
	s_or_b64 exec, exec, s[18:19]
	v_or_b32_e32 v8, 0x1c0, v0
	v_cmp_gt_u32_e32 vcc, s22, v8
                                        ; implicit-def: $vgpr8
	s_and_saveexec_b64 s[18:19], vcc
	s_cbranch_execz .LBB519_17
; %bb.16:
	v_lshlrev_b32_e32 v8, 1, v0
	global_load_ushort v8, v8, s[16:17] offset:896
.LBB519_17:
	s_or_b64 exec, exec, s[18:19]
	v_or_b32_e32 v9, 0x200, v0
	v_cmp_gt_u32_e32 vcc, s22, v9
                                        ; implicit-def: $vgpr9
	s_and_saveexec_b64 s[18:19], vcc
	s_cbranch_execz .LBB519_19
; %bb.18:
	v_lshlrev_b32_e32 v9, 1, v0
	global_load_ushort v9, v9, s[16:17] offset:1024
.LBB519_19:
	s_or_b64 exec, exec, s[18:19]
	v_or_b32_e32 v10, 0x240, v0
	v_cmp_gt_u32_e32 vcc, s22, v10
                                        ; implicit-def: $vgpr10
	s_and_saveexec_b64 s[18:19], vcc
	s_cbranch_execz .LBB519_21
; %bb.20:
	v_lshlrev_b32_e32 v10, 1, v0
	global_load_ushort v10, v10, s[16:17] offset:1152
.LBB519_21:
	s_or_b64 exec, exec, s[18:19]
	v_or_b32_e32 v11, 0x280, v0
	v_cmp_gt_u32_e32 vcc, s22, v11
                                        ; implicit-def: $vgpr11
	s_and_saveexec_b64 s[18:19], vcc
	s_cbranch_execz .LBB519_23
; %bb.22:
	v_lshlrev_b32_e32 v11, 1, v0
	global_load_ushort v11, v11, s[16:17] offset:1280
.LBB519_23:
	s_or_b64 exec, exec, s[18:19]
	v_or_b32_e32 v12, 0x2c0, v0
	v_cmp_gt_u32_e32 vcc, s22, v12
                                        ; implicit-def: $vgpr12
	s_and_saveexec_b64 s[18:19], vcc
	s_cbranch_execz .LBB519_25
; %bb.24:
	v_lshlrev_b32_e32 v12, 1, v0
	global_load_ushort v12, v12, s[16:17] offset:1408
.LBB519_25:
	s_or_b64 exec, exec, s[18:19]
	v_or_b32_e32 v13, 0x300, v0
	v_cmp_gt_u32_e32 vcc, s22, v13
                                        ; implicit-def: $vgpr13
	s_and_saveexec_b64 s[18:19], vcc
	s_cbranch_execz .LBB519_27
; %bb.26:
	v_lshlrev_b32_e32 v13, 1, v0
	global_load_ushort v13, v13, s[16:17] offset:1536
.LBB519_27:
	s_or_b64 exec, exec, s[18:19]
	v_or_b32_e32 v14, 0x340, v0
	v_cmp_gt_u32_e32 vcc, s22, v14
                                        ; implicit-def: $vgpr14
	s_and_saveexec_b64 s[18:19], vcc
	s_cbranch_execz .LBB519_29
; %bb.28:
	v_lshlrev_b32_e32 v14, 1, v0
	global_load_ushort v14, v14, s[16:17] offset:1664
.LBB519_29:
	s_or_b64 exec, exec, s[18:19]
	v_or_b32_e32 v15, 0x380, v0
	v_cmp_gt_u32_e32 vcc, s22, v15
                                        ; implicit-def: $vgpr15
	s_and_saveexec_b64 s[18:19], vcc
	s_cbranch_execz .LBB519_31
; %bb.30:
	v_lshlrev_b32_e32 v15, 1, v0
	global_load_ushort v15, v15, s[16:17] offset:1792
.LBB519_31:
	s_or_b64 exec, exec, s[18:19]
	v_or_b32_e32 v16, 0x3c0, v0
	v_cmp_gt_u32_e32 vcc, s22, v16
                                        ; implicit-def: $vgpr16
	s_and_saveexec_b64 s[18:19], vcc
	s_cbranch_execz .LBB519_33
; %bb.32:
	v_lshlrev_b32_e32 v16, 1, v0
	global_load_ushort v16, v16, s[16:17] offset:1920
.LBB519_33:
	s_or_b64 exec, exec, s[18:19]
	v_or_b32_e32 v17, 0x400, v0
	v_cmp_gt_u32_e32 vcc, s22, v17
                                        ; implicit-def: $vgpr17
	s_and_saveexec_b64 s[18:19], vcc
	s_cbranch_execz .LBB519_35
; %bb.34:
	v_lshlrev_b32_e32 v17, 1, v0
	global_load_ushort v17, v17, s[16:17] offset:2048
.LBB519_35:
	s_or_b64 exec, exec, s[18:19]
	v_lshlrev_b32_e32 v18, 1, v0
	s_mov_b64 s[16:17], 0
	s_waitcnt vmcnt(0)
	ds_write_b16 v18, v1
	ds_write_b16 v18, v2 offset:128
	ds_write_b16 v18, v3 offset:256
	;; [unrolled: 1-line block ×16, first 2 shown]
	s_waitcnt lgkmcnt(0)
	; wave barrier
.LBB519_36:
	s_and_b64 vcc, exec, s[16:17]
	v_lshlrev_b32_e32 v1, 1, v0
	s_cbranch_vccz .LBB519_38
; %bb.37:
	s_lshl_b64 s[16:17], s[4:5], 1
	s_add_u32 s16, s20, s16
	s_addc_u32 s17, s21, s17
	global_load_ushort v2, v1, s[16:17]
	global_load_ushort v3, v1, s[16:17] offset:128
	global_load_ushort v4, v1, s[16:17] offset:256
	;; [unrolled: 1-line block ×16, first 2 shown]
	s_waitcnt vmcnt(16)
	ds_write_b16 v1, v2
	s_waitcnt vmcnt(15)
	ds_write_b16 v1, v3 offset:128
	s_waitcnt vmcnt(14)
	ds_write_b16 v1, v4 offset:256
	;; [unrolled: 2-line block ×16, first 2 shown]
	s_waitcnt lgkmcnt(0)
	; wave barrier
.LBB519_38:
	v_mul_u32_u24_e32 v2, 17, v0
	v_lshlrev_b32_e32 v10, 1, v2
	s_waitcnt lgkmcnt(0)
	ds_read_b128 v[6:9], v10
	ds_read_b128 v[2:5], v10 offset:16
	ds_read_u16 v18, v10 offset:32
	s_cmp_eq_u64 s[6:7], 0
	s_waitcnt lgkmcnt(0)
	; wave barrier
	s_waitcnt lgkmcnt(0)
	s_cbranch_scc1 .LBB519_43
; %bb.39:
	s_lshl_b64 s[16:17], s[4:5], 1
	s_add_u32 s16, s20, s16
	s_addc_u32 s17, s21, s17
	v_mov_b32_e32 v10, 0
	global_load_ushort v20, v10, s[16:17] offset:-2
	s_cmp_eq_u64 s[6:7], s[8:9]
	s_cbranch_scc1 .LBB519_44
; %bb.40:
	v_cmp_ne_u32_e32 vcc, 0, v0
	s_waitcnt vmcnt(0)
	v_mov_b32_e32 v10, v20
	ds_write_b16 v1, v18
	s_waitcnt lgkmcnt(0)
	; wave barrier
	s_waitcnt lgkmcnt(0)
	s_and_saveexec_b64 s[8:9], vcc
	s_cbranch_execz .LBB519_42
; %bb.41:
	v_add_u32_e32 v10, -2, v1
	ds_read_u16 v10, v10
.LBB519_42:
	s_or_b64 exec, exec, s[8:9]
	s_waitcnt lgkmcnt(0)
	v_add_u16_e32 v19, v10, v6
	s_mov_b64 s[8:9], 0
	s_branch .LBB519_45
.LBB519_43:
                                        ; implicit-def: $vgpr10_vgpr11
                                        ; implicit-def: $vgpr12_vgpr13
                                        ; implicit-def: $vgpr14_vgpr15
                                        ; implicit-def: $vgpr16_vgpr17
                                        ; implicit-def: $vgpr19
	s_branch .LBB519_50
.LBB519_44:
	s_mov_b64 s[8:9], -1
                                        ; implicit-def: $vgpr19
.LBB519_45:
	s_and_b64 vcc, exec, s[8:9]
	v_pk_mov_b32 v[10:11], v[4:5], v[4:5] op_sel:[0,1]
	v_pk_mov_b32 v[12:13], v[2:3], v[2:3] op_sel:[0,1]
	v_pk_mov_b32 v[14:15], v[8:9], v[8:9] op_sel:[0,1]
	v_pk_mov_b32 v[16:17], v[6:7], v[6:7] op_sel:[0,1]
	s_cbranch_vccz .LBB519_49
; %bb.46:
	v_mul_u32_u24_e32 v19, 17, v0
	v_cmp_ne_u32_e32 vcc, 0, v0
	ds_write_b16 v1, v18
	s_waitcnt lgkmcnt(0)
	; wave barrier
	s_waitcnt lgkmcnt(0)
	s_and_saveexec_b64 s[8:9], vcc
	s_cbranch_execz .LBB519_48
; %bb.47:
	v_add_u32_e32 v10, -2, v1
	s_waitcnt vmcnt(0)
	ds_read_u16 v20, v10
.LBB519_48:
	s_or_b64 exec, exec, s[8:9]
	s_mul_i32 s5, s6, 0xfffffbc0
	s_add_i32 s5, s5, s14
	v_add_u32_e32 v10, 15, v19
	v_add_u32_e32 v11, 16, v19
	v_cmp_gt_u32_e32 vcc, s5, v10
	v_add_u32_e32 v12, 13, v19
	v_cndmask_b32_e32 v10, 0, v5, vcc
	v_lshrrev_b32_e32 v14, 16, v5
	v_cmp_gt_u32_e32 vcc, s5, v11
	v_add_u32_e32 v13, 14, v19
	v_cndmask_b32_e32 v11, 0, v14, vcc
	s_mov_b32 s6, 0x5040100
	v_cmp_gt_u32_e32 vcc, s5, v12
	v_perm_b32 v11, v11, v10, s6
	v_cndmask_b32_e32 v10, 0, v4, vcc
	v_lshrrev_b32_e32 v12, 16, v4
	v_cmp_gt_u32_e32 vcc, s5, v13
	v_cndmask_b32_e32 v12, 0, v12, vcc
	v_perm_b32 v10, v12, v10, s6
	v_add_u32_e32 v12, 11, v19
	v_add_u32_e32 v13, 12, v19
	v_cmp_gt_u32_e32 vcc, s5, v12
	v_add_u32_e32 v14, 9, v19
	v_cndmask_b32_e32 v12, 0, v3, vcc
	v_lshrrev_b32_e32 v16, 16, v3
	v_cmp_gt_u32_e32 vcc, s5, v13
	v_add_u32_e32 v15, 10, v19
	v_cndmask_b32_e32 v13, 0, v16, vcc
	v_cmp_gt_u32_e32 vcc, s5, v14
	v_perm_b32 v13, v13, v12, s6
	v_cndmask_b32_e32 v12, 0, v2, vcc
	v_lshrrev_b32_e32 v14, 16, v2
	v_cmp_gt_u32_e32 vcc, s5, v15
	v_cndmask_b32_e32 v14, 0, v14, vcc
	v_perm_b32 v12, v14, v12, s6
	v_add_u32_e32 v14, 7, v19
	v_add_u32_e32 v15, 8, v19
	v_cmp_gt_u32_e32 vcc, s5, v14
	v_add_u32_e32 v16, 5, v19
	v_cndmask_b32_e32 v14, 0, v9, vcc
	v_lshrrev_b32_e32 v21, 16, v9
	v_cmp_gt_u32_e32 vcc, s5, v15
	v_add_u32_e32 v17, 6, v19
	v_cndmask_b32_e32 v15, 0, v21, vcc
	;; [unrolled: 16-line block ×3, first 2 shown]
	v_cmp_gt_u32_e32 vcc, s5, v21
	v_perm_b32 v17, v17, v16, s6
	v_cndmask_b32_e32 v16, 0, v6, vcc
	v_lshrrev_b32_e32 v21, 16, v6
	v_cmp_gt_u32_e32 vcc, s5, v22
	v_cndmask_b32_e32 v21, 0, v21, vcc
	v_cmp_gt_u32_e32 vcc, s5, v19
	s_waitcnt vmcnt(0) lgkmcnt(0)
	v_cndmask_b32_e32 v19, 0, v20, vcc
	v_perm_b32 v16, v21, v16, s6
	v_add_u16_e32 v19, v19, v6
.LBB519_49:
	s_cbranch_execnz .LBB519_59
.LBB519_50:
	s_cmp_eq_u64 s[2:3], 1
	v_cmp_ne_u32_e32 vcc, 0, v0
	s_cbranch_scc1 .LBB519_54
; %bb.51:
	v_mov_b32_e32 v19, v6
	ds_write_b16 v1, v18
	s_waitcnt lgkmcnt(0)
	; wave barrier
	s_waitcnt lgkmcnt(0)
	s_and_saveexec_b64 s[2:3], vcc
	s_cbranch_execz .LBB519_53
; %bb.52:
	v_add_u32_e32 v10, -2, v1
	ds_read_u16 v10, v10
	s_waitcnt lgkmcnt(0)
	v_add_u16_e32 v19, v10, v6
.LBB519_53:
	s_or_b64 exec, exec, s[2:3]
	s_mov_b64 s[2:3], 0
	s_branch .LBB519_55
.LBB519_54:
	s_mov_b64 s[2:3], -1
                                        ; implicit-def: $vgpr19
.LBB519_55:
	s_andn2_b64 vcc, exec, s[2:3]
	v_pk_mov_b32 v[10:11], v[4:5], v[4:5] op_sel:[0,1]
	v_pk_mov_b32 v[12:13], v[2:3], v[2:3] op_sel:[0,1]
	v_pk_mov_b32 v[14:15], v[8:9], v[8:9] op_sel:[0,1]
	v_pk_mov_b32 v[16:17], v[6:7], v[6:7] op_sel:[0,1]
	s_cbranch_vccnz .LBB519_59
; %bb.56:
	v_mad_u32_u24 v10, v0, 17, 15
	v_mad_u32_u24 v11, v0, 17, 16
	v_cmp_gt_u32_e32 vcc, s14, v10
	v_mad_u32_u24 v12, v0, 17, 13
	v_cndmask_b32_e32 v10, 0, v5, vcc
	v_lshrrev_b32_e32 v14, 16, v5
	v_cmp_gt_u32_e32 vcc, s14, v11
	v_mad_u32_u24 v13, v0, 17, 14
	v_cndmask_b32_e32 v11, 0, v14, vcc
	s_mov_b32 s2, 0x5040100
	v_cmp_gt_u32_e32 vcc, s14, v12
	v_perm_b32 v11, v11, v10, s2
	v_cndmask_b32_e32 v10, 0, v4, vcc
	v_lshrrev_b32_e32 v12, 16, v4
	v_cmp_gt_u32_e32 vcc, s14, v13
	v_cndmask_b32_e32 v12, 0, v12, vcc
	v_perm_b32 v10, v12, v10, s2
	v_mad_u32_u24 v12, v0, 17, 11
	v_mad_u32_u24 v13, v0, 17, 12
	v_cmp_gt_u32_e32 vcc, s14, v12
	v_mad_u32_u24 v14, v0, 17, 9
	v_cndmask_b32_e32 v12, 0, v3, vcc
	v_lshrrev_b32_e32 v16, 16, v3
	v_cmp_gt_u32_e32 vcc, s14, v13
	v_mad_u32_u24 v15, v0, 17, 10
	v_cndmask_b32_e32 v13, 0, v16, vcc
	v_cmp_gt_u32_e32 vcc, s14, v14
	v_perm_b32 v13, v13, v12, s2
	v_cndmask_b32_e32 v12, 0, v2, vcc
	v_lshrrev_b32_e32 v14, 16, v2
	v_cmp_gt_u32_e32 vcc, s14, v15
	v_cndmask_b32_e32 v14, 0, v14, vcc
	v_perm_b32 v12, v14, v12, s2
	v_mad_u32_u24 v14, v0, 17, 7
	v_mad_u32_u24 v15, v0, 17, 8
	v_cmp_gt_u32_e32 vcc, s14, v14
	v_mad_u32_u24 v16, v0, 17, 5
	v_cndmask_b32_e32 v14, 0, v9, vcc
	s_waitcnt vmcnt(0)
	v_lshrrev_b32_e32 v20, 16, v9
	v_cmp_gt_u32_e32 vcc, s14, v15
	v_mad_u32_u24 v17, v0, 17, 6
	v_cndmask_b32_e32 v15, 0, v20, vcc
	v_cmp_gt_u32_e32 vcc, s14, v16
	v_perm_b32 v15, v15, v14, s2
	v_cndmask_b32_e32 v14, 0, v8, vcc
	v_lshrrev_b32_e32 v16, 16, v8
	v_cmp_gt_u32_e32 vcc, s14, v17
	v_cndmask_b32_e32 v16, 0, v16, vcc
	v_perm_b32 v14, v16, v14, s2
	v_mad_u32_u24 v16, v0, 17, 3
	v_mad_u32_u24 v17, v0, 17, 4
	v_cmp_gt_u32_e32 vcc, s14, v16
	v_mad_u32_u24 v20, v0, 17, 1
	v_cndmask_b32_e32 v16, 0, v7, vcc
	v_lshrrev_b32_e32 v22, 16, v7
	v_cmp_gt_u32_e32 vcc, s14, v17
	v_mad_u32_u24 v21, v0, 17, 2
	v_cndmask_b32_e32 v17, 0, v22, vcc
	v_cmp_gt_u32_e32 vcc, s14, v20
	v_perm_b32 v17, v17, v16, s2
	v_cndmask_b32_e32 v16, 0, v6, vcc
	v_lshrrev_b32_e32 v20, 16, v6
	v_cmp_gt_u32_e32 vcc, s14, v21
	v_mul_u32_u24_e32 v19, 17, v0
	v_cndmask_b32_e32 v20, 0, v20, vcc
	v_perm_b32 v16, v20, v16, s2
	v_cmp_ne_u32_e32 vcc, 0, v0
	v_cmp_gt_u32_e64 s[2:3], s14, v19
	s_and_b64 s[6:7], vcc, s[2:3]
	v_mov_b32_e32 v19, v6
	ds_write_b16 v1, v18
	s_waitcnt lgkmcnt(0)
	; wave barrier
	s_waitcnt lgkmcnt(0)
	s_and_saveexec_b64 s[2:3], s[6:7]
	s_cbranch_execz .LBB519_58
; %bb.57:
	v_add_u32_e32 v19, -2, v1
	ds_read_u16 v19, v19
	s_waitcnt lgkmcnt(0)
	v_add_u16_e32 v19, v19, v6
.LBB519_58:
	s_or_b64 exec, exec, s[2:3]
.LBB519_59:
	s_add_u32 s6, s12, s10
	v_alignbit_b32 v6, v7, v6, 16
	v_alignbit_b32 v7, v8, v7, 16
	;; [unrolled: 1-line block ×8, first 2 shown]
	s_addc_u32 s7, s13, s11
	v_pk_add_u16 v7, v17, v7
	v_pk_add_u16 v6, v16, v6
	;; [unrolled: 1-line block ×8, first 2 shown]
	s_and_b64 vcc, exec, s[0:1]
	v_mul_u32_u24_e32 v12, 34, v0
	v_lshlrev_b32_e32 v13, 5, v0
	s_waitcnt lgkmcnt(0)
	; wave barrier
	s_cbranch_vccz .LBB519_93
; %bb.60:
	v_sub_u32_e32 v10, v12, v13
	ds_write_b16 v12, v19
	ds_write_b128 v12, v[6:9] offset:2
	ds_write_b128 v12, v[2:5] offset:18
	s_waitcnt lgkmcnt(0)
	; wave barrier
	s_waitcnt lgkmcnt(0)
	ds_read_u16 v30, v10 offset:128
	ds_read_u16 v29, v10 offset:256
	;; [unrolled: 1-line block ×10, first 2 shown]
	s_waitcnt vmcnt(0)
	ds_read_u16 v20, v10 offset:1408
	ds_read_u16 v18, v10 offset:1536
	;; [unrolled: 1-line block ×6, first 2 shown]
	s_mov_b32 s5, 0
	s_add_i32 s15, s15, s14
	s_lshl_b64 s[0:1], s[4:5], 1
	s_add_u32 s0, s6, s0
	s_addc_u32 s1, s7, s1
	v_mov_b32_e32 v11, s1
	v_add_co_u32_e32 v10, vcc, s0, v1
	v_addc_co_u32_e32 v11, vcc, 0, v11, vcc
	v_cmp_gt_u32_e32 vcc, s15, v0
	s_and_saveexec_b64 s[0:1], vcc
	s_cbranch_execz .LBB519_62
; %bb.61:
	v_sub_u32_e32 v31, 0, v13
	v_add_u32_e32 v31, v12, v31
	ds_read_u16 v31, v31
	s_waitcnt lgkmcnt(0)
	global_store_short v[10:11], v31, off
.LBB519_62:
	s_or_b64 exec, exec, s[0:1]
	v_or_b32_e32 v31, 64, v0
	v_cmp_gt_u32_e32 vcc, s15, v31
	s_and_saveexec_b64 s[0:1], vcc
	s_cbranch_execz .LBB519_64
; %bb.63:
	s_waitcnt lgkmcnt(14)
	global_store_short v[10:11], v30, off offset:128
.LBB519_64:
	s_or_b64 exec, exec, s[0:1]
	s_waitcnt lgkmcnt(14)
	v_or_b32_e32 v30, 0x80, v0
	v_cmp_gt_u32_e32 vcc, s15, v30
	s_and_saveexec_b64 s[0:1], vcc
	s_cbranch_execz .LBB519_66
; %bb.65:
	global_store_short v[10:11], v29, off offset:256
.LBB519_66:
	s_or_b64 exec, exec, s[0:1]
	v_or_b32_e32 v29, 0xc0, v0
	v_cmp_gt_u32_e32 vcc, s15, v29
	s_and_saveexec_b64 s[0:1], vcc
	s_cbranch_execz .LBB519_68
; %bb.67:
	s_waitcnt lgkmcnt(13)
	global_store_short v[10:11], v28, off offset:384
.LBB519_68:
	s_or_b64 exec, exec, s[0:1]
	s_waitcnt lgkmcnt(13)
	v_or_b32_e32 v28, 0x100, v0
	v_cmp_gt_u32_e32 vcc, s15, v28
	s_and_saveexec_b64 s[0:1], vcc
	s_cbranch_execz .LBB519_70
; %bb.69:
	s_waitcnt lgkmcnt(12)
	global_store_short v[10:11], v27, off offset:512
.LBB519_70:
	s_or_b64 exec, exec, s[0:1]
	s_waitcnt lgkmcnt(12)
	;; [unrolled: 10-line block ×12, first 2 shown]
	v_or_b32_e32 v16, 0x3c0, v0
	v_cmp_gt_u32_e32 vcc, s15, v16
	s_and_saveexec_b64 s[0:1], vcc
	s_cbranch_execz .LBB519_92
; %bb.91:
	s_waitcnt lgkmcnt(1)
	global_store_short v[10:11], v15, off offset:1920
.LBB519_92:
	s_or_b64 exec, exec, s[0:1]
	v_or_b32_e32 v0, 0x400, v0
	v_cmp_gt_u32_e64 s[0:1], s15, v0
	s_branch .LBB519_95
.LBB519_93:
	s_mov_b64 s[0:1], 0
                                        ; implicit-def: $vgpr14
                                        ; implicit-def: $vgpr10_vgpr11
	s_cbranch_execz .LBB519_95
; %bb.94:
	s_mov_b32 s5, 0
	s_lshl_b64 s[2:3], s[4:5], 1
	v_sub_u32_e32 v0, v12, v13
	s_add_u32 s2, s6, s2
	ds_write_b16 v12, v19
	ds_write_b128 v12, v[6:9] offset:2
	ds_write_b128 v12, v[2:5] offset:18
	s_waitcnt lgkmcnt(0)
	; wave barrier
	s_waitcnt lgkmcnt(0)
	ds_read_u16 v2, v0
	ds_read_u16 v3, v0 offset:128
	ds_read_u16 v4, v0 offset:256
	ds_read_u16 v5, v0 offset:384
	ds_read_u16 v6, v0 offset:512
	ds_read_u16 v7, v0 offset:640
	ds_read_u16 v8, v0 offset:768
	ds_read_u16 v9, v0 offset:896
	ds_read_u16 v12, v0 offset:1024
	ds_read_u16 v13, v0 offset:1152
	ds_read_u16 v15, v0 offset:1280
	ds_read_u16 v16, v0 offset:1408
	ds_read_u16 v17, v0 offset:1536
	ds_read_u16 v18, v0 offset:1664
	ds_read_u16 v19, v0 offset:1792
	s_waitcnt vmcnt(0)
	ds_read_u16 v20, v0 offset:1920
	ds_read_u16 v14, v0 offset:2048
	s_addc_u32 s3, s7, s3
	v_mov_b32_e32 v0, s3
	v_add_co_u32_e32 v10, vcc, s2, v1
	v_addc_co_u32_e32 v11, vcc, 0, v0, vcc
	s_or_b64 s[0:1], s[0:1], exec
	s_waitcnt lgkmcnt(14)
	global_store_short v1, v2, s[2:3]
	global_store_short v1, v3, s[2:3] offset:128
	global_store_short v1, v4, s[2:3] offset:256
	s_waitcnt lgkmcnt(13)
	global_store_short v1, v5, s[2:3] offset:384
	s_waitcnt lgkmcnt(12)
	;; [unrolled: 2-line block ×13, first 2 shown]
	global_store_short v1, v20, s[2:3] offset:1920
.LBB519_95:
	s_and_saveexec_b64 s[2:3], s[0:1]
	s_cbranch_execnz .LBB519_97
; %bb.96:
	s_endpgm
.LBB519_97:
	s_waitcnt lgkmcnt(0)
	global_store_short v[10:11], v14, off offset:2048
	s_endpgm
	.section	.rodata,"a",@progbits
	.p2align	6, 0x0
	.amdhsa_kernel _ZN7rocprim17ROCPRIM_400000_NS6detail17trampoline_kernelINS0_14default_configENS1_35adjacent_difference_config_selectorILb0EsEEZNS1_24adjacent_difference_implIS3_Lb0ELb0EPKsPsN6thrust23THRUST_200600_302600_NS4plusIsEEEE10hipError_tPvRmT2_T3_mT4_P12ihipStream_tbEUlT_E_NS1_11comp_targetILNS1_3genE4ELNS1_11target_archE910ELNS1_3gpuE8ELNS1_3repE0EEENS1_30default_config_static_selectorELNS0_4arch9wavefront6targetE1EEEvT1_
		.amdhsa_group_segment_fixed_size 2176
		.amdhsa_private_segment_fixed_size 0
		.amdhsa_kernarg_size 56
		.amdhsa_user_sgpr_count 6
		.amdhsa_user_sgpr_private_segment_buffer 1
		.amdhsa_user_sgpr_dispatch_ptr 0
		.amdhsa_user_sgpr_queue_ptr 0
		.amdhsa_user_sgpr_kernarg_segment_ptr 1
		.amdhsa_user_sgpr_dispatch_id 0
		.amdhsa_user_sgpr_flat_scratch_init 0
		.amdhsa_user_sgpr_kernarg_preload_length 0
		.amdhsa_user_sgpr_kernarg_preload_offset 0
		.amdhsa_user_sgpr_private_segment_size 0
		.amdhsa_uses_dynamic_stack 0
		.amdhsa_system_sgpr_private_segment_wavefront_offset 0
		.amdhsa_system_sgpr_workgroup_id_x 1
		.amdhsa_system_sgpr_workgroup_id_y 0
		.amdhsa_system_sgpr_workgroup_id_z 0
		.amdhsa_system_sgpr_workgroup_info 0
		.amdhsa_system_vgpr_workitem_id 0
		.amdhsa_next_free_vgpr 32
		.amdhsa_next_free_sgpr 23
		.amdhsa_accum_offset 32
		.amdhsa_reserve_vcc 1
		.amdhsa_reserve_flat_scratch 0
		.amdhsa_float_round_mode_32 0
		.amdhsa_float_round_mode_16_64 0
		.amdhsa_float_denorm_mode_32 3
		.amdhsa_float_denorm_mode_16_64 3
		.amdhsa_dx10_clamp 1
		.amdhsa_ieee_mode 1
		.amdhsa_fp16_overflow 0
		.amdhsa_tg_split 0
		.amdhsa_exception_fp_ieee_invalid_op 0
		.amdhsa_exception_fp_denorm_src 0
		.amdhsa_exception_fp_ieee_div_zero 0
		.amdhsa_exception_fp_ieee_overflow 0
		.amdhsa_exception_fp_ieee_underflow 0
		.amdhsa_exception_fp_ieee_inexact 0
		.amdhsa_exception_int_div_zero 0
	.end_amdhsa_kernel
	.section	.text._ZN7rocprim17ROCPRIM_400000_NS6detail17trampoline_kernelINS0_14default_configENS1_35adjacent_difference_config_selectorILb0EsEEZNS1_24adjacent_difference_implIS3_Lb0ELb0EPKsPsN6thrust23THRUST_200600_302600_NS4plusIsEEEE10hipError_tPvRmT2_T3_mT4_P12ihipStream_tbEUlT_E_NS1_11comp_targetILNS1_3genE4ELNS1_11target_archE910ELNS1_3gpuE8ELNS1_3repE0EEENS1_30default_config_static_selectorELNS0_4arch9wavefront6targetE1EEEvT1_,"axG",@progbits,_ZN7rocprim17ROCPRIM_400000_NS6detail17trampoline_kernelINS0_14default_configENS1_35adjacent_difference_config_selectorILb0EsEEZNS1_24adjacent_difference_implIS3_Lb0ELb0EPKsPsN6thrust23THRUST_200600_302600_NS4plusIsEEEE10hipError_tPvRmT2_T3_mT4_P12ihipStream_tbEUlT_E_NS1_11comp_targetILNS1_3genE4ELNS1_11target_archE910ELNS1_3gpuE8ELNS1_3repE0EEENS1_30default_config_static_selectorELNS0_4arch9wavefront6targetE1EEEvT1_,comdat
.Lfunc_end519:
	.size	_ZN7rocprim17ROCPRIM_400000_NS6detail17trampoline_kernelINS0_14default_configENS1_35adjacent_difference_config_selectorILb0EsEEZNS1_24adjacent_difference_implIS3_Lb0ELb0EPKsPsN6thrust23THRUST_200600_302600_NS4plusIsEEEE10hipError_tPvRmT2_T3_mT4_P12ihipStream_tbEUlT_E_NS1_11comp_targetILNS1_3genE4ELNS1_11target_archE910ELNS1_3gpuE8ELNS1_3repE0EEENS1_30default_config_static_selectorELNS0_4arch9wavefront6targetE1EEEvT1_, .Lfunc_end519-_ZN7rocprim17ROCPRIM_400000_NS6detail17trampoline_kernelINS0_14default_configENS1_35adjacent_difference_config_selectorILb0EsEEZNS1_24adjacent_difference_implIS3_Lb0ELb0EPKsPsN6thrust23THRUST_200600_302600_NS4plusIsEEEE10hipError_tPvRmT2_T3_mT4_P12ihipStream_tbEUlT_E_NS1_11comp_targetILNS1_3genE4ELNS1_11target_archE910ELNS1_3gpuE8ELNS1_3repE0EEENS1_30default_config_static_selectorELNS0_4arch9wavefront6targetE1EEEvT1_
                                        ; -- End function
	.section	.AMDGPU.csdata,"",@progbits
; Kernel info:
; codeLenInByte = 4204
; NumSgprs: 27
; NumVgprs: 32
; NumAgprs: 0
; TotalNumVgprs: 32
; ScratchSize: 0
; MemoryBound: 0
; FloatMode: 240
; IeeeMode: 1
; LDSByteSize: 2176 bytes/workgroup (compile time only)
; SGPRBlocks: 3
; VGPRBlocks: 3
; NumSGPRsForWavesPerEU: 27
; NumVGPRsForWavesPerEU: 32
; AccumOffset: 32
; Occupancy: 8
; WaveLimiterHint : 1
; COMPUTE_PGM_RSRC2:SCRATCH_EN: 0
; COMPUTE_PGM_RSRC2:USER_SGPR: 6
; COMPUTE_PGM_RSRC2:TRAP_HANDLER: 0
; COMPUTE_PGM_RSRC2:TGID_X_EN: 1
; COMPUTE_PGM_RSRC2:TGID_Y_EN: 0
; COMPUTE_PGM_RSRC2:TGID_Z_EN: 0
; COMPUTE_PGM_RSRC2:TIDIG_COMP_CNT: 0
; COMPUTE_PGM_RSRC3_GFX90A:ACCUM_OFFSET: 7
; COMPUTE_PGM_RSRC3_GFX90A:TG_SPLIT: 0
	.section	.text._ZN7rocprim17ROCPRIM_400000_NS6detail17trampoline_kernelINS0_14default_configENS1_35adjacent_difference_config_selectorILb0EsEEZNS1_24adjacent_difference_implIS3_Lb0ELb0EPKsPsN6thrust23THRUST_200600_302600_NS4plusIsEEEE10hipError_tPvRmT2_T3_mT4_P12ihipStream_tbEUlT_E_NS1_11comp_targetILNS1_3genE3ELNS1_11target_archE908ELNS1_3gpuE7ELNS1_3repE0EEENS1_30default_config_static_selectorELNS0_4arch9wavefront6targetE1EEEvT1_,"axG",@progbits,_ZN7rocprim17ROCPRIM_400000_NS6detail17trampoline_kernelINS0_14default_configENS1_35adjacent_difference_config_selectorILb0EsEEZNS1_24adjacent_difference_implIS3_Lb0ELb0EPKsPsN6thrust23THRUST_200600_302600_NS4plusIsEEEE10hipError_tPvRmT2_T3_mT4_P12ihipStream_tbEUlT_E_NS1_11comp_targetILNS1_3genE3ELNS1_11target_archE908ELNS1_3gpuE7ELNS1_3repE0EEENS1_30default_config_static_selectorELNS0_4arch9wavefront6targetE1EEEvT1_,comdat
	.protected	_ZN7rocprim17ROCPRIM_400000_NS6detail17trampoline_kernelINS0_14default_configENS1_35adjacent_difference_config_selectorILb0EsEEZNS1_24adjacent_difference_implIS3_Lb0ELb0EPKsPsN6thrust23THRUST_200600_302600_NS4plusIsEEEE10hipError_tPvRmT2_T3_mT4_P12ihipStream_tbEUlT_E_NS1_11comp_targetILNS1_3genE3ELNS1_11target_archE908ELNS1_3gpuE7ELNS1_3repE0EEENS1_30default_config_static_selectorELNS0_4arch9wavefront6targetE1EEEvT1_ ; -- Begin function _ZN7rocprim17ROCPRIM_400000_NS6detail17trampoline_kernelINS0_14default_configENS1_35adjacent_difference_config_selectorILb0EsEEZNS1_24adjacent_difference_implIS3_Lb0ELb0EPKsPsN6thrust23THRUST_200600_302600_NS4plusIsEEEE10hipError_tPvRmT2_T3_mT4_P12ihipStream_tbEUlT_E_NS1_11comp_targetILNS1_3genE3ELNS1_11target_archE908ELNS1_3gpuE7ELNS1_3repE0EEENS1_30default_config_static_selectorELNS0_4arch9wavefront6targetE1EEEvT1_
	.globl	_ZN7rocprim17ROCPRIM_400000_NS6detail17trampoline_kernelINS0_14default_configENS1_35adjacent_difference_config_selectorILb0EsEEZNS1_24adjacent_difference_implIS3_Lb0ELb0EPKsPsN6thrust23THRUST_200600_302600_NS4plusIsEEEE10hipError_tPvRmT2_T3_mT4_P12ihipStream_tbEUlT_E_NS1_11comp_targetILNS1_3genE3ELNS1_11target_archE908ELNS1_3gpuE7ELNS1_3repE0EEENS1_30default_config_static_selectorELNS0_4arch9wavefront6targetE1EEEvT1_
	.p2align	8
	.type	_ZN7rocprim17ROCPRIM_400000_NS6detail17trampoline_kernelINS0_14default_configENS1_35adjacent_difference_config_selectorILb0EsEEZNS1_24adjacent_difference_implIS3_Lb0ELb0EPKsPsN6thrust23THRUST_200600_302600_NS4plusIsEEEE10hipError_tPvRmT2_T3_mT4_P12ihipStream_tbEUlT_E_NS1_11comp_targetILNS1_3genE3ELNS1_11target_archE908ELNS1_3gpuE7ELNS1_3repE0EEENS1_30default_config_static_selectorELNS0_4arch9wavefront6targetE1EEEvT1_,@function
_ZN7rocprim17ROCPRIM_400000_NS6detail17trampoline_kernelINS0_14default_configENS1_35adjacent_difference_config_selectorILb0EsEEZNS1_24adjacent_difference_implIS3_Lb0ELb0EPKsPsN6thrust23THRUST_200600_302600_NS4plusIsEEEE10hipError_tPvRmT2_T3_mT4_P12ihipStream_tbEUlT_E_NS1_11comp_targetILNS1_3genE3ELNS1_11target_archE908ELNS1_3gpuE7ELNS1_3repE0EEENS1_30default_config_static_selectorELNS0_4arch9wavefront6targetE1EEEvT1_: ; @_ZN7rocprim17ROCPRIM_400000_NS6detail17trampoline_kernelINS0_14default_configENS1_35adjacent_difference_config_selectorILb0EsEEZNS1_24adjacent_difference_implIS3_Lb0ELb0EPKsPsN6thrust23THRUST_200600_302600_NS4plusIsEEEE10hipError_tPvRmT2_T3_mT4_P12ihipStream_tbEUlT_E_NS1_11comp_targetILNS1_3genE3ELNS1_11target_archE908ELNS1_3gpuE7ELNS1_3repE0EEENS1_30default_config_static_selectorELNS0_4arch9wavefront6targetE1EEEvT1_
; %bb.0:
	.section	.rodata,"a",@progbits
	.p2align	6, 0x0
	.amdhsa_kernel _ZN7rocprim17ROCPRIM_400000_NS6detail17trampoline_kernelINS0_14default_configENS1_35adjacent_difference_config_selectorILb0EsEEZNS1_24adjacent_difference_implIS3_Lb0ELb0EPKsPsN6thrust23THRUST_200600_302600_NS4plusIsEEEE10hipError_tPvRmT2_T3_mT4_P12ihipStream_tbEUlT_E_NS1_11comp_targetILNS1_3genE3ELNS1_11target_archE908ELNS1_3gpuE7ELNS1_3repE0EEENS1_30default_config_static_selectorELNS0_4arch9wavefront6targetE1EEEvT1_
		.amdhsa_group_segment_fixed_size 0
		.amdhsa_private_segment_fixed_size 0
		.amdhsa_kernarg_size 56
		.amdhsa_user_sgpr_count 6
		.amdhsa_user_sgpr_private_segment_buffer 1
		.amdhsa_user_sgpr_dispatch_ptr 0
		.amdhsa_user_sgpr_queue_ptr 0
		.amdhsa_user_sgpr_kernarg_segment_ptr 1
		.amdhsa_user_sgpr_dispatch_id 0
		.amdhsa_user_sgpr_flat_scratch_init 0
		.amdhsa_user_sgpr_kernarg_preload_length 0
		.amdhsa_user_sgpr_kernarg_preload_offset 0
		.amdhsa_user_sgpr_private_segment_size 0
		.amdhsa_uses_dynamic_stack 0
		.amdhsa_system_sgpr_private_segment_wavefront_offset 0
		.amdhsa_system_sgpr_workgroup_id_x 1
		.amdhsa_system_sgpr_workgroup_id_y 0
		.amdhsa_system_sgpr_workgroup_id_z 0
		.amdhsa_system_sgpr_workgroup_info 0
		.amdhsa_system_vgpr_workitem_id 0
		.amdhsa_next_free_vgpr 1
		.amdhsa_next_free_sgpr 0
		.amdhsa_accum_offset 4
		.amdhsa_reserve_vcc 0
		.amdhsa_reserve_flat_scratch 0
		.amdhsa_float_round_mode_32 0
		.amdhsa_float_round_mode_16_64 0
		.amdhsa_float_denorm_mode_32 3
		.amdhsa_float_denorm_mode_16_64 3
		.amdhsa_dx10_clamp 1
		.amdhsa_ieee_mode 1
		.amdhsa_fp16_overflow 0
		.amdhsa_tg_split 0
		.amdhsa_exception_fp_ieee_invalid_op 0
		.amdhsa_exception_fp_denorm_src 0
		.amdhsa_exception_fp_ieee_div_zero 0
		.amdhsa_exception_fp_ieee_overflow 0
		.amdhsa_exception_fp_ieee_underflow 0
		.amdhsa_exception_fp_ieee_inexact 0
		.amdhsa_exception_int_div_zero 0
	.end_amdhsa_kernel
	.section	.text._ZN7rocprim17ROCPRIM_400000_NS6detail17trampoline_kernelINS0_14default_configENS1_35adjacent_difference_config_selectorILb0EsEEZNS1_24adjacent_difference_implIS3_Lb0ELb0EPKsPsN6thrust23THRUST_200600_302600_NS4plusIsEEEE10hipError_tPvRmT2_T3_mT4_P12ihipStream_tbEUlT_E_NS1_11comp_targetILNS1_3genE3ELNS1_11target_archE908ELNS1_3gpuE7ELNS1_3repE0EEENS1_30default_config_static_selectorELNS0_4arch9wavefront6targetE1EEEvT1_,"axG",@progbits,_ZN7rocprim17ROCPRIM_400000_NS6detail17trampoline_kernelINS0_14default_configENS1_35adjacent_difference_config_selectorILb0EsEEZNS1_24adjacent_difference_implIS3_Lb0ELb0EPKsPsN6thrust23THRUST_200600_302600_NS4plusIsEEEE10hipError_tPvRmT2_T3_mT4_P12ihipStream_tbEUlT_E_NS1_11comp_targetILNS1_3genE3ELNS1_11target_archE908ELNS1_3gpuE7ELNS1_3repE0EEENS1_30default_config_static_selectorELNS0_4arch9wavefront6targetE1EEEvT1_,comdat
.Lfunc_end520:
	.size	_ZN7rocprim17ROCPRIM_400000_NS6detail17trampoline_kernelINS0_14default_configENS1_35adjacent_difference_config_selectorILb0EsEEZNS1_24adjacent_difference_implIS3_Lb0ELb0EPKsPsN6thrust23THRUST_200600_302600_NS4plusIsEEEE10hipError_tPvRmT2_T3_mT4_P12ihipStream_tbEUlT_E_NS1_11comp_targetILNS1_3genE3ELNS1_11target_archE908ELNS1_3gpuE7ELNS1_3repE0EEENS1_30default_config_static_selectorELNS0_4arch9wavefront6targetE1EEEvT1_, .Lfunc_end520-_ZN7rocprim17ROCPRIM_400000_NS6detail17trampoline_kernelINS0_14default_configENS1_35adjacent_difference_config_selectorILb0EsEEZNS1_24adjacent_difference_implIS3_Lb0ELb0EPKsPsN6thrust23THRUST_200600_302600_NS4plusIsEEEE10hipError_tPvRmT2_T3_mT4_P12ihipStream_tbEUlT_E_NS1_11comp_targetILNS1_3genE3ELNS1_11target_archE908ELNS1_3gpuE7ELNS1_3repE0EEENS1_30default_config_static_selectorELNS0_4arch9wavefront6targetE1EEEvT1_
                                        ; -- End function
	.section	.AMDGPU.csdata,"",@progbits
; Kernel info:
; codeLenInByte = 0
; NumSgprs: 4
; NumVgprs: 0
; NumAgprs: 0
; TotalNumVgprs: 0
; ScratchSize: 0
; MemoryBound: 0
; FloatMode: 240
; IeeeMode: 1
; LDSByteSize: 0 bytes/workgroup (compile time only)
; SGPRBlocks: 0
; VGPRBlocks: 0
; NumSGPRsForWavesPerEU: 4
; NumVGPRsForWavesPerEU: 1
; AccumOffset: 4
; Occupancy: 8
; WaveLimiterHint : 0
; COMPUTE_PGM_RSRC2:SCRATCH_EN: 0
; COMPUTE_PGM_RSRC2:USER_SGPR: 6
; COMPUTE_PGM_RSRC2:TRAP_HANDLER: 0
; COMPUTE_PGM_RSRC2:TGID_X_EN: 1
; COMPUTE_PGM_RSRC2:TGID_Y_EN: 0
; COMPUTE_PGM_RSRC2:TGID_Z_EN: 0
; COMPUTE_PGM_RSRC2:TIDIG_COMP_CNT: 0
; COMPUTE_PGM_RSRC3_GFX90A:ACCUM_OFFSET: 0
; COMPUTE_PGM_RSRC3_GFX90A:TG_SPLIT: 0
	.section	.text._ZN7rocprim17ROCPRIM_400000_NS6detail17trampoline_kernelINS0_14default_configENS1_35adjacent_difference_config_selectorILb0EsEEZNS1_24adjacent_difference_implIS3_Lb0ELb0EPKsPsN6thrust23THRUST_200600_302600_NS4plusIsEEEE10hipError_tPvRmT2_T3_mT4_P12ihipStream_tbEUlT_E_NS1_11comp_targetILNS1_3genE2ELNS1_11target_archE906ELNS1_3gpuE6ELNS1_3repE0EEENS1_30default_config_static_selectorELNS0_4arch9wavefront6targetE1EEEvT1_,"axG",@progbits,_ZN7rocprim17ROCPRIM_400000_NS6detail17trampoline_kernelINS0_14default_configENS1_35adjacent_difference_config_selectorILb0EsEEZNS1_24adjacent_difference_implIS3_Lb0ELb0EPKsPsN6thrust23THRUST_200600_302600_NS4plusIsEEEE10hipError_tPvRmT2_T3_mT4_P12ihipStream_tbEUlT_E_NS1_11comp_targetILNS1_3genE2ELNS1_11target_archE906ELNS1_3gpuE6ELNS1_3repE0EEENS1_30default_config_static_selectorELNS0_4arch9wavefront6targetE1EEEvT1_,comdat
	.protected	_ZN7rocprim17ROCPRIM_400000_NS6detail17trampoline_kernelINS0_14default_configENS1_35adjacent_difference_config_selectorILb0EsEEZNS1_24adjacent_difference_implIS3_Lb0ELb0EPKsPsN6thrust23THRUST_200600_302600_NS4plusIsEEEE10hipError_tPvRmT2_T3_mT4_P12ihipStream_tbEUlT_E_NS1_11comp_targetILNS1_3genE2ELNS1_11target_archE906ELNS1_3gpuE6ELNS1_3repE0EEENS1_30default_config_static_selectorELNS0_4arch9wavefront6targetE1EEEvT1_ ; -- Begin function _ZN7rocprim17ROCPRIM_400000_NS6detail17trampoline_kernelINS0_14default_configENS1_35adjacent_difference_config_selectorILb0EsEEZNS1_24adjacent_difference_implIS3_Lb0ELb0EPKsPsN6thrust23THRUST_200600_302600_NS4plusIsEEEE10hipError_tPvRmT2_T3_mT4_P12ihipStream_tbEUlT_E_NS1_11comp_targetILNS1_3genE2ELNS1_11target_archE906ELNS1_3gpuE6ELNS1_3repE0EEENS1_30default_config_static_selectorELNS0_4arch9wavefront6targetE1EEEvT1_
	.globl	_ZN7rocprim17ROCPRIM_400000_NS6detail17trampoline_kernelINS0_14default_configENS1_35adjacent_difference_config_selectorILb0EsEEZNS1_24adjacent_difference_implIS3_Lb0ELb0EPKsPsN6thrust23THRUST_200600_302600_NS4plusIsEEEE10hipError_tPvRmT2_T3_mT4_P12ihipStream_tbEUlT_E_NS1_11comp_targetILNS1_3genE2ELNS1_11target_archE906ELNS1_3gpuE6ELNS1_3repE0EEENS1_30default_config_static_selectorELNS0_4arch9wavefront6targetE1EEEvT1_
	.p2align	8
	.type	_ZN7rocprim17ROCPRIM_400000_NS6detail17trampoline_kernelINS0_14default_configENS1_35adjacent_difference_config_selectorILb0EsEEZNS1_24adjacent_difference_implIS3_Lb0ELb0EPKsPsN6thrust23THRUST_200600_302600_NS4plusIsEEEE10hipError_tPvRmT2_T3_mT4_P12ihipStream_tbEUlT_E_NS1_11comp_targetILNS1_3genE2ELNS1_11target_archE906ELNS1_3gpuE6ELNS1_3repE0EEENS1_30default_config_static_selectorELNS0_4arch9wavefront6targetE1EEEvT1_,@function
_ZN7rocprim17ROCPRIM_400000_NS6detail17trampoline_kernelINS0_14default_configENS1_35adjacent_difference_config_selectorILb0EsEEZNS1_24adjacent_difference_implIS3_Lb0ELb0EPKsPsN6thrust23THRUST_200600_302600_NS4plusIsEEEE10hipError_tPvRmT2_T3_mT4_P12ihipStream_tbEUlT_E_NS1_11comp_targetILNS1_3genE2ELNS1_11target_archE906ELNS1_3gpuE6ELNS1_3repE0EEENS1_30default_config_static_selectorELNS0_4arch9wavefront6targetE1EEEvT1_: ; @_ZN7rocprim17ROCPRIM_400000_NS6detail17trampoline_kernelINS0_14default_configENS1_35adjacent_difference_config_selectorILb0EsEEZNS1_24adjacent_difference_implIS3_Lb0ELb0EPKsPsN6thrust23THRUST_200600_302600_NS4plusIsEEEE10hipError_tPvRmT2_T3_mT4_P12ihipStream_tbEUlT_E_NS1_11comp_targetILNS1_3genE2ELNS1_11target_archE906ELNS1_3gpuE6ELNS1_3repE0EEENS1_30default_config_static_selectorELNS0_4arch9wavefront6targetE1EEEvT1_
; %bb.0:
	.section	.rodata,"a",@progbits
	.p2align	6, 0x0
	.amdhsa_kernel _ZN7rocprim17ROCPRIM_400000_NS6detail17trampoline_kernelINS0_14default_configENS1_35adjacent_difference_config_selectorILb0EsEEZNS1_24adjacent_difference_implIS3_Lb0ELb0EPKsPsN6thrust23THRUST_200600_302600_NS4plusIsEEEE10hipError_tPvRmT2_T3_mT4_P12ihipStream_tbEUlT_E_NS1_11comp_targetILNS1_3genE2ELNS1_11target_archE906ELNS1_3gpuE6ELNS1_3repE0EEENS1_30default_config_static_selectorELNS0_4arch9wavefront6targetE1EEEvT1_
		.amdhsa_group_segment_fixed_size 0
		.amdhsa_private_segment_fixed_size 0
		.amdhsa_kernarg_size 56
		.amdhsa_user_sgpr_count 6
		.amdhsa_user_sgpr_private_segment_buffer 1
		.amdhsa_user_sgpr_dispatch_ptr 0
		.amdhsa_user_sgpr_queue_ptr 0
		.amdhsa_user_sgpr_kernarg_segment_ptr 1
		.amdhsa_user_sgpr_dispatch_id 0
		.amdhsa_user_sgpr_flat_scratch_init 0
		.amdhsa_user_sgpr_kernarg_preload_length 0
		.amdhsa_user_sgpr_kernarg_preload_offset 0
		.amdhsa_user_sgpr_private_segment_size 0
		.amdhsa_uses_dynamic_stack 0
		.amdhsa_system_sgpr_private_segment_wavefront_offset 0
		.amdhsa_system_sgpr_workgroup_id_x 1
		.amdhsa_system_sgpr_workgroup_id_y 0
		.amdhsa_system_sgpr_workgroup_id_z 0
		.amdhsa_system_sgpr_workgroup_info 0
		.amdhsa_system_vgpr_workitem_id 0
		.amdhsa_next_free_vgpr 1
		.amdhsa_next_free_sgpr 0
		.amdhsa_accum_offset 4
		.amdhsa_reserve_vcc 0
		.amdhsa_reserve_flat_scratch 0
		.amdhsa_float_round_mode_32 0
		.amdhsa_float_round_mode_16_64 0
		.amdhsa_float_denorm_mode_32 3
		.amdhsa_float_denorm_mode_16_64 3
		.amdhsa_dx10_clamp 1
		.amdhsa_ieee_mode 1
		.amdhsa_fp16_overflow 0
		.amdhsa_tg_split 0
		.amdhsa_exception_fp_ieee_invalid_op 0
		.amdhsa_exception_fp_denorm_src 0
		.amdhsa_exception_fp_ieee_div_zero 0
		.amdhsa_exception_fp_ieee_overflow 0
		.amdhsa_exception_fp_ieee_underflow 0
		.amdhsa_exception_fp_ieee_inexact 0
		.amdhsa_exception_int_div_zero 0
	.end_amdhsa_kernel
	.section	.text._ZN7rocprim17ROCPRIM_400000_NS6detail17trampoline_kernelINS0_14default_configENS1_35adjacent_difference_config_selectorILb0EsEEZNS1_24adjacent_difference_implIS3_Lb0ELb0EPKsPsN6thrust23THRUST_200600_302600_NS4plusIsEEEE10hipError_tPvRmT2_T3_mT4_P12ihipStream_tbEUlT_E_NS1_11comp_targetILNS1_3genE2ELNS1_11target_archE906ELNS1_3gpuE6ELNS1_3repE0EEENS1_30default_config_static_selectorELNS0_4arch9wavefront6targetE1EEEvT1_,"axG",@progbits,_ZN7rocprim17ROCPRIM_400000_NS6detail17trampoline_kernelINS0_14default_configENS1_35adjacent_difference_config_selectorILb0EsEEZNS1_24adjacent_difference_implIS3_Lb0ELb0EPKsPsN6thrust23THRUST_200600_302600_NS4plusIsEEEE10hipError_tPvRmT2_T3_mT4_P12ihipStream_tbEUlT_E_NS1_11comp_targetILNS1_3genE2ELNS1_11target_archE906ELNS1_3gpuE6ELNS1_3repE0EEENS1_30default_config_static_selectorELNS0_4arch9wavefront6targetE1EEEvT1_,comdat
.Lfunc_end521:
	.size	_ZN7rocprim17ROCPRIM_400000_NS6detail17trampoline_kernelINS0_14default_configENS1_35adjacent_difference_config_selectorILb0EsEEZNS1_24adjacent_difference_implIS3_Lb0ELb0EPKsPsN6thrust23THRUST_200600_302600_NS4plusIsEEEE10hipError_tPvRmT2_T3_mT4_P12ihipStream_tbEUlT_E_NS1_11comp_targetILNS1_3genE2ELNS1_11target_archE906ELNS1_3gpuE6ELNS1_3repE0EEENS1_30default_config_static_selectorELNS0_4arch9wavefront6targetE1EEEvT1_, .Lfunc_end521-_ZN7rocprim17ROCPRIM_400000_NS6detail17trampoline_kernelINS0_14default_configENS1_35adjacent_difference_config_selectorILb0EsEEZNS1_24adjacent_difference_implIS3_Lb0ELb0EPKsPsN6thrust23THRUST_200600_302600_NS4plusIsEEEE10hipError_tPvRmT2_T3_mT4_P12ihipStream_tbEUlT_E_NS1_11comp_targetILNS1_3genE2ELNS1_11target_archE906ELNS1_3gpuE6ELNS1_3repE0EEENS1_30default_config_static_selectorELNS0_4arch9wavefront6targetE1EEEvT1_
                                        ; -- End function
	.section	.AMDGPU.csdata,"",@progbits
; Kernel info:
; codeLenInByte = 0
; NumSgprs: 4
; NumVgprs: 0
; NumAgprs: 0
; TotalNumVgprs: 0
; ScratchSize: 0
; MemoryBound: 0
; FloatMode: 240
; IeeeMode: 1
; LDSByteSize: 0 bytes/workgroup (compile time only)
; SGPRBlocks: 0
; VGPRBlocks: 0
; NumSGPRsForWavesPerEU: 4
; NumVGPRsForWavesPerEU: 1
; AccumOffset: 4
; Occupancy: 8
; WaveLimiterHint : 0
; COMPUTE_PGM_RSRC2:SCRATCH_EN: 0
; COMPUTE_PGM_RSRC2:USER_SGPR: 6
; COMPUTE_PGM_RSRC2:TRAP_HANDLER: 0
; COMPUTE_PGM_RSRC2:TGID_X_EN: 1
; COMPUTE_PGM_RSRC2:TGID_Y_EN: 0
; COMPUTE_PGM_RSRC2:TGID_Z_EN: 0
; COMPUTE_PGM_RSRC2:TIDIG_COMP_CNT: 0
; COMPUTE_PGM_RSRC3_GFX90A:ACCUM_OFFSET: 0
; COMPUTE_PGM_RSRC3_GFX90A:TG_SPLIT: 0
	.section	.text._ZN7rocprim17ROCPRIM_400000_NS6detail17trampoline_kernelINS0_14default_configENS1_35adjacent_difference_config_selectorILb0EsEEZNS1_24adjacent_difference_implIS3_Lb0ELb0EPKsPsN6thrust23THRUST_200600_302600_NS4plusIsEEEE10hipError_tPvRmT2_T3_mT4_P12ihipStream_tbEUlT_E_NS1_11comp_targetILNS1_3genE9ELNS1_11target_archE1100ELNS1_3gpuE3ELNS1_3repE0EEENS1_30default_config_static_selectorELNS0_4arch9wavefront6targetE1EEEvT1_,"axG",@progbits,_ZN7rocprim17ROCPRIM_400000_NS6detail17trampoline_kernelINS0_14default_configENS1_35adjacent_difference_config_selectorILb0EsEEZNS1_24adjacent_difference_implIS3_Lb0ELb0EPKsPsN6thrust23THRUST_200600_302600_NS4plusIsEEEE10hipError_tPvRmT2_T3_mT4_P12ihipStream_tbEUlT_E_NS1_11comp_targetILNS1_3genE9ELNS1_11target_archE1100ELNS1_3gpuE3ELNS1_3repE0EEENS1_30default_config_static_selectorELNS0_4arch9wavefront6targetE1EEEvT1_,comdat
	.protected	_ZN7rocprim17ROCPRIM_400000_NS6detail17trampoline_kernelINS0_14default_configENS1_35adjacent_difference_config_selectorILb0EsEEZNS1_24adjacent_difference_implIS3_Lb0ELb0EPKsPsN6thrust23THRUST_200600_302600_NS4plusIsEEEE10hipError_tPvRmT2_T3_mT4_P12ihipStream_tbEUlT_E_NS1_11comp_targetILNS1_3genE9ELNS1_11target_archE1100ELNS1_3gpuE3ELNS1_3repE0EEENS1_30default_config_static_selectorELNS0_4arch9wavefront6targetE1EEEvT1_ ; -- Begin function _ZN7rocprim17ROCPRIM_400000_NS6detail17trampoline_kernelINS0_14default_configENS1_35adjacent_difference_config_selectorILb0EsEEZNS1_24adjacent_difference_implIS3_Lb0ELb0EPKsPsN6thrust23THRUST_200600_302600_NS4plusIsEEEE10hipError_tPvRmT2_T3_mT4_P12ihipStream_tbEUlT_E_NS1_11comp_targetILNS1_3genE9ELNS1_11target_archE1100ELNS1_3gpuE3ELNS1_3repE0EEENS1_30default_config_static_selectorELNS0_4arch9wavefront6targetE1EEEvT1_
	.globl	_ZN7rocprim17ROCPRIM_400000_NS6detail17trampoline_kernelINS0_14default_configENS1_35adjacent_difference_config_selectorILb0EsEEZNS1_24adjacent_difference_implIS3_Lb0ELb0EPKsPsN6thrust23THRUST_200600_302600_NS4plusIsEEEE10hipError_tPvRmT2_T3_mT4_P12ihipStream_tbEUlT_E_NS1_11comp_targetILNS1_3genE9ELNS1_11target_archE1100ELNS1_3gpuE3ELNS1_3repE0EEENS1_30default_config_static_selectorELNS0_4arch9wavefront6targetE1EEEvT1_
	.p2align	8
	.type	_ZN7rocprim17ROCPRIM_400000_NS6detail17trampoline_kernelINS0_14default_configENS1_35adjacent_difference_config_selectorILb0EsEEZNS1_24adjacent_difference_implIS3_Lb0ELb0EPKsPsN6thrust23THRUST_200600_302600_NS4plusIsEEEE10hipError_tPvRmT2_T3_mT4_P12ihipStream_tbEUlT_E_NS1_11comp_targetILNS1_3genE9ELNS1_11target_archE1100ELNS1_3gpuE3ELNS1_3repE0EEENS1_30default_config_static_selectorELNS0_4arch9wavefront6targetE1EEEvT1_,@function
_ZN7rocprim17ROCPRIM_400000_NS6detail17trampoline_kernelINS0_14default_configENS1_35adjacent_difference_config_selectorILb0EsEEZNS1_24adjacent_difference_implIS3_Lb0ELb0EPKsPsN6thrust23THRUST_200600_302600_NS4plusIsEEEE10hipError_tPvRmT2_T3_mT4_P12ihipStream_tbEUlT_E_NS1_11comp_targetILNS1_3genE9ELNS1_11target_archE1100ELNS1_3gpuE3ELNS1_3repE0EEENS1_30default_config_static_selectorELNS0_4arch9wavefront6targetE1EEEvT1_: ; @_ZN7rocprim17ROCPRIM_400000_NS6detail17trampoline_kernelINS0_14default_configENS1_35adjacent_difference_config_selectorILb0EsEEZNS1_24adjacent_difference_implIS3_Lb0ELb0EPKsPsN6thrust23THRUST_200600_302600_NS4plusIsEEEE10hipError_tPvRmT2_T3_mT4_P12ihipStream_tbEUlT_E_NS1_11comp_targetILNS1_3genE9ELNS1_11target_archE1100ELNS1_3gpuE3ELNS1_3repE0EEENS1_30default_config_static_selectorELNS0_4arch9wavefront6targetE1EEEvT1_
; %bb.0:
	.section	.rodata,"a",@progbits
	.p2align	6, 0x0
	.amdhsa_kernel _ZN7rocprim17ROCPRIM_400000_NS6detail17trampoline_kernelINS0_14default_configENS1_35adjacent_difference_config_selectorILb0EsEEZNS1_24adjacent_difference_implIS3_Lb0ELb0EPKsPsN6thrust23THRUST_200600_302600_NS4plusIsEEEE10hipError_tPvRmT2_T3_mT4_P12ihipStream_tbEUlT_E_NS1_11comp_targetILNS1_3genE9ELNS1_11target_archE1100ELNS1_3gpuE3ELNS1_3repE0EEENS1_30default_config_static_selectorELNS0_4arch9wavefront6targetE1EEEvT1_
		.amdhsa_group_segment_fixed_size 0
		.amdhsa_private_segment_fixed_size 0
		.amdhsa_kernarg_size 56
		.amdhsa_user_sgpr_count 6
		.amdhsa_user_sgpr_private_segment_buffer 1
		.amdhsa_user_sgpr_dispatch_ptr 0
		.amdhsa_user_sgpr_queue_ptr 0
		.amdhsa_user_sgpr_kernarg_segment_ptr 1
		.amdhsa_user_sgpr_dispatch_id 0
		.amdhsa_user_sgpr_flat_scratch_init 0
		.amdhsa_user_sgpr_kernarg_preload_length 0
		.amdhsa_user_sgpr_kernarg_preload_offset 0
		.amdhsa_user_sgpr_private_segment_size 0
		.amdhsa_uses_dynamic_stack 0
		.amdhsa_system_sgpr_private_segment_wavefront_offset 0
		.amdhsa_system_sgpr_workgroup_id_x 1
		.amdhsa_system_sgpr_workgroup_id_y 0
		.amdhsa_system_sgpr_workgroup_id_z 0
		.amdhsa_system_sgpr_workgroup_info 0
		.amdhsa_system_vgpr_workitem_id 0
		.amdhsa_next_free_vgpr 1
		.amdhsa_next_free_sgpr 0
		.amdhsa_accum_offset 4
		.amdhsa_reserve_vcc 0
		.amdhsa_reserve_flat_scratch 0
		.amdhsa_float_round_mode_32 0
		.amdhsa_float_round_mode_16_64 0
		.amdhsa_float_denorm_mode_32 3
		.amdhsa_float_denorm_mode_16_64 3
		.amdhsa_dx10_clamp 1
		.amdhsa_ieee_mode 1
		.amdhsa_fp16_overflow 0
		.amdhsa_tg_split 0
		.amdhsa_exception_fp_ieee_invalid_op 0
		.amdhsa_exception_fp_denorm_src 0
		.amdhsa_exception_fp_ieee_div_zero 0
		.amdhsa_exception_fp_ieee_overflow 0
		.amdhsa_exception_fp_ieee_underflow 0
		.amdhsa_exception_fp_ieee_inexact 0
		.amdhsa_exception_int_div_zero 0
	.end_amdhsa_kernel
	.section	.text._ZN7rocprim17ROCPRIM_400000_NS6detail17trampoline_kernelINS0_14default_configENS1_35adjacent_difference_config_selectorILb0EsEEZNS1_24adjacent_difference_implIS3_Lb0ELb0EPKsPsN6thrust23THRUST_200600_302600_NS4plusIsEEEE10hipError_tPvRmT2_T3_mT4_P12ihipStream_tbEUlT_E_NS1_11comp_targetILNS1_3genE9ELNS1_11target_archE1100ELNS1_3gpuE3ELNS1_3repE0EEENS1_30default_config_static_selectorELNS0_4arch9wavefront6targetE1EEEvT1_,"axG",@progbits,_ZN7rocprim17ROCPRIM_400000_NS6detail17trampoline_kernelINS0_14default_configENS1_35adjacent_difference_config_selectorILb0EsEEZNS1_24adjacent_difference_implIS3_Lb0ELb0EPKsPsN6thrust23THRUST_200600_302600_NS4plusIsEEEE10hipError_tPvRmT2_T3_mT4_P12ihipStream_tbEUlT_E_NS1_11comp_targetILNS1_3genE9ELNS1_11target_archE1100ELNS1_3gpuE3ELNS1_3repE0EEENS1_30default_config_static_selectorELNS0_4arch9wavefront6targetE1EEEvT1_,comdat
.Lfunc_end522:
	.size	_ZN7rocprim17ROCPRIM_400000_NS6detail17trampoline_kernelINS0_14default_configENS1_35adjacent_difference_config_selectorILb0EsEEZNS1_24adjacent_difference_implIS3_Lb0ELb0EPKsPsN6thrust23THRUST_200600_302600_NS4plusIsEEEE10hipError_tPvRmT2_T3_mT4_P12ihipStream_tbEUlT_E_NS1_11comp_targetILNS1_3genE9ELNS1_11target_archE1100ELNS1_3gpuE3ELNS1_3repE0EEENS1_30default_config_static_selectorELNS0_4arch9wavefront6targetE1EEEvT1_, .Lfunc_end522-_ZN7rocprim17ROCPRIM_400000_NS6detail17trampoline_kernelINS0_14default_configENS1_35adjacent_difference_config_selectorILb0EsEEZNS1_24adjacent_difference_implIS3_Lb0ELb0EPKsPsN6thrust23THRUST_200600_302600_NS4plusIsEEEE10hipError_tPvRmT2_T3_mT4_P12ihipStream_tbEUlT_E_NS1_11comp_targetILNS1_3genE9ELNS1_11target_archE1100ELNS1_3gpuE3ELNS1_3repE0EEENS1_30default_config_static_selectorELNS0_4arch9wavefront6targetE1EEEvT1_
                                        ; -- End function
	.section	.AMDGPU.csdata,"",@progbits
; Kernel info:
; codeLenInByte = 0
; NumSgprs: 4
; NumVgprs: 0
; NumAgprs: 0
; TotalNumVgprs: 0
; ScratchSize: 0
; MemoryBound: 0
; FloatMode: 240
; IeeeMode: 1
; LDSByteSize: 0 bytes/workgroup (compile time only)
; SGPRBlocks: 0
; VGPRBlocks: 0
; NumSGPRsForWavesPerEU: 4
; NumVGPRsForWavesPerEU: 1
; AccumOffset: 4
; Occupancy: 8
; WaveLimiterHint : 0
; COMPUTE_PGM_RSRC2:SCRATCH_EN: 0
; COMPUTE_PGM_RSRC2:USER_SGPR: 6
; COMPUTE_PGM_RSRC2:TRAP_HANDLER: 0
; COMPUTE_PGM_RSRC2:TGID_X_EN: 1
; COMPUTE_PGM_RSRC2:TGID_Y_EN: 0
; COMPUTE_PGM_RSRC2:TGID_Z_EN: 0
; COMPUTE_PGM_RSRC2:TIDIG_COMP_CNT: 0
; COMPUTE_PGM_RSRC3_GFX90A:ACCUM_OFFSET: 0
; COMPUTE_PGM_RSRC3_GFX90A:TG_SPLIT: 0
	.section	.text._ZN7rocprim17ROCPRIM_400000_NS6detail17trampoline_kernelINS0_14default_configENS1_35adjacent_difference_config_selectorILb0EsEEZNS1_24adjacent_difference_implIS3_Lb0ELb0EPKsPsN6thrust23THRUST_200600_302600_NS4plusIsEEEE10hipError_tPvRmT2_T3_mT4_P12ihipStream_tbEUlT_E_NS1_11comp_targetILNS1_3genE8ELNS1_11target_archE1030ELNS1_3gpuE2ELNS1_3repE0EEENS1_30default_config_static_selectorELNS0_4arch9wavefront6targetE1EEEvT1_,"axG",@progbits,_ZN7rocprim17ROCPRIM_400000_NS6detail17trampoline_kernelINS0_14default_configENS1_35adjacent_difference_config_selectorILb0EsEEZNS1_24adjacent_difference_implIS3_Lb0ELb0EPKsPsN6thrust23THRUST_200600_302600_NS4plusIsEEEE10hipError_tPvRmT2_T3_mT4_P12ihipStream_tbEUlT_E_NS1_11comp_targetILNS1_3genE8ELNS1_11target_archE1030ELNS1_3gpuE2ELNS1_3repE0EEENS1_30default_config_static_selectorELNS0_4arch9wavefront6targetE1EEEvT1_,comdat
	.protected	_ZN7rocprim17ROCPRIM_400000_NS6detail17trampoline_kernelINS0_14default_configENS1_35adjacent_difference_config_selectorILb0EsEEZNS1_24adjacent_difference_implIS3_Lb0ELb0EPKsPsN6thrust23THRUST_200600_302600_NS4plusIsEEEE10hipError_tPvRmT2_T3_mT4_P12ihipStream_tbEUlT_E_NS1_11comp_targetILNS1_3genE8ELNS1_11target_archE1030ELNS1_3gpuE2ELNS1_3repE0EEENS1_30default_config_static_selectorELNS0_4arch9wavefront6targetE1EEEvT1_ ; -- Begin function _ZN7rocprim17ROCPRIM_400000_NS6detail17trampoline_kernelINS0_14default_configENS1_35adjacent_difference_config_selectorILb0EsEEZNS1_24adjacent_difference_implIS3_Lb0ELb0EPKsPsN6thrust23THRUST_200600_302600_NS4plusIsEEEE10hipError_tPvRmT2_T3_mT4_P12ihipStream_tbEUlT_E_NS1_11comp_targetILNS1_3genE8ELNS1_11target_archE1030ELNS1_3gpuE2ELNS1_3repE0EEENS1_30default_config_static_selectorELNS0_4arch9wavefront6targetE1EEEvT1_
	.globl	_ZN7rocprim17ROCPRIM_400000_NS6detail17trampoline_kernelINS0_14default_configENS1_35adjacent_difference_config_selectorILb0EsEEZNS1_24adjacent_difference_implIS3_Lb0ELb0EPKsPsN6thrust23THRUST_200600_302600_NS4plusIsEEEE10hipError_tPvRmT2_T3_mT4_P12ihipStream_tbEUlT_E_NS1_11comp_targetILNS1_3genE8ELNS1_11target_archE1030ELNS1_3gpuE2ELNS1_3repE0EEENS1_30default_config_static_selectorELNS0_4arch9wavefront6targetE1EEEvT1_
	.p2align	8
	.type	_ZN7rocprim17ROCPRIM_400000_NS6detail17trampoline_kernelINS0_14default_configENS1_35adjacent_difference_config_selectorILb0EsEEZNS1_24adjacent_difference_implIS3_Lb0ELb0EPKsPsN6thrust23THRUST_200600_302600_NS4plusIsEEEE10hipError_tPvRmT2_T3_mT4_P12ihipStream_tbEUlT_E_NS1_11comp_targetILNS1_3genE8ELNS1_11target_archE1030ELNS1_3gpuE2ELNS1_3repE0EEENS1_30default_config_static_selectorELNS0_4arch9wavefront6targetE1EEEvT1_,@function
_ZN7rocprim17ROCPRIM_400000_NS6detail17trampoline_kernelINS0_14default_configENS1_35adjacent_difference_config_selectorILb0EsEEZNS1_24adjacent_difference_implIS3_Lb0ELb0EPKsPsN6thrust23THRUST_200600_302600_NS4plusIsEEEE10hipError_tPvRmT2_T3_mT4_P12ihipStream_tbEUlT_E_NS1_11comp_targetILNS1_3genE8ELNS1_11target_archE1030ELNS1_3gpuE2ELNS1_3repE0EEENS1_30default_config_static_selectorELNS0_4arch9wavefront6targetE1EEEvT1_: ; @_ZN7rocprim17ROCPRIM_400000_NS6detail17trampoline_kernelINS0_14default_configENS1_35adjacent_difference_config_selectorILb0EsEEZNS1_24adjacent_difference_implIS3_Lb0ELb0EPKsPsN6thrust23THRUST_200600_302600_NS4plusIsEEEE10hipError_tPvRmT2_T3_mT4_P12ihipStream_tbEUlT_E_NS1_11comp_targetILNS1_3genE8ELNS1_11target_archE1030ELNS1_3gpuE2ELNS1_3repE0EEENS1_30default_config_static_selectorELNS0_4arch9wavefront6targetE1EEEvT1_
; %bb.0:
	.section	.rodata,"a",@progbits
	.p2align	6, 0x0
	.amdhsa_kernel _ZN7rocprim17ROCPRIM_400000_NS6detail17trampoline_kernelINS0_14default_configENS1_35adjacent_difference_config_selectorILb0EsEEZNS1_24adjacent_difference_implIS3_Lb0ELb0EPKsPsN6thrust23THRUST_200600_302600_NS4plusIsEEEE10hipError_tPvRmT2_T3_mT4_P12ihipStream_tbEUlT_E_NS1_11comp_targetILNS1_3genE8ELNS1_11target_archE1030ELNS1_3gpuE2ELNS1_3repE0EEENS1_30default_config_static_selectorELNS0_4arch9wavefront6targetE1EEEvT1_
		.amdhsa_group_segment_fixed_size 0
		.amdhsa_private_segment_fixed_size 0
		.amdhsa_kernarg_size 56
		.amdhsa_user_sgpr_count 6
		.amdhsa_user_sgpr_private_segment_buffer 1
		.amdhsa_user_sgpr_dispatch_ptr 0
		.amdhsa_user_sgpr_queue_ptr 0
		.amdhsa_user_sgpr_kernarg_segment_ptr 1
		.amdhsa_user_sgpr_dispatch_id 0
		.amdhsa_user_sgpr_flat_scratch_init 0
		.amdhsa_user_sgpr_kernarg_preload_length 0
		.amdhsa_user_sgpr_kernarg_preload_offset 0
		.amdhsa_user_sgpr_private_segment_size 0
		.amdhsa_uses_dynamic_stack 0
		.amdhsa_system_sgpr_private_segment_wavefront_offset 0
		.amdhsa_system_sgpr_workgroup_id_x 1
		.amdhsa_system_sgpr_workgroup_id_y 0
		.amdhsa_system_sgpr_workgroup_id_z 0
		.amdhsa_system_sgpr_workgroup_info 0
		.amdhsa_system_vgpr_workitem_id 0
		.amdhsa_next_free_vgpr 1
		.amdhsa_next_free_sgpr 0
		.amdhsa_accum_offset 4
		.amdhsa_reserve_vcc 0
		.amdhsa_reserve_flat_scratch 0
		.amdhsa_float_round_mode_32 0
		.amdhsa_float_round_mode_16_64 0
		.amdhsa_float_denorm_mode_32 3
		.amdhsa_float_denorm_mode_16_64 3
		.amdhsa_dx10_clamp 1
		.amdhsa_ieee_mode 1
		.amdhsa_fp16_overflow 0
		.amdhsa_tg_split 0
		.amdhsa_exception_fp_ieee_invalid_op 0
		.amdhsa_exception_fp_denorm_src 0
		.amdhsa_exception_fp_ieee_div_zero 0
		.amdhsa_exception_fp_ieee_overflow 0
		.amdhsa_exception_fp_ieee_underflow 0
		.amdhsa_exception_fp_ieee_inexact 0
		.amdhsa_exception_int_div_zero 0
	.end_amdhsa_kernel
	.section	.text._ZN7rocprim17ROCPRIM_400000_NS6detail17trampoline_kernelINS0_14default_configENS1_35adjacent_difference_config_selectorILb0EsEEZNS1_24adjacent_difference_implIS3_Lb0ELb0EPKsPsN6thrust23THRUST_200600_302600_NS4plusIsEEEE10hipError_tPvRmT2_T3_mT4_P12ihipStream_tbEUlT_E_NS1_11comp_targetILNS1_3genE8ELNS1_11target_archE1030ELNS1_3gpuE2ELNS1_3repE0EEENS1_30default_config_static_selectorELNS0_4arch9wavefront6targetE1EEEvT1_,"axG",@progbits,_ZN7rocprim17ROCPRIM_400000_NS6detail17trampoline_kernelINS0_14default_configENS1_35adjacent_difference_config_selectorILb0EsEEZNS1_24adjacent_difference_implIS3_Lb0ELb0EPKsPsN6thrust23THRUST_200600_302600_NS4plusIsEEEE10hipError_tPvRmT2_T3_mT4_P12ihipStream_tbEUlT_E_NS1_11comp_targetILNS1_3genE8ELNS1_11target_archE1030ELNS1_3gpuE2ELNS1_3repE0EEENS1_30default_config_static_selectorELNS0_4arch9wavefront6targetE1EEEvT1_,comdat
.Lfunc_end523:
	.size	_ZN7rocprim17ROCPRIM_400000_NS6detail17trampoline_kernelINS0_14default_configENS1_35adjacent_difference_config_selectorILb0EsEEZNS1_24adjacent_difference_implIS3_Lb0ELb0EPKsPsN6thrust23THRUST_200600_302600_NS4plusIsEEEE10hipError_tPvRmT2_T3_mT4_P12ihipStream_tbEUlT_E_NS1_11comp_targetILNS1_3genE8ELNS1_11target_archE1030ELNS1_3gpuE2ELNS1_3repE0EEENS1_30default_config_static_selectorELNS0_4arch9wavefront6targetE1EEEvT1_, .Lfunc_end523-_ZN7rocprim17ROCPRIM_400000_NS6detail17trampoline_kernelINS0_14default_configENS1_35adjacent_difference_config_selectorILb0EsEEZNS1_24adjacent_difference_implIS3_Lb0ELb0EPKsPsN6thrust23THRUST_200600_302600_NS4plusIsEEEE10hipError_tPvRmT2_T3_mT4_P12ihipStream_tbEUlT_E_NS1_11comp_targetILNS1_3genE8ELNS1_11target_archE1030ELNS1_3gpuE2ELNS1_3repE0EEENS1_30default_config_static_selectorELNS0_4arch9wavefront6targetE1EEEvT1_
                                        ; -- End function
	.section	.AMDGPU.csdata,"",@progbits
; Kernel info:
; codeLenInByte = 0
; NumSgprs: 4
; NumVgprs: 0
; NumAgprs: 0
; TotalNumVgprs: 0
; ScratchSize: 0
; MemoryBound: 0
; FloatMode: 240
; IeeeMode: 1
; LDSByteSize: 0 bytes/workgroup (compile time only)
; SGPRBlocks: 0
; VGPRBlocks: 0
; NumSGPRsForWavesPerEU: 4
; NumVGPRsForWavesPerEU: 1
; AccumOffset: 4
; Occupancy: 8
; WaveLimiterHint : 0
; COMPUTE_PGM_RSRC2:SCRATCH_EN: 0
; COMPUTE_PGM_RSRC2:USER_SGPR: 6
; COMPUTE_PGM_RSRC2:TRAP_HANDLER: 0
; COMPUTE_PGM_RSRC2:TGID_X_EN: 1
; COMPUTE_PGM_RSRC2:TGID_Y_EN: 0
; COMPUTE_PGM_RSRC2:TGID_Z_EN: 0
; COMPUTE_PGM_RSRC2:TIDIG_COMP_CNT: 0
; COMPUTE_PGM_RSRC3_GFX90A:ACCUM_OFFSET: 0
; COMPUTE_PGM_RSRC3_GFX90A:TG_SPLIT: 0
	.section	.text._ZN7rocprim17ROCPRIM_400000_NS6detail17trampoline_kernelINS0_14default_configENS1_25transform_config_selectorIsLb0EEEZNS1_14transform_implILb0ES3_S5_NS0_18transform_iteratorINS0_17counting_iteratorImlEEZNS1_24adjacent_difference_implIS3_Lb1ELb0EPKsPsN6thrust23THRUST_200600_302600_NS4plusIsEEEE10hipError_tPvRmT2_T3_mT4_P12ihipStream_tbEUlmE_sEESD_NS0_8identityIvEEEESI_SL_SM_mSN_SP_bEUlT_E_NS1_11comp_targetILNS1_3genE0ELNS1_11target_archE4294967295ELNS1_3gpuE0ELNS1_3repE0EEENS1_30default_config_static_selectorELNS0_4arch9wavefront6targetE1EEEvT1_,"axG",@progbits,_ZN7rocprim17ROCPRIM_400000_NS6detail17trampoline_kernelINS0_14default_configENS1_25transform_config_selectorIsLb0EEEZNS1_14transform_implILb0ES3_S5_NS0_18transform_iteratorINS0_17counting_iteratorImlEEZNS1_24adjacent_difference_implIS3_Lb1ELb0EPKsPsN6thrust23THRUST_200600_302600_NS4plusIsEEEE10hipError_tPvRmT2_T3_mT4_P12ihipStream_tbEUlmE_sEESD_NS0_8identityIvEEEESI_SL_SM_mSN_SP_bEUlT_E_NS1_11comp_targetILNS1_3genE0ELNS1_11target_archE4294967295ELNS1_3gpuE0ELNS1_3repE0EEENS1_30default_config_static_selectorELNS0_4arch9wavefront6targetE1EEEvT1_,comdat
	.protected	_ZN7rocprim17ROCPRIM_400000_NS6detail17trampoline_kernelINS0_14default_configENS1_25transform_config_selectorIsLb0EEEZNS1_14transform_implILb0ES3_S5_NS0_18transform_iteratorINS0_17counting_iteratorImlEEZNS1_24adjacent_difference_implIS3_Lb1ELb0EPKsPsN6thrust23THRUST_200600_302600_NS4plusIsEEEE10hipError_tPvRmT2_T3_mT4_P12ihipStream_tbEUlmE_sEESD_NS0_8identityIvEEEESI_SL_SM_mSN_SP_bEUlT_E_NS1_11comp_targetILNS1_3genE0ELNS1_11target_archE4294967295ELNS1_3gpuE0ELNS1_3repE0EEENS1_30default_config_static_selectorELNS0_4arch9wavefront6targetE1EEEvT1_ ; -- Begin function _ZN7rocprim17ROCPRIM_400000_NS6detail17trampoline_kernelINS0_14default_configENS1_25transform_config_selectorIsLb0EEEZNS1_14transform_implILb0ES3_S5_NS0_18transform_iteratorINS0_17counting_iteratorImlEEZNS1_24adjacent_difference_implIS3_Lb1ELb0EPKsPsN6thrust23THRUST_200600_302600_NS4plusIsEEEE10hipError_tPvRmT2_T3_mT4_P12ihipStream_tbEUlmE_sEESD_NS0_8identityIvEEEESI_SL_SM_mSN_SP_bEUlT_E_NS1_11comp_targetILNS1_3genE0ELNS1_11target_archE4294967295ELNS1_3gpuE0ELNS1_3repE0EEENS1_30default_config_static_selectorELNS0_4arch9wavefront6targetE1EEEvT1_
	.globl	_ZN7rocprim17ROCPRIM_400000_NS6detail17trampoline_kernelINS0_14default_configENS1_25transform_config_selectorIsLb0EEEZNS1_14transform_implILb0ES3_S5_NS0_18transform_iteratorINS0_17counting_iteratorImlEEZNS1_24adjacent_difference_implIS3_Lb1ELb0EPKsPsN6thrust23THRUST_200600_302600_NS4plusIsEEEE10hipError_tPvRmT2_T3_mT4_P12ihipStream_tbEUlmE_sEESD_NS0_8identityIvEEEESI_SL_SM_mSN_SP_bEUlT_E_NS1_11comp_targetILNS1_3genE0ELNS1_11target_archE4294967295ELNS1_3gpuE0ELNS1_3repE0EEENS1_30default_config_static_selectorELNS0_4arch9wavefront6targetE1EEEvT1_
	.p2align	8
	.type	_ZN7rocprim17ROCPRIM_400000_NS6detail17trampoline_kernelINS0_14default_configENS1_25transform_config_selectorIsLb0EEEZNS1_14transform_implILb0ES3_S5_NS0_18transform_iteratorINS0_17counting_iteratorImlEEZNS1_24adjacent_difference_implIS3_Lb1ELb0EPKsPsN6thrust23THRUST_200600_302600_NS4plusIsEEEE10hipError_tPvRmT2_T3_mT4_P12ihipStream_tbEUlmE_sEESD_NS0_8identityIvEEEESI_SL_SM_mSN_SP_bEUlT_E_NS1_11comp_targetILNS1_3genE0ELNS1_11target_archE4294967295ELNS1_3gpuE0ELNS1_3repE0EEENS1_30default_config_static_selectorELNS0_4arch9wavefront6targetE1EEEvT1_,@function
_ZN7rocprim17ROCPRIM_400000_NS6detail17trampoline_kernelINS0_14default_configENS1_25transform_config_selectorIsLb0EEEZNS1_14transform_implILb0ES3_S5_NS0_18transform_iteratorINS0_17counting_iteratorImlEEZNS1_24adjacent_difference_implIS3_Lb1ELb0EPKsPsN6thrust23THRUST_200600_302600_NS4plusIsEEEE10hipError_tPvRmT2_T3_mT4_P12ihipStream_tbEUlmE_sEESD_NS0_8identityIvEEEESI_SL_SM_mSN_SP_bEUlT_E_NS1_11comp_targetILNS1_3genE0ELNS1_11target_archE4294967295ELNS1_3gpuE0ELNS1_3repE0EEENS1_30default_config_static_selectorELNS0_4arch9wavefront6targetE1EEEvT1_: ; @_ZN7rocprim17ROCPRIM_400000_NS6detail17trampoline_kernelINS0_14default_configENS1_25transform_config_selectorIsLb0EEEZNS1_14transform_implILb0ES3_S5_NS0_18transform_iteratorINS0_17counting_iteratorImlEEZNS1_24adjacent_difference_implIS3_Lb1ELb0EPKsPsN6thrust23THRUST_200600_302600_NS4plusIsEEEE10hipError_tPvRmT2_T3_mT4_P12ihipStream_tbEUlmE_sEESD_NS0_8identityIvEEEESI_SL_SM_mSN_SP_bEUlT_E_NS1_11comp_targetILNS1_3genE0ELNS1_11target_archE4294967295ELNS1_3gpuE0ELNS1_3repE0EEENS1_30default_config_static_selectorELNS0_4arch9wavefront6targetE1EEEvT1_
; %bb.0:
	.section	.rodata,"a",@progbits
	.p2align	6, 0x0
	.amdhsa_kernel _ZN7rocprim17ROCPRIM_400000_NS6detail17trampoline_kernelINS0_14default_configENS1_25transform_config_selectorIsLb0EEEZNS1_14transform_implILb0ES3_S5_NS0_18transform_iteratorINS0_17counting_iteratorImlEEZNS1_24adjacent_difference_implIS3_Lb1ELb0EPKsPsN6thrust23THRUST_200600_302600_NS4plusIsEEEE10hipError_tPvRmT2_T3_mT4_P12ihipStream_tbEUlmE_sEESD_NS0_8identityIvEEEESI_SL_SM_mSN_SP_bEUlT_E_NS1_11comp_targetILNS1_3genE0ELNS1_11target_archE4294967295ELNS1_3gpuE0ELNS1_3repE0EEENS1_30default_config_static_selectorELNS0_4arch9wavefront6targetE1EEEvT1_
		.amdhsa_group_segment_fixed_size 0
		.amdhsa_private_segment_fixed_size 0
		.amdhsa_kernarg_size 56
		.amdhsa_user_sgpr_count 6
		.amdhsa_user_sgpr_private_segment_buffer 1
		.amdhsa_user_sgpr_dispatch_ptr 0
		.amdhsa_user_sgpr_queue_ptr 0
		.amdhsa_user_sgpr_kernarg_segment_ptr 1
		.amdhsa_user_sgpr_dispatch_id 0
		.amdhsa_user_sgpr_flat_scratch_init 0
		.amdhsa_user_sgpr_kernarg_preload_length 0
		.amdhsa_user_sgpr_kernarg_preload_offset 0
		.amdhsa_user_sgpr_private_segment_size 0
		.amdhsa_uses_dynamic_stack 0
		.amdhsa_system_sgpr_private_segment_wavefront_offset 0
		.amdhsa_system_sgpr_workgroup_id_x 1
		.amdhsa_system_sgpr_workgroup_id_y 0
		.amdhsa_system_sgpr_workgroup_id_z 0
		.amdhsa_system_sgpr_workgroup_info 0
		.amdhsa_system_vgpr_workitem_id 0
		.amdhsa_next_free_vgpr 1
		.amdhsa_next_free_sgpr 0
		.amdhsa_accum_offset 4
		.amdhsa_reserve_vcc 0
		.amdhsa_reserve_flat_scratch 0
		.amdhsa_float_round_mode_32 0
		.amdhsa_float_round_mode_16_64 0
		.amdhsa_float_denorm_mode_32 3
		.amdhsa_float_denorm_mode_16_64 3
		.amdhsa_dx10_clamp 1
		.amdhsa_ieee_mode 1
		.amdhsa_fp16_overflow 0
		.amdhsa_tg_split 0
		.amdhsa_exception_fp_ieee_invalid_op 0
		.amdhsa_exception_fp_denorm_src 0
		.amdhsa_exception_fp_ieee_div_zero 0
		.amdhsa_exception_fp_ieee_overflow 0
		.amdhsa_exception_fp_ieee_underflow 0
		.amdhsa_exception_fp_ieee_inexact 0
		.amdhsa_exception_int_div_zero 0
	.end_amdhsa_kernel
	.section	.text._ZN7rocprim17ROCPRIM_400000_NS6detail17trampoline_kernelINS0_14default_configENS1_25transform_config_selectorIsLb0EEEZNS1_14transform_implILb0ES3_S5_NS0_18transform_iteratorINS0_17counting_iteratorImlEEZNS1_24adjacent_difference_implIS3_Lb1ELb0EPKsPsN6thrust23THRUST_200600_302600_NS4plusIsEEEE10hipError_tPvRmT2_T3_mT4_P12ihipStream_tbEUlmE_sEESD_NS0_8identityIvEEEESI_SL_SM_mSN_SP_bEUlT_E_NS1_11comp_targetILNS1_3genE0ELNS1_11target_archE4294967295ELNS1_3gpuE0ELNS1_3repE0EEENS1_30default_config_static_selectorELNS0_4arch9wavefront6targetE1EEEvT1_,"axG",@progbits,_ZN7rocprim17ROCPRIM_400000_NS6detail17trampoline_kernelINS0_14default_configENS1_25transform_config_selectorIsLb0EEEZNS1_14transform_implILb0ES3_S5_NS0_18transform_iteratorINS0_17counting_iteratorImlEEZNS1_24adjacent_difference_implIS3_Lb1ELb0EPKsPsN6thrust23THRUST_200600_302600_NS4plusIsEEEE10hipError_tPvRmT2_T3_mT4_P12ihipStream_tbEUlmE_sEESD_NS0_8identityIvEEEESI_SL_SM_mSN_SP_bEUlT_E_NS1_11comp_targetILNS1_3genE0ELNS1_11target_archE4294967295ELNS1_3gpuE0ELNS1_3repE0EEENS1_30default_config_static_selectorELNS0_4arch9wavefront6targetE1EEEvT1_,comdat
.Lfunc_end524:
	.size	_ZN7rocprim17ROCPRIM_400000_NS6detail17trampoline_kernelINS0_14default_configENS1_25transform_config_selectorIsLb0EEEZNS1_14transform_implILb0ES3_S5_NS0_18transform_iteratorINS0_17counting_iteratorImlEEZNS1_24adjacent_difference_implIS3_Lb1ELb0EPKsPsN6thrust23THRUST_200600_302600_NS4plusIsEEEE10hipError_tPvRmT2_T3_mT4_P12ihipStream_tbEUlmE_sEESD_NS0_8identityIvEEEESI_SL_SM_mSN_SP_bEUlT_E_NS1_11comp_targetILNS1_3genE0ELNS1_11target_archE4294967295ELNS1_3gpuE0ELNS1_3repE0EEENS1_30default_config_static_selectorELNS0_4arch9wavefront6targetE1EEEvT1_, .Lfunc_end524-_ZN7rocprim17ROCPRIM_400000_NS6detail17trampoline_kernelINS0_14default_configENS1_25transform_config_selectorIsLb0EEEZNS1_14transform_implILb0ES3_S5_NS0_18transform_iteratorINS0_17counting_iteratorImlEEZNS1_24adjacent_difference_implIS3_Lb1ELb0EPKsPsN6thrust23THRUST_200600_302600_NS4plusIsEEEE10hipError_tPvRmT2_T3_mT4_P12ihipStream_tbEUlmE_sEESD_NS0_8identityIvEEEESI_SL_SM_mSN_SP_bEUlT_E_NS1_11comp_targetILNS1_3genE0ELNS1_11target_archE4294967295ELNS1_3gpuE0ELNS1_3repE0EEENS1_30default_config_static_selectorELNS0_4arch9wavefront6targetE1EEEvT1_
                                        ; -- End function
	.section	.AMDGPU.csdata,"",@progbits
; Kernel info:
; codeLenInByte = 0
; NumSgprs: 4
; NumVgprs: 0
; NumAgprs: 0
; TotalNumVgprs: 0
; ScratchSize: 0
; MemoryBound: 0
; FloatMode: 240
; IeeeMode: 1
; LDSByteSize: 0 bytes/workgroup (compile time only)
; SGPRBlocks: 0
; VGPRBlocks: 0
; NumSGPRsForWavesPerEU: 4
; NumVGPRsForWavesPerEU: 1
; AccumOffset: 4
; Occupancy: 8
; WaveLimiterHint : 0
; COMPUTE_PGM_RSRC2:SCRATCH_EN: 0
; COMPUTE_PGM_RSRC2:USER_SGPR: 6
; COMPUTE_PGM_RSRC2:TRAP_HANDLER: 0
; COMPUTE_PGM_RSRC2:TGID_X_EN: 1
; COMPUTE_PGM_RSRC2:TGID_Y_EN: 0
; COMPUTE_PGM_RSRC2:TGID_Z_EN: 0
; COMPUTE_PGM_RSRC2:TIDIG_COMP_CNT: 0
; COMPUTE_PGM_RSRC3_GFX90A:ACCUM_OFFSET: 0
; COMPUTE_PGM_RSRC3_GFX90A:TG_SPLIT: 0
	.section	.text._ZN7rocprim17ROCPRIM_400000_NS6detail17trampoline_kernelINS0_14default_configENS1_25transform_config_selectorIsLb0EEEZNS1_14transform_implILb0ES3_S5_NS0_18transform_iteratorINS0_17counting_iteratorImlEEZNS1_24adjacent_difference_implIS3_Lb1ELb0EPKsPsN6thrust23THRUST_200600_302600_NS4plusIsEEEE10hipError_tPvRmT2_T3_mT4_P12ihipStream_tbEUlmE_sEESD_NS0_8identityIvEEEESI_SL_SM_mSN_SP_bEUlT_E_NS1_11comp_targetILNS1_3genE5ELNS1_11target_archE942ELNS1_3gpuE9ELNS1_3repE0EEENS1_30default_config_static_selectorELNS0_4arch9wavefront6targetE1EEEvT1_,"axG",@progbits,_ZN7rocprim17ROCPRIM_400000_NS6detail17trampoline_kernelINS0_14default_configENS1_25transform_config_selectorIsLb0EEEZNS1_14transform_implILb0ES3_S5_NS0_18transform_iteratorINS0_17counting_iteratorImlEEZNS1_24adjacent_difference_implIS3_Lb1ELb0EPKsPsN6thrust23THRUST_200600_302600_NS4plusIsEEEE10hipError_tPvRmT2_T3_mT4_P12ihipStream_tbEUlmE_sEESD_NS0_8identityIvEEEESI_SL_SM_mSN_SP_bEUlT_E_NS1_11comp_targetILNS1_3genE5ELNS1_11target_archE942ELNS1_3gpuE9ELNS1_3repE0EEENS1_30default_config_static_selectorELNS0_4arch9wavefront6targetE1EEEvT1_,comdat
	.protected	_ZN7rocprim17ROCPRIM_400000_NS6detail17trampoline_kernelINS0_14default_configENS1_25transform_config_selectorIsLb0EEEZNS1_14transform_implILb0ES3_S5_NS0_18transform_iteratorINS0_17counting_iteratorImlEEZNS1_24adjacent_difference_implIS3_Lb1ELb0EPKsPsN6thrust23THRUST_200600_302600_NS4plusIsEEEE10hipError_tPvRmT2_T3_mT4_P12ihipStream_tbEUlmE_sEESD_NS0_8identityIvEEEESI_SL_SM_mSN_SP_bEUlT_E_NS1_11comp_targetILNS1_3genE5ELNS1_11target_archE942ELNS1_3gpuE9ELNS1_3repE0EEENS1_30default_config_static_selectorELNS0_4arch9wavefront6targetE1EEEvT1_ ; -- Begin function _ZN7rocprim17ROCPRIM_400000_NS6detail17trampoline_kernelINS0_14default_configENS1_25transform_config_selectorIsLb0EEEZNS1_14transform_implILb0ES3_S5_NS0_18transform_iteratorINS0_17counting_iteratorImlEEZNS1_24adjacent_difference_implIS3_Lb1ELb0EPKsPsN6thrust23THRUST_200600_302600_NS4plusIsEEEE10hipError_tPvRmT2_T3_mT4_P12ihipStream_tbEUlmE_sEESD_NS0_8identityIvEEEESI_SL_SM_mSN_SP_bEUlT_E_NS1_11comp_targetILNS1_3genE5ELNS1_11target_archE942ELNS1_3gpuE9ELNS1_3repE0EEENS1_30default_config_static_selectorELNS0_4arch9wavefront6targetE1EEEvT1_
	.globl	_ZN7rocprim17ROCPRIM_400000_NS6detail17trampoline_kernelINS0_14default_configENS1_25transform_config_selectorIsLb0EEEZNS1_14transform_implILb0ES3_S5_NS0_18transform_iteratorINS0_17counting_iteratorImlEEZNS1_24adjacent_difference_implIS3_Lb1ELb0EPKsPsN6thrust23THRUST_200600_302600_NS4plusIsEEEE10hipError_tPvRmT2_T3_mT4_P12ihipStream_tbEUlmE_sEESD_NS0_8identityIvEEEESI_SL_SM_mSN_SP_bEUlT_E_NS1_11comp_targetILNS1_3genE5ELNS1_11target_archE942ELNS1_3gpuE9ELNS1_3repE0EEENS1_30default_config_static_selectorELNS0_4arch9wavefront6targetE1EEEvT1_
	.p2align	8
	.type	_ZN7rocprim17ROCPRIM_400000_NS6detail17trampoline_kernelINS0_14default_configENS1_25transform_config_selectorIsLb0EEEZNS1_14transform_implILb0ES3_S5_NS0_18transform_iteratorINS0_17counting_iteratorImlEEZNS1_24adjacent_difference_implIS3_Lb1ELb0EPKsPsN6thrust23THRUST_200600_302600_NS4plusIsEEEE10hipError_tPvRmT2_T3_mT4_P12ihipStream_tbEUlmE_sEESD_NS0_8identityIvEEEESI_SL_SM_mSN_SP_bEUlT_E_NS1_11comp_targetILNS1_3genE5ELNS1_11target_archE942ELNS1_3gpuE9ELNS1_3repE0EEENS1_30default_config_static_selectorELNS0_4arch9wavefront6targetE1EEEvT1_,@function
_ZN7rocprim17ROCPRIM_400000_NS6detail17trampoline_kernelINS0_14default_configENS1_25transform_config_selectorIsLb0EEEZNS1_14transform_implILb0ES3_S5_NS0_18transform_iteratorINS0_17counting_iteratorImlEEZNS1_24adjacent_difference_implIS3_Lb1ELb0EPKsPsN6thrust23THRUST_200600_302600_NS4plusIsEEEE10hipError_tPvRmT2_T3_mT4_P12ihipStream_tbEUlmE_sEESD_NS0_8identityIvEEEESI_SL_SM_mSN_SP_bEUlT_E_NS1_11comp_targetILNS1_3genE5ELNS1_11target_archE942ELNS1_3gpuE9ELNS1_3repE0EEENS1_30default_config_static_selectorELNS0_4arch9wavefront6targetE1EEEvT1_: ; @_ZN7rocprim17ROCPRIM_400000_NS6detail17trampoline_kernelINS0_14default_configENS1_25transform_config_selectorIsLb0EEEZNS1_14transform_implILb0ES3_S5_NS0_18transform_iteratorINS0_17counting_iteratorImlEEZNS1_24adjacent_difference_implIS3_Lb1ELb0EPKsPsN6thrust23THRUST_200600_302600_NS4plusIsEEEE10hipError_tPvRmT2_T3_mT4_P12ihipStream_tbEUlmE_sEESD_NS0_8identityIvEEEESI_SL_SM_mSN_SP_bEUlT_E_NS1_11comp_targetILNS1_3genE5ELNS1_11target_archE942ELNS1_3gpuE9ELNS1_3repE0EEENS1_30default_config_static_selectorELNS0_4arch9wavefront6targetE1EEEvT1_
; %bb.0:
	.section	.rodata,"a",@progbits
	.p2align	6, 0x0
	.amdhsa_kernel _ZN7rocprim17ROCPRIM_400000_NS6detail17trampoline_kernelINS0_14default_configENS1_25transform_config_selectorIsLb0EEEZNS1_14transform_implILb0ES3_S5_NS0_18transform_iteratorINS0_17counting_iteratorImlEEZNS1_24adjacent_difference_implIS3_Lb1ELb0EPKsPsN6thrust23THRUST_200600_302600_NS4plusIsEEEE10hipError_tPvRmT2_T3_mT4_P12ihipStream_tbEUlmE_sEESD_NS0_8identityIvEEEESI_SL_SM_mSN_SP_bEUlT_E_NS1_11comp_targetILNS1_3genE5ELNS1_11target_archE942ELNS1_3gpuE9ELNS1_3repE0EEENS1_30default_config_static_selectorELNS0_4arch9wavefront6targetE1EEEvT1_
		.amdhsa_group_segment_fixed_size 0
		.amdhsa_private_segment_fixed_size 0
		.amdhsa_kernarg_size 56
		.amdhsa_user_sgpr_count 6
		.amdhsa_user_sgpr_private_segment_buffer 1
		.amdhsa_user_sgpr_dispatch_ptr 0
		.amdhsa_user_sgpr_queue_ptr 0
		.amdhsa_user_sgpr_kernarg_segment_ptr 1
		.amdhsa_user_sgpr_dispatch_id 0
		.amdhsa_user_sgpr_flat_scratch_init 0
		.amdhsa_user_sgpr_kernarg_preload_length 0
		.amdhsa_user_sgpr_kernarg_preload_offset 0
		.amdhsa_user_sgpr_private_segment_size 0
		.amdhsa_uses_dynamic_stack 0
		.amdhsa_system_sgpr_private_segment_wavefront_offset 0
		.amdhsa_system_sgpr_workgroup_id_x 1
		.amdhsa_system_sgpr_workgroup_id_y 0
		.amdhsa_system_sgpr_workgroup_id_z 0
		.amdhsa_system_sgpr_workgroup_info 0
		.amdhsa_system_vgpr_workitem_id 0
		.amdhsa_next_free_vgpr 1
		.amdhsa_next_free_sgpr 0
		.amdhsa_accum_offset 4
		.amdhsa_reserve_vcc 0
		.amdhsa_reserve_flat_scratch 0
		.amdhsa_float_round_mode_32 0
		.amdhsa_float_round_mode_16_64 0
		.amdhsa_float_denorm_mode_32 3
		.amdhsa_float_denorm_mode_16_64 3
		.amdhsa_dx10_clamp 1
		.amdhsa_ieee_mode 1
		.amdhsa_fp16_overflow 0
		.amdhsa_tg_split 0
		.amdhsa_exception_fp_ieee_invalid_op 0
		.amdhsa_exception_fp_denorm_src 0
		.amdhsa_exception_fp_ieee_div_zero 0
		.amdhsa_exception_fp_ieee_overflow 0
		.amdhsa_exception_fp_ieee_underflow 0
		.amdhsa_exception_fp_ieee_inexact 0
		.amdhsa_exception_int_div_zero 0
	.end_amdhsa_kernel
	.section	.text._ZN7rocprim17ROCPRIM_400000_NS6detail17trampoline_kernelINS0_14default_configENS1_25transform_config_selectorIsLb0EEEZNS1_14transform_implILb0ES3_S5_NS0_18transform_iteratorINS0_17counting_iteratorImlEEZNS1_24adjacent_difference_implIS3_Lb1ELb0EPKsPsN6thrust23THRUST_200600_302600_NS4plusIsEEEE10hipError_tPvRmT2_T3_mT4_P12ihipStream_tbEUlmE_sEESD_NS0_8identityIvEEEESI_SL_SM_mSN_SP_bEUlT_E_NS1_11comp_targetILNS1_3genE5ELNS1_11target_archE942ELNS1_3gpuE9ELNS1_3repE0EEENS1_30default_config_static_selectorELNS0_4arch9wavefront6targetE1EEEvT1_,"axG",@progbits,_ZN7rocprim17ROCPRIM_400000_NS6detail17trampoline_kernelINS0_14default_configENS1_25transform_config_selectorIsLb0EEEZNS1_14transform_implILb0ES3_S5_NS0_18transform_iteratorINS0_17counting_iteratorImlEEZNS1_24adjacent_difference_implIS3_Lb1ELb0EPKsPsN6thrust23THRUST_200600_302600_NS4plusIsEEEE10hipError_tPvRmT2_T3_mT4_P12ihipStream_tbEUlmE_sEESD_NS0_8identityIvEEEESI_SL_SM_mSN_SP_bEUlT_E_NS1_11comp_targetILNS1_3genE5ELNS1_11target_archE942ELNS1_3gpuE9ELNS1_3repE0EEENS1_30default_config_static_selectorELNS0_4arch9wavefront6targetE1EEEvT1_,comdat
.Lfunc_end525:
	.size	_ZN7rocprim17ROCPRIM_400000_NS6detail17trampoline_kernelINS0_14default_configENS1_25transform_config_selectorIsLb0EEEZNS1_14transform_implILb0ES3_S5_NS0_18transform_iteratorINS0_17counting_iteratorImlEEZNS1_24adjacent_difference_implIS3_Lb1ELb0EPKsPsN6thrust23THRUST_200600_302600_NS4plusIsEEEE10hipError_tPvRmT2_T3_mT4_P12ihipStream_tbEUlmE_sEESD_NS0_8identityIvEEEESI_SL_SM_mSN_SP_bEUlT_E_NS1_11comp_targetILNS1_3genE5ELNS1_11target_archE942ELNS1_3gpuE9ELNS1_3repE0EEENS1_30default_config_static_selectorELNS0_4arch9wavefront6targetE1EEEvT1_, .Lfunc_end525-_ZN7rocprim17ROCPRIM_400000_NS6detail17trampoline_kernelINS0_14default_configENS1_25transform_config_selectorIsLb0EEEZNS1_14transform_implILb0ES3_S5_NS0_18transform_iteratorINS0_17counting_iteratorImlEEZNS1_24adjacent_difference_implIS3_Lb1ELb0EPKsPsN6thrust23THRUST_200600_302600_NS4plusIsEEEE10hipError_tPvRmT2_T3_mT4_P12ihipStream_tbEUlmE_sEESD_NS0_8identityIvEEEESI_SL_SM_mSN_SP_bEUlT_E_NS1_11comp_targetILNS1_3genE5ELNS1_11target_archE942ELNS1_3gpuE9ELNS1_3repE0EEENS1_30default_config_static_selectorELNS0_4arch9wavefront6targetE1EEEvT1_
                                        ; -- End function
	.section	.AMDGPU.csdata,"",@progbits
; Kernel info:
; codeLenInByte = 0
; NumSgprs: 4
; NumVgprs: 0
; NumAgprs: 0
; TotalNumVgprs: 0
; ScratchSize: 0
; MemoryBound: 0
; FloatMode: 240
; IeeeMode: 1
; LDSByteSize: 0 bytes/workgroup (compile time only)
; SGPRBlocks: 0
; VGPRBlocks: 0
; NumSGPRsForWavesPerEU: 4
; NumVGPRsForWavesPerEU: 1
; AccumOffset: 4
; Occupancy: 8
; WaveLimiterHint : 0
; COMPUTE_PGM_RSRC2:SCRATCH_EN: 0
; COMPUTE_PGM_RSRC2:USER_SGPR: 6
; COMPUTE_PGM_RSRC2:TRAP_HANDLER: 0
; COMPUTE_PGM_RSRC2:TGID_X_EN: 1
; COMPUTE_PGM_RSRC2:TGID_Y_EN: 0
; COMPUTE_PGM_RSRC2:TGID_Z_EN: 0
; COMPUTE_PGM_RSRC2:TIDIG_COMP_CNT: 0
; COMPUTE_PGM_RSRC3_GFX90A:ACCUM_OFFSET: 0
; COMPUTE_PGM_RSRC3_GFX90A:TG_SPLIT: 0
	.section	.text._ZN7rocprim17ROCPRIM_400000_NS6detail17trampoline_kernelINS0_14default_configENS1_25transform_config_selectorIsLb0EEEZNS1_14transform_implILb0ES3_S5_NS0_18transform_iteratorINS0_17counting_iteratorImlEEZNS1_24adjacent_difference_implIS3_Lb1ELb0EPKsPsN6thrust23THRUST_200600_302600_NS4plusIsEEEE10hipError_tPvRmT2_T3_mT4_P12ihipStream_tbEUlmE_sEESD_NS0_8identityIvEEEESI_SL_SM_mSN_SP_bEUlT_E_NS1_11comp_targetILNS1_3genE4ELNS1_11target_archE910ELNS1_3gpuE8ELNS1_3repE0EEENS1_30default_config_static_selectorELNS0_4arch9wavefront6targetE1EEEvT1_,"axG",@progbits,_ZN7rocprim17ROCPRIM_400000_NS6detail17trampoline_kernelINS0_14default_configENS1_25transform_config_selectorIsLb0EEEZNS1_14transform_implILb0ES3_S5_NS0_18transform_iteratorINS0_17counting_iteratorImlEEZNS1_24adjacent_difference_implIS3_Lb1ELb0EPKsPsN6thrust23THRUST_200600_302600_NS4plusIsEEEE10hipError_tPvRmT2_T3_mT4_P12ihipStream_tbEUlmE_sEESD_NS0_8identityIvEEEESI_SL_SM_mSN_SP_bEUlT_E_NS1_11comp_targetILNS1_3genE4ELNS1_11target_archE910ELNS1_3gpuE8ELNS1_3repE0EEENS1_30default_config_static_selectorELNS0_4arch9wavefront6targetE1EEEvT1_,comdat
	.protected	_ZN7rocprim17ROCPRIM_400000_NS6detail17trampoline_kernelINS0_14default_configENS1_25transform_config_selectorIsLb0EEEZNS1_14transform_implILb0ES3_S5_NS0_18transform_iteratorINS0_17counting_iteratorImlEEZNS1_24adjacent_difference_implIS3_Lb1ELb0EPKsPsN6thrust23THRUST_200600_302600_NS4plusIsEEEE10hipError_tPvRmT2_T3_mT4_P12ihipStream_tbEUlmE_sEESD_NS0_8identityIvEEEESI_SL_SM_mSN_SP_bEUlT_E_NS1_11comp_targetILNS1_3genE4ELNS1_11target_archE910ELNS1_3gpuE8ELNS1_3repE0EEENS1_30default_config_static_selectorELNS0_4arch9wavefront6targetE1EEEvT1_ ; -- Begin function _ZN7rocprim17ROCPRIM_400000_NS6detail17trampoline_kernelINS0_14default_configENS1_25transform_config_selectorIsLb0EEEZNS1_14transform_implILb0ES3_S5_NS0_18transform_iteratorINS0_17counting_iteratorImlEEZNS1_24adjacent_difference_implIS3_Lb1ELb0EPKsPsN6thrust23THRUST_200600_302600_NS4plusIsEEEE10hipError_tPvRmT2_T3_mT4_P12ihipStream_tbEUlmE_sEESD_NS0_8identityIvEEEESI_SL_SM_mSN_SP_bEUlT_E_NS1_11comp_targetILNS1_3genE4ELNS1_11target_archE910ELNS1_3gpuE8ELNS1_3repE0EEENS1_30default_config_static_selectorELNS0_4arch9wavefront6targetE1EEEvT1_
	.globl	_ZN7rocprim17ROCPRIM_400000_NS6detail17trampoline_kernelINS0_14default_configENS1_25transform_config_selectorIsLb0EEEZNS1_14transform_implILb0ES3_S5_NS0_18transform_iteratorINS0_17counting_iteratorImlEEZNS1_24adjacent_difference_implIS3_Lb1ELb0EPKsPsN6thrust23THRUST_200600_302600_NS4plusIsEEEE10hipError_tPvRmT2_T3_mT4_P12ihipStream_tbEUlmE_sEESD_NS0_8identityIvEEEESI_SL_SM_mSN_SP_bEUlT_E_NS1_11comp_targetILNS1_3genE4ELNS1_11target_archE910ELNS1_3gpuE8ELNS1_3repE0EEENS1_30default_config_static_selectorELNS0_4arch9wavefront6targetE1EEEvT1_
	.p2align	8
	.type	_ZN7rocprim17ROCPRIM_400000_NS6detail17trampoline_kernelINS0_14default_configENS1_25transform_config_selectorIsLb0EEEZNS1_14transform_implILb0ES3_S5_NS0_18transform_iteratorINS0_17counting_iteratorImlEEZNS1_24adjacent_difference_implIS3_Lb1ELb0EPKsPsN6thrust23THRUST_200600_302600_NS4plusIsEEEE10hipError_tPvRmT2_T3_mT4_P12ihipStream_tbEUlmE_sEESD_NS0_8identityIvEEEESI_SL_SM_mSN_SP_bEUlT_E_NS1_11comp_targetILNS1_3genE4ELNS1_11target_archE910ELNS1_3gpuE8ELNS1_3repE0EEENS1_30default_config_static_selectorELNS0_4arch9wavefront6targetE1EEEvT1_,@function
_ZN7rocprim17ROCPRIM_400000_NS6detail17trampoline_kernelINS0_14default_configENS1_25transform_config_selectorIsLb0EEEZNS1_14transform_implILb0ES3_S5_NS0_18transform_iteratorINS0_17counting_iteratorImlEEZNS1_24adjacent_difference_implIS3_Lb1ELb0EPKsPsN6thrust23THRUST_200600_302600_NS4plusIsEEEE10hipError_tPvRmT2_T3_mT4_P12ihipStream_tbEUlmE_sEESD_NS0_8identityIvEEEESI_SL_SM_mSN_SP_bEUlT_E_NS1_11comp_targetILNS1_3genE4ELNS1_11target_archE910ELNS1_3gpuE8ELNS1_3repE0EEENS1_30default_config_static_selectorELNS0_4arch9wavefront6targetE1EEEvT1_: ; @_ZN7rocprim17ROCPRIM_400000_NS6detail17trampoline_kernelINS0_14default_configENS1_25transform_config_selectorIsLb0EEEZNS1_14transform_implILb0ES3_S5_NS0_18transform_iteratorINS0_17counting_iteratorImlEEZNS1_24adjacent_difference_implIS3_Lb1ELb0EPKsPsN6thrust23THRUST_200600_302600_NS4plusIsEEEE10hipError_tPvRmT2_T3_mT4_P12ihipStream_tbEUlmE_sEESD_NS0_8identityIvEEEESI_SL_SM_mSN_SP_bEUlT_E_NS1_11comp_targetILNS1_3genE4ELNS1_11target_archE910ELNS1_3gpuE8ELNS1_3repE0EEENS1_30default_config_static_selectorELNS0_4arch9wavefront6targetE1EEEvT1_
; %bb.0:
	s_load_dwordx4 s[0:3], s[4:5], 0x18
	s_load_dwordx2 s[8:9], s[4:5], 0x28
	s_load_dwordx4 s[16:19], s[4:5], 0x0
	s_load_dword s22, s[4:5], 0x10
	s_waitcnt lgkmcnt(0)
	s_load_dword s3, s[4:5], 0x38
                                        ; kill: killed $sgpr4_sgpr5
	s_lshl_b64 s[4:5], s[0:1], 1
	s_add_u32 s26, s8, s4
	s_addc_u32 s27, s9, s5
	s_lshl_b32 s20, s6, 9
	s_waitcnt lgkmcnt(0)
	s_add_i32 s3, s3, -1
	s_add_u32 s4, s16, s20
	s_addc_u32 s5, s17, 0
	s_add_u32 s28, s4, s0
	s_addc_u32 s29, s5, s1
	s_mov_b32 s21, 0
	s_cmp_lg_u32 s6, s3
	v_lshlrev_b32_e32 v1, 1, v0
	s_cbranch_scc0 .LBB526_2
; %bb.1:
	v_mov_b32_e32 v2, s29
	v_add_co_u32_e32 v3, vcc, s28, v0
	v_addc_co_u32_e32 v5, vcc, 0, v2, vcc
	v_mad_u64_u32 v[2:3], s[0:1], v3, s22, 0
	v_mov_b32_e32 v4, v3
	v_mad_u64_u32 v[4:5], s[0:1], v5, s22, v[4:5]
	v_mov_b32_e32 v3, v4
	v_lshlrev_b64 v[2:3], 1, v[2:3]
	s_mov_b32 s23, s21
	v_mov_b32_e32 v4, s19
	v_add_co_u32_e32 v2, vcc, s18, v2
	v_addc_co_u32_e32 v3, vcc, v4, v3, vcc
	s_lshl_b64 s[0:1], s[22:23], 7
	v_mov_b32_e32 v12, s1
	v_add_co_u32_e32 v4, vcc, s0, v2
	v_addc_co_u32_e32 v5, vcc, v3, v12, vcc
	v_add_co_u32_e32 v6, vcc, s0, v4
	v_addc_co_u32_e32 v7, vcc, v5, v12, vcc
	;; [unrolled: 2-line block ×4, first 2 shown]
	global_load_ushort v13, v[2:3], off
	global_load_ushort v14, v[4:5], off
	;; [unrolled: 1-line block ×5, first 2 shown]
	v_add_co_u32_e32 v2, vcc, s0, v10
	v_addc_co_u32_e32 v3, vcc, v11, v12, vcc
	global_load_ushort v4, v[2:3], off
	v_add_co_u32_e32 v2, vcc, s0, v2
	v_addc_co_u32_e32 v3, vcc, v3, v12, vcc
	global_load_ushort v5, v[2:3], off
	;; [unrolled: 3-line block ×3, first 2 shown]
	s_lshl_b64 s[4:5], s[20:21], 1
	s_add_u32 s4, s26, s4
	s_addc_u32 s5, s27, s5
	v_mov_b32_e32 v3, s5
	v_add_co_u32_e32 v6, vcc, s4, v1
	v_addc_co_u32_e32 v7, vcc, 0, v3, vcc
	s_mov_b64 s[16:17], -1
	s_waitcnt vmcnt(7)
	global_store_short v1, v13, s[4:5]
	s_waitcnt vmcnt(7)
	global_store_short v1, v14, s[4:5] offset:128
	s_waitcnt vmcnt(7)
	global_store_short v1, v15, s[4:5] offset:256
	s_waitcnt vmcnt(7)
	global_store_short v1, v16, s[4:5] offset:384
	s_waitcnt vmcnt(7)
	global_store_short v1, v17, s[4:5] offset:512
	s_waitcnt vmcnt(7)
	global_store_short v1, v4, s[4:5] offset:640
	s_waitcnt vmcnt(7)
	global_store_short v1, v5, s[4:5] offset:768
	s_cbranch_execz .LBB526_3
	s_branch .LBB526_32
.LBB526_2:
	s_mov_b64 s[16:17], 0
                                        ; implicit-def: $vgpr2
                                        ; implicit-def: $vgpr6_vgpr7
.LBB526_3:
	s_sub_i32 s23, s2, s20
	v_cmp_gt_u32_e32 vcc, s23, v0
                                        ; implicit-def: $vgpr2_vgpr3_vgpr4_vgpr5
	s_and_saveexec_b64 s[2:3], vcc
	s_cbranch_execz .LBB526_5
; %bb.4:
	s_waitcnt vmcnt(7)
	v_mov_b32_e32 v2, s29
	v_add_co_u32_e64 v3, s[0:1], s28, v0
	v_addc_co_u32_e64 v5, s[0:1], 0, v2, s[0:1]
	v_mad_u64_u32 v[2:3], s[0:1], v3, s22, 0
	v_mov_b32_e32 v4, v3
	v_mad_u64_u32 v[4:5], s[0:1], v5, s22, v[4:5]
	v_mov_b32_e32 v3, v4
	v_lshlrev_b64 v[2:3], 1, v[2:3]
	v_mov_b32_e32 v4, s19
	v_add_co_u32_e64 v2, s[0:1], s18, v2
	v_addc_co_u32_e64 v3, s[0:1], v4, v3, s[0:1]
	global_load_ushort v2, v[2:3], off
.LBB526_5:
	s_or_b64 exec, exec, s[2:3]
	v_or_b32_e32 v6, 64, v0
	v_cmp_gt_u32_e64 s[0:1], s23, v6
	s_and_saveexec_b64 s[4:5], s[0:1]
	s_cbranch_execz .LBB526_7
; %bb.6:
	v_mov_b32_e32 v7, s29
	v_add_co_u32_e64 v6, s[2:3], s28, v6
	v_addc_co_u32_e64 v9, s[2:3], 0, v7, s[2:3]
	v_mad_u64_u32 v[6:7], s[2:3], v6, s22, 0
	v_mov_b32_e32 v8, v7
	v_mad_u64_u32 v[8:9], s[2:3], v9, s22, v[8:9]
	v_mov_b32_e32 v7, v8
	v_lshlrev_b64 v[6:7], 1, v[6:7]
	v_mov_b32_e32 v8, s19
	v_add_co_u32_e64 v6, s[2:3], s18, v6
	v_addc_co_u32_e64 v7, s[2:3], v8, v7, s[2:3]
	global_load_ushort v6, v[6:7], off
	s_mov_b32 s2, 0x5040100
	s_waitcnt vmcnt(0)
	v_perm_b32 v2, v6, v2, s2
.LBB526_7:
	s_or_b64 exec, exec, s[4:5]
	v_or_b32_e32 v6, 0x80, v0
	v_cmp_gt_u32_e64 s[2:3], s23, v6
	s_and_saveexec_b64 s[6:7], s[2:3]
	s_cbranch_execz .LBB526_9
; %bb.8:
	v_mov_b32_e32 v7, s29
	v_add_co_u32_e64 v6, s[4:5], s28, v6
	v_addc_co_u32_e64 v9, s[4:5], 0, v7, s[4:5]
	v_mad_u64_u32 v[6:7], s[4:5], v6, s22, 0
	v_mov_b32_e32 v8, v7
	v_mad_u64_u32 v[8:9], s[4:5], v9, s22, v[8:9]
	v_mov_b32_e32 v7, v8
	v_lshlrev_b64 v[6:7], 1, v[6:7]
	v_mov_b32_e32 v8, s19
	v_add_co_u32_e64 v6, s[4:5], s18, v6
	v_addc_co_u32_e64 v7, s[4:5], v8, v7, s[4:5]
	global_load_ushort v6, v[6:7], off
	s_mov_b32 s4, 0xffff
	s_waitcnt vmcnt(0)
	v_bfi_b32 v3, s4, v6, v3
.LBB526_9:
	s_or_b64 exec, exec, s[6:7]
	v_or_b32_e32 v6, 0xc0, v0
	v_cmp_gt_u32_e64 s[4:5], s23, v6
	s_and_saveexec_b64 s[8:9], s[4:5]
	s_cbranch_execz .LBB526_11
; %bb.10:
	v_mov_b32_e32 v7, s29
	v_add_co_u32_e64 v6, s[6:7], s28, v6
	v_addc_co_u32_e64 v9, s[6:7], 0, v7, s[6:7]
	v_mad_u64_u32 v[6:7], s[6:7], v6, s22, 0
	v_mov_b32_e32 v8, v7
	v_mad_u64_u32 v[8:9], s[6:7], v9, s22, v[8:9]
	v_mov_b32_e32 v7, v8
	v_lshlrev_b64 v[6:7], 1, v[6:7]
	v_mov_b32_e32 v8, s19
	v_add_co_u32_e64 v6, s[6:7], s18, v6
	v_addc_co_u32_e64 v7, s[6:7], v8, v7, s[6:7]
	global_load_ushort v6, v[6:7], off
	s_mov_b32 s6, 0x5040100
	s_waitcnt vmcnt(0)
	v_perm_b32 v3, v6, v3, s6
.LBB526_11:
	s_or_b64 exec, exec, s[8:9]
	v_or_b32_e32 v6, 0x100, v0
	v_cmp_gt_u32_e64 s[6:7], s23, v6
	s_and_saveexec_b64 s[10:11], s[6:7]
	s_cbranch_execz .LBB526_13
; %bb.12:
	v_mov_b32_e32 v7, s29
	v_add_co_u32_e64 v6, s[8:9], s28, v6
	v_addc_co_u32_e64 v9, s[8:9], 0, v7, s[8:9]
	v_mad_u64_u32 v[6:7], s[8:9], v6, s22, 0
	v_mov_b32_e32 v8, v7
	v_mad_u64_u32 v[8:9], s[8:9], v9, s22, v[8:9]
	v_mov_b32_e32 v7, v8
	v_lshlrev_b64 v[6:7], 1, v[6:7]
	v_mov_b32_e32 v8, s19
	v_add_co_u32_e64 v6, s[8:9], s18, v6
	v_addc_co_u32_e64 v7, s[8:9], v8, v7, s[8:9]
	global_load_ushort v6, v[6:7], off
	s_mov_b32 s8, 0xffff
	s_waitcnt vmcnt(0)
	v_bfi_b32 v4, s8, v6, v4
.LBB526_13:
	;; [unrolled: 44-line block ×3, first 2 shown]
	s_or_b64 exec, exec, s[14:15]
	v_or_b32_e32 v0, 0x1c0, v0
	v_cmp_gt_u32_e64 s[12:13], s23, v0
	s_and_saveexec_b64 s[24:25], s[12:13]
	s_cbranch_execz .LBB526_19
; %bb.18:
	v_mov_b32_e32 v6, s29
	v_add_co_u32_e64 v0, s[14:15], s28, v0
	v_addc_co_u32_e64 v8, s[14:15], 0, v6, s[14:15]
	v_mad_u64_u32 v[6:7], s[14:15], v0, s22, 0
	v_mov_b32_e32 v0, v7
	v_mad_u64_u32 v[8:9], s[14:15], v8, s22, v[0:1]
	v_mov_b32_e32 v7, v8
	v_lshlrev_b64 v[6:7], 1, v[6:7]
	v_mov_b32_e32 v0, s19
	v_add_co_u32_e64 v6, s[14:15], s18, v6
	v_addc_co_u32_e64 v7, s[14:15], v0, v7, s[14:15]
	global_load_ushort v0, v[6:7], off
	s_mov_b32 s14, 0x5040100
	s_waitcnt vmcnt(0)
	v_perm_b32 v5, v0, v5, s14
.LBB526_19:
	s_or_b64 exec, exec, s[24:25]
	s_lshl_b64 s[14:15], s[20:21], 1
	s_add_u32 s14, s26, s14
	s_addc_u32 s15, s27, s15
	v_mov_b32_e32 v0, s15
	v_add_co_u32_e64 v6, s[14:15], s14, v1
	v_addc_co_u32_e64 v7, s[14:15], 0, v0, s[14:15]
	s_and_saveexec_b64 s[14:15], vcc
	s_cbranch_execnz .LBB526_35
; %bb.20:
	s_or_b64 exec, exec, s[14:15]
	s_and_saveexec_b64 s[14:15], s[0:1]
	s_cbranch_execnz .LBB526_36
.LBB526_21:
	s_or_b64 exec, exec, s[14:15]
	s_mov_b32 s14, 0xffff
	s_and_saveexec_b64 s[0:1], s[2:3]
	s_cbranch_execz .LBB526_23
.LBB526_22:
	global_store_short v[6:7], v3, off offset:256
.LBB526_23:
	s_or_b64 exec, exec, s[0:1]
	v_bfi_b32 v0, s14, v3, v3
	v_cndmask_b32_e64 v0, v0, v3, s[4:5]
	s_and_saveexec_b64 s[0:1], s[4:5]
	s_cbranch_execz .LBB526_25
; %bb.24:
	global_store_short_d16_hi v[6:7], v0, off offset:384
.LBB526_25:
	s_or_b64 exec, exec, s[0:1]
	s_mov_b32 s2, 0xffff
	v_cndmask_b32_e64 v0, v4, v4, s[6:7]
	s_and_saveexec_b64 s[0:1], s[6:7]
	s_cbranch_execz .LBB526_27
; %bb.26:
	global_store_short v[6:7], v0, off offset:512
.LBB526_27:
	s_or_b64 exec, exec, s[0:1]
	v_bfi_b32 v0, s2, v0, v4
	v_cndmask_b32_e64 v0, v0, v4, s[8:9]
	s_and_saveexec_b64 s[0:1], s[8:9]
	s_cbranch_execnz .LBB526_37
; %bb.28:
	s_or_b64 exec, exec, s[0:1]
	s_and_saveexec_b64 s[0:1], s[10:11]
	s_cbranch_execnz .LBB526_38
.LBB526_29:
	s_or_b64 exec, exec, s[0:1]
                                        ; implicit-def: $vgpr2
	s_and_saveexec_b64 s[0:1], s[12:13]
	s_cbranch_execz .LBB526_31
.LBB526_30:
	v_cndmask_b32_e64 v0, v5, v5, s[12:13]
	s_waitcnt vmcnt(0)
	v_lshrrev_b32_e32 v2, 16, v0
	s_or_b64 s[16:17], s[16:17], exec
.LBB526_31:
	s_or_b64 exec, exec, s[0:1]
.LBB526_32:
	s_and_saveexec_b64 s[0:1], s[16:17]
	s_cbranch_execnz .LBB526_34
; %bb.33:
	s_endpgm
.LBB526_34:
	s_waitcnt vmcnt(0)
	global_store_short v[6:7], v2, off offset:896
	s_endpgm
.LBB526_35:
	s_waitcnt vmcnt(0)
	global_store_short v[6:7], v2, off
	s_or_b64 exec, exec, s[14:15]
	s_and_saveexec_b64 s[14:15], s[0:1]
	s_cbranch_execz .LBB526_21
.LBB526_36:
	s_waitcnt vmcnt(0)
	global_store_short_d16_hi v[6:7], v2, off offset:128
	s_or_b64 exec, exec, s[14:15]
	s_mov_b32 s14, 0xffff
	s_and_saveexec_b64 s[0:1], s[2:3]
	s_cbranch_execnz .LBB526_22
	s_branch .LBB526_23
.LBB526_37:
	global_store_short_d16_hi v[6:7], v0, off offset:640
	s_or_b64 exec, exec, s[0:1]
	s_and_saveexec_b64 s[0:1], s[10:11]
	s_cbranch_execz .LBB526_29
.LBB526_38:
	v_cndmask_b32_e64 v0, v5, v5, s[10:11]
	global_store_short v[6:7], v0, off offset:768
	s_or_b64 exec, exec, s[0:1]
                                        ; implicit-def: $vgpr2
	s_and_saveexec_b64 s[0:1], s[12:13]
	s_cbranch_execnz .LBB526_30
	s_branch .LBB526_31
	.section	.rodata,"a",@progbits
	.p2align	6, 0x0
	.amdhsa_kernel _ZN7rocprim17ROCPRIM_400000_NS6detail17trampoline_kernelINS0_14default_configENS1_25transform_config_selectorIsLb0EEEZNS1_14transform_implILb0ES3_S5_NS0_18transform_iteratorINS0_17counting_iteratorImlEEZNS1_24adjacent_difference_implIS3_Lb1ELb0EPKsPsN6thrust23THRUST_200600_302600_NS4plusIsEEEE10hipError_tPvRmT2_T3_mT4_P12ihipStream_tbEUlmE_sEESD_NS0_8identityIvEEEESI_SL_SM_mSN_SP_bEUlT_E_NS1_11comp_targetILNS1_3genE4ELNS1_11target_archE910ELNS1_3gpuE8ELNS1_3repE0EEENS1_30default_config_static_selectorELNS0_4arch9wavefront6targetE1EEEvT1_
		.amdhsa_group_segment_fixed_size 0
		.amdhsa_private_segment_fixed_size 0
		.amdhsa_kernarg_size 312
		.amdhsa_user_sgpr_count 6
		.amdhsa_user_sgpr_private_segment_buffer 1
		.amdhsa_user_sgpr_dispatch_ptr 0
		.amdhsa_user_sgpr_queue_ptr 0
		.amdhsa_user_sgpr_kernarg_segment_ptr 1
		.amdhsa_user_sgpr_dispatch_id 0
		.amdhsa_user_sgpr_flat_scratch_init 0
		.amdhsa_user_sgpr_kernarg_preload_length 0
		.amdhsa_user_sgpr_kernarg_preload_offset 0
		.amdhsa_user_sgpr_private_segment_size 0
		.amdhsa_uses_dynamic_stack 0
		.amdhsa_system_sgpr_private_segment_wavefront_offset 0
		.amdhsa_system_sgpr_workgroup_id_x 1
		.amdhsa_system_sgpr_workgroup_id_y 0
		.amdhsa_system_sgpr_workgroup_id_z 0
		.amdhsa_system_sgpr_workgroup_info 0
		.amdhsa_system_vgpr_workitem_id 0
		.amdhsa_next_free_vgpr 18
		.amdhsa_next_free_sgpr 30
		.amdhsa_accum_offset 20
		.amdhsa_reserve_vcc 1
		.amdhsa_reserve_flat_scratch 0
		.amdhsa_float_round_mode_32 0
		.amdhsa_float_round_mode_16_64 0
		.amdhsa_float_denorm_mode_32 3
		.amdhsa_float_denorm_mode_16_64 3
		.amdhsa_dx10_clamp 1
		.amdhsa_ieee_mode 1
		.amdhsa_fp16_overflow 0
		.amdhsa_tg_split 0
		.amdhsa_exception_fp_ieee_invalid_op 0
		.amdhsa_exception_fp_denorm_src 0
		.amdhsa_exception_fp_ieee_div_zero 0
		.amdhsa_exception_fp_ieee_overflow 0
		.amdhsa_exception_fp_ieee_underflow 0
		.amdhsa_exception_fp_ieee_inexact 0
		.amdhsa_exception_int_div_zero 0
	.end_amdhsa_kernel
	.section	.text._ZN7rocprim17ROCPRIM_400000_NS6detail17trampoline_kernelINS0_14default_configENS1_25transform_config_selectorIsLb0EEEZNS1_14transform_implILb0ES3_S5_NS0_18transform_iteratorINS0_17counting_iteratorImlEEZNS1_24adjacent_difference_implIS3_Lb1ELb0EPKsPsN6thrust23THRUST_200600_302600_NS4plusIsEEEE10hipError_tPvRmT2_T3_mT4_P12ihipStream_tbEUlmE_sEESD_NS0_8identityIvEEEESI_SL_SM_mSN_SP_bEUlT_E_NS1_11comp_targetILNS1_3genE4ELNS1_11target_archE910ELNS1_3gpuE8ELNS1_3repE0EEENS1_30default_config_static_selectorELNS0_4arch9wavefront6targetE1EEEvT1_,"axG",@progbits,_ZN7rocprim17ROCPRIM_400000_NS6detail17trampoline_kernelINS0_14default_configENS1_25transform_config_selectorIsLb0EEEZNS1_14transform_implILb0ES3_S5_NS0_18transform_iteratorINS0_17counting_iteratorImlEEZNS1_24adjacent_difference_implIS3_Lb1ELb0EPKsPsN6thrust23THRUST_200600_302600_NS4plusIsEEEE10hipError_tPvRmT2_T3_mT4_P12ihipStream_tbEUlmE_sEESD_NS0_8identityIvEEEESI_SL_SM_mSN_SP_bEUlT_E_NS1_11comp_targetILNS1_3genE4ELNS1_11target_archE910ELNS1_3gpuE8ELNS1_3repE0EEENS1_30default_config_static_selectorELNS0_4arch9wavefront6targetE1EEEvT1_,comdat
.Lfunc_end526:
	.size	_ZN7rocprim17ROCPRIM_400000_NS6detail17trampoline_kernelINS0_14default_configENS1_25transform_config_selectorIsLb0EEEZNS1_14transform_implILb0ES3_S5_NS0_18transform_iteratorINS0_17counting_iteratorImlEEZNS1_24adjacent_difference_implIS3_Lb1ELb0EPKsPsN6thrust23THRUST_200600_302600_NS4plusIsEEEE10hipError_tPvRmT2_T3_mT4_P12ihipStream_tbEUlmE_sEESD_NS0_8identityIvEEEESI_SL_SM_mSN_SP_bEUlT_E_NS1_11comp_targetILNS1_3genE4ELNS1_11target_archE910ELNS1_3gpuE8ELNS1_3repE0EEENS1_30default_config_static_selectorELNS0_4arch9wavefront6targetE1EEEvT1_, .Lfunc_end526-_ZN7rocprim17ROCPRIM_400000_NS6detail17trampoline_kernelINS0_14default_configENS1_25transform_config_selectorIsLb0EEEZNS1_14transform_implILb0ES3_S5_NS0_18transform_iteratorINS0_17counting_iteratorImlEEZNS1_24adjacent_difference_implIS3_Lb1ELb0EPKsPsN6thrust23THRUST_200600_302600_NS4plusIsEEEE10hipError_tPvRmT2_T3_mT4_P12ihipStream_tbEUlmE_sEESD_NS0_8identityIvEEEESI_SL_SM_mSN_SP_bEUlT_E_NS1_11comp_targetILNS1_3genE4ELNS1_11target_archE910ELNS1_3gpuE8ELNS1_3repE0EEENS1_30default_config_static_selectorELNS0_4arch9wavefront6targetE1EEEvT1_
                                        ; -- End function
	.section	.AMDGPU.csdata,"",@progbits
; Kernel info:
; codeLenInByte = 1776
; NumSgprs: 34
; NumVgprs: 18
; NumAgprs: 0
; TotalNumVgprs: 18
; ScratchSize: 0
; MemoryBound: 0
; FloatMode: 240
; IeeeMode: 1
; LDSByteSize: 0 bytes/workgroup (compile time only)
; SGPRBlocks: 4
; VGPRBlocks: 2
; NumSGPRsForWavesPerEU: 34
; NumVGPRsForWavesPerEU: 18
; AccumOffset: 20
; Occupancy: 8
; WaveLimiterHint : 1
; COMPUTE_PGM_RSRC2:SCRATCH_EN: 0
; COMPUTE_PGM_RSRC2:USER_SGPR: 6
; COMPUTE_PGM_RSRC2:TRAP_HANDLER: 0
; COMPUTE_PGM_RSRC2:TGID_X_EN: 1
; COMPUTE_PGM_RSRC2:TGID_Y_EN: 0
; COMPUTE_PGM_RSRC2:TGID_Z_EN: 0
; COMPUTE_PGM_RSRC2:TIDIG_COMP_CNT: 0
; COMPUTE_PGM_RSRC3_GFX90A:ACCUM_OFFSET: 4
; COMPUTE_PGM_RSRC3_GFX90A:TG_SPLIT: 0
	.section	.text._ZN7rocprim17ROCPRIM_400000_NS6detail17trampoline_kernelINS0_14default_configENS1_25transform_config_selectorIsLb0EEEZNS1_14transform_implILb0ES3_S5_NS0_18transform_iteratorINS0_17counting_iteratorImlEEZNS1_24adjacent_difference_implIS3_Lb1ELb0EPKsPsN6thrust23THRUST_200600_302600_NS4plusIsEEEE10hipError_tPvRmT2_T3_mT4_P12ihipStream_tbEUlmE_sEESD_NS0_8identityIvEEEESI_SL_SM_mSN_SP_bEUlT_E_NS1_11comp_targetILNS1_3genE3ELNS1_11target_archE908ELNS1_3gpuE7ELNS1_3repE0EEENS1_30default_config_static_selectorELNS0_4arch9wavefront6targetE1EEEvT1_,"axG",@progbits,_ZN7rocprim17ROCPRIM_400000_NS6detail17trampoline_kernelINS0_14default_configENS1_25transform_config_selectorIsLb0EEEZNS1_14transform_implILb0ES3_S5_NS0_18transform_iteratorINS0_17counting_iteratorImlEEZNS1_24adjacent_difference_implIS3_Lb1ELb0EPKsPsN6thrust23THRUST_200600_302600_NS4plusIsEEEE10hipError_tPvRmT2_T3_mT4_P12ihipStream_tbEUlmE_sEESD_NS0_8identityIvEEEESI_SL_SM_mSN_SP_bEUlT_E_NS1_11comp_targetILNS1_3genE3ELNS1_11target_archE908ELNS1_3gpuE7ELNS1_3repE0EEENS1_30default_config_static_selectorELNS0_4arch9wavefront6targetE1EEEvT1_,comdat
	.protected	_ZN7rocprim17ROCPRIM_400000_NS6detail17trampoline_kernelINS0_14default_configENS1_25transform_config_selectorIsLb0EEEZNS1_14transform_implILb0ES3_S5_NS0_18transform_iteratorINS0_17counting_iteratorImlEEZNS1_24adjacent_difference_implIS3_Lb1ELb0EPKsPsN6thrust23THRUST_200600_302600_NS4plusIsEEEE10hipError_tPvRmT2_T3_mT4_P12ihipStream_tbEUlmE_sEESD_NS0_8identityIvEEEESI_SL_SM_mSN_SP_bEUlT_E_NS1_11comp_targetILNS1_3genE3ELNS1_11target_archE908ELNS1_3gpuE7ELNS1_3repE0EEENS1_30default_config_static_selectorELNS0_4arch9wavefront6targetE1EEEvT1_ ; -- Begin function _ZN7rocprim17ROCPRIM_400000_NS6detail17trampoline_kernelINS0_14default_configENS1_25transform_config_selectorIsLb0EEEZNS1_14transform_implILb0ES3_S5_NS0_18transform_iteratorINS0_17counting_iteratorImlEEZNS1_24adjacent_difference_implIS3_Lb1ELb0EPKsPsN6thrust23THRUST_200600_302600_NS4plusIsEEEE10hipError_tPvRmT2_T3_mT4_P12ihipStream_tbEUlmE_sEESD_NS0_8identityIvEEEESI_SL_SM_mSN_SP_bEUlT_E_NS1_11comp_targetILNS1_3genE3ELNS1_11target_archE908ELNS1_3gpuE7ELNS1_3repE0EEENS1_30default_config_static_selectorELNS0_4arch9wavefront6targetE1EEEvT1_
	.globl	_ZN7rocprim17ROCPRIM_400000_NS6detail17trampoline_kernelINS0_14default_configENS1_25transform_config_selectorIsLb0EEEZNS1_14transform_implILb0ES3_S5_NS0_18transform_iteratorINS0_17counting_iteratorImlEEZNS1_24adjacent_difference_implIS3_Lb1ELb0EPKsPsN6thrust23THRUST_200600_302600_NS4plusIsEEEE10hipError_tPvRmT2_T3_mT4_P12ihipStream_tbEUlmE_sEESD_NS0_8identityIvEEEESI_SL_SM_mSN_SP_bEUlT_E_NS1_11comp_targetILNS1_3genE3ELNS1_11target_archE908ELNS1_3gpuE7ELNS1_3repE0EEENS1_30default_config_static_selectorELNS0_4arch9wavefront6targetE1EEEvT1_
	.p2align	8
	.type	_ZN7rocprim17ROCPRIM_400000_NS6detail17trampoline_kernelINS0_14default_configENS1_25transform_config_selectorIsLb0EEEZNS1_14transform_implILb0ES3_S5_NS0_18transform_iteratorINS0_17counting_iteratorImlEEZNS1_24adjacent_difference_implIS3_Lb1ELb0EPKsPsN6thrust23THRUST_200600_302600_NS4plusIsEEEE10hipError_tPvRmT2_T3_mT4_P12ihipStream_tbEUlmE_sEESD_NS0_8identityIvEEEESI_SL_SM_mSN_SP_bEUlT_E_NS1_11comp_targetILNS1_3genE3ELNS1_11target_archE908ELNS1_3gpuE7ELNS1_3repE0EEENS1_30default_config_static_selectorELNS0_4arch9wavefront6targetE1EEEvT1_,@function
_ZN7rocprim17ROCPRIM_400000_NS6detail17trampoline_kernelINS0_14default_configENS1_25transform_config_selectorIsLb0EEEZNS1_14transform_implILb0ES3_S5_NS0_18transform_iteratorINS0_17counting_iteratorImlEEZNS1_24adjacent_difference_implIS3_Lb1ELb0EPKsPsN6thrust23THRUST_200600_302600_NS4plusIsEEEE10hipError_tPvRmT2_T3_mT4_P12ihipStream_tbEUlmE_sEESD_NS0_8identityIvEEEESI_SL_SM_mSN_SP_bEUlT_E_NS1_11comp_targetILNS1_3genE3ELNS1_11target_archE908ELNS1_3gpuE7ELNS1_3repE0EEENS1_30default_config_static_selectorELNS0_4arch9wavefront6targetE1EEEvT1_: ; @_ZN7rocprim17ROCPRIM_400000_NS6detail17trampoline_kernelINS0_14default_configENS1_25transform_config_selectorIsLb0EEEZNS1_14transform_implILb0ES3_S5_NS0_18transform_iteratorINS0_17counting_iteratorImlEEZNS1_24adjacent_difference_implIS3_Lb1ELb0EPKsPsN6thrust23THRUST_200600_302600_NS4plusIsEEEE10hipError_tPvRmT2_T3_mT4_P12ihipStream_tbEUlmE_sEESD_NS0_8identityIvEEEESI_SL_SM_mSN_SP_bEUlT_E_NS1_11comp_targetILNS1_3genE3ELNS1_11target_archE908ELNS1_3gpuE7ELNS1_3repE0EEENS1_30default_config_static_selectorELNS0_4arch9wavefront6targetE1EEEvT1_
; %bb.0:
	.section	.rodata,"a",@progbits
	.p2align	6, 0x0
	.amdhsa_kernel _ZN7rocprim17ROCPRIM_400000_NS6detail17trampoline_kernelINS0_14default_configENS1_25transform_config_selectorIsLb0EEEZNS1_14transform_implILb0ES3_S5_NS0_18transform_iteratorINS0_17counting_iteratorImlEEZNS1_24adjacent_difference_implIS3_Lb1ELb0EPKsPsN6thrust23THRUST_200600_302600_NS4plusIsEEEE10hipError_tPvRmT2_T3_mT4_P12ihipStream_tbEUlmE_sEESD_NS0_8identityIvEEEESI_SL_SM_mSN_SP_bEUlT_E_NS1_11comp_targetILNS1_3genE3ELNS1_11target_archE908ELNS1_3gpuE7ELNS1_3repE0EEENS1_30default_config_static_selectorELNS0_4arch9wavefront6targetE1EEEvT1_
		.amdhsa_group_segment_fixed_size 0
		.amdhsa_private_segment_fixed_size 0
		.amdhsa_kernarg_size 56
		.amdhsa_user_sgpr_count 6
		.amdhsa_user_sgpr_private_segment_buffer 1
		.amdhsa_user_sgpr_dispatch_ptr 0
		.amdhsa_user_sgpr_queue_ptr 0
		.amdhsa_user_sgpr_kernarg_segment_ptr 1
		.amdhsa_user_sgpr_dispatch_id 0
		.amdhsa_user_sgpr_flat_scratch_init 0
		.amdhsa_user_sgpr_kernarg_preload_length 0
		.amdhsa_user_sgpr_kernarg_preload_offset 0
		.amdhsa_user_sgpr_private_segment_size 0
		.amdhsa_uses_dynamic_stack 0
		.amdhsa_system_sgpr_private_segment_wavefront_offset 0
		.amdhsa_system_sgpr_workgroup_id_x 1
		.amdhsa_system_sgpr_workgroup_id_y 0
		.amdhsa_system_sgpr_workgroup_id_z 0
		.amdhsa_system_sgpr_workgroup_info 0
		.amdhsa_system_vgpr_workitem_id 0
		.amdhsa_next_free_vgpr 1
		.amdhsa_next_free_sgpr 0
		.amdhsa_accum_offset 4
		.amdhsa_reserve_vcc 0
		.amdhsa_reserve_flat_scratch 0
		.amdhsa_float_round_mode_32 0
		.amdhsa_float_round_mode_16_64 0
		.amdhsa_float_denorm_mode_32 3
		.amdhsa_float_denorm_mode_16_64 3
		.amdhsa_dx10_clamp 1
		.amdhsa_ieee_mode 1
		.amdhsa_fp16_overflow 0
		.amdhsa_tg_split 0
		.amdhsa_exception_fp_ieee_invalid_op 0
		.amdhsa_exception_fp_denorm_src 0
		.amdhsa_exception_fp_ieee_div_zero 0
		.amdhsa_exception_fp_ieee_overflow 0
		.amdhsa_exception_fp_ieee_underflow 0
		.amdhsa_exception_fp_ieee_inexact 0
		.amdhsa_exception_int_div_zero 0
	.end_amdhsa_kernel
	.section	.text._ZN7rocprim17ROCPRIM_400000_NS6detail17trampoline_kernelINS0_14default_configENS1_25transform_config_selectorIsLb0EEEZNS1_14transform_implILb0ES3_S5_NS0_18transform_iteratorINS0_17counting_iteratorImlEEZNS1_24adjacent_difference_implIS3_Lb1ELb0EPKsPsN6thrust23THRUST_200600_302600_NS4plusIsEEEE10hipError_tPvRmT2_T3_mT4_P12ihipStream_tbEUlmE_sEESD_NS0_8identityIvEEEESI_SL_SM_mSN_SP_bEUlT_E_NS1_11comp_targetILNS1_3genE3ELNS1_11target_archE908ELNS1_3gpuE7ELNS1_3repE0EEENS1_30default_config_static_selectorELNS0_4arch9wavefront6targetE1EEEvT1_,"axG",@progbits,_ZN7rocprim17ROCPRIM_400000_NS6detail17trampoline_kernelINS0_14default_configENS1_25transform_config_selectorIsLb0EEEZNS1_14transform_implILb0ES3_S5_NS0_18transform_iteratorINS0_17counting_iteratorImlEEZNS1_24adjacent_difference_implIS3_Lb1ELb0EPKsPsN6thrust23THRUST_200600_302600_NS4plusIsEEEE10hipError_tPvRmT2_T3_mT4_P12ihipStream_tbEUlmE_sEESD_NS0_8identityIvEEEESI_SL_SM_mSN_SP_bEUlT_E_NS1_11comp_targetILNS1_3genE3ELNS1_11target_archE908ELNS1_3gpuE7ELNS1_3repE0EEENS1_30default_config_static_selectorELNS0_4arch9wavefront6targetE1EEEvT1_,comdat
.Lfunc_end527:
	.size	_ZN7rocprim17ROCPRIM_400000_NS6detail17trampoline_kernelINS0_14default_configENS1_25transform_config_selectorIsLb0EEEZNS1_14transform_implILb0ES3_S5_NS0_18transform_iteratorINS0_17counting_iteratorImlEEZNS1_24adjacent_difference_implIS3_Lb1ELb0EPKsPsN6thrust23THRUST_200600_302600_NS4plusIsEEEE10hipError_tPvRmT2_T3_mT4_P12ihipStream_tbEUlmE_sEESD_NS0_8identityIvEEEESI_SL_SM_mSN_SP_bEUlT_E_NS1_11comp_targetILNS1_3genE3ELNS1_11target_archE908ELNS1_3gpuE7ELNS1_3repE0EEENS1_30default_config_static_selectorELNS0_4arch9wavefront6targetE1EEEvT1_, .Lfunc_end527-_ZN7rocprim17ROCPRIM_400000_NS6detail17trampoline_kernelINS0_14default_configENS1_25transform_config_selectorIsLb0EEEZNS1_14transform_implILb0ES3_S5_NS0_18transform_iteratorINS0_17counting_iteratorImlEEZNS1_24adjacent_difference_implIS3_Lb1ELb0EPKsPsN6thrust23THRUST_200600_302600_NS4plusIsEEEE10hipError_tPvRmT2_T3_mT4_P12ihipStream_tbEUlmE_sEESD_NS0_8identityIvEEEESI_SL_SM_mSN_SP_bEUlT_E_NS1_11comp_targetILNS1_3genE3ELNS1_11target_archE908ELNS1_3gpuE7ELNS1_3repE0EEENS1_30default_config_static_selectorELNS0_4arch9wavefront6targetE1EEEvT1_
                                        ; -- End function
	.section	.AMDGPU.csdata,"",@progbits
; Kernel info:
; codeLenInByte = 0
; NumSgprs: 4
; NumVgprs: 0
; NumAgprs: 0
; TotalNumVgprs: 0
; ScratchSize: 0
; MemoryBound: 0
; FloatMode: 240
; IeeeMode: 1
; LDSByteSize: 0 bytes/workgroup (compile time only)
; SGPRBlocks: 0
; VGPRBlocks: 0
; NumSGPRsForWavesPerEU: 4
; NumVGPRsForWavesPerEU: 1
; AccumOffset: 4
; Occupancy: 8
; WaveLimiterHint : 0
; COMPUTE_PGM_RSRC2:SCRATCH_EN: 0
; COMPUTE_PGM_RSRC2:USER_SGPR: 6
; COMPUTE_PGM_RSRC2:TRAP_HANDLER: 0
; COMPUTE_PGM_RSRC2:TGID_X_EN: 1
; COMPUTE_PGM_RSRC2:TGID_Y_EN: 0
; COMPUTE_PGM_RSRC2:TGID_Z_EN: 0
; COMPUTE_PGM_RSRC2:TIDIG_COMP_CNT: 0
; COMPUTE_PGM_RSRC3_GFX90A:ACCUM_OFFSET: 0
; COMPUTE_PGM_RSRC3_GFX90A:TG_SPLIT: 0
	.section	.text._ZN7rocprim17ROCPRIM_400000_NS6detail17trampoline_kernelINS0_14default_configENS1_25transform_config_selectorIsLb0EEEZNS1_14transform_implILb0ES3_S5_NS0_18transform_iteratorINS0_17counting_iteratorImlEEZNS1_24adjacent_difference_implIS3_Lb1ELb0EPKsPsN6thrust23THRUST_200600_302600_NS4plusIsEEEE10hipError_tPvRmT2_T3_mT4_P12ihipStream_tbEUlmE_sEESD_NS0_8identityIvEEEESI_SL_SM_mSN_SP_bEUlT_E_NS1_11comp_targetILNS1_3genE2ELNS1_11target_archE906ELNS1_3gpuE6ELNS1_3repE0EEENS1_30default_config_static_selectorELNS0_4arch9wavefront6targetE1EEEvT1_,"axG",@progbits,_ZN7rocprim17ROCPRIM_400000_NS6detail17trampoline_kernelINS0_14default_configENS1_25transform_config_selectorIsLb0EEEZNS1_14transform_implILb0ES3_S5_NS0_18transform_iteratorINS0_17counting_iteratorImlEEZNS1_24adjacent_difference_implIS3_Lb1ELb0EPKsPsN6thrust23THRUST_200600_302600_NS4plusIsEEEE10hipError_tPvRmT2_T3_mT4_P12ihipStream_tbEUlmE_sEESD_NS0_8identityIvEEEESI_SL_SM_mSN_SP_bEUlT_E_NS1_11comp_targetILNS1_3genE2ELNS1_11target_archE906ELNS1_3gpuE6ELNS1_3repE0EEENS1_30default_config_static_selectorELNS0_4arch9wavefront6targetE1EEEvT1_,comdat
	.protected	_ZN7rocprim17ROCPRIM_400000_NS6detail17trampoline_kernelINS0_14default_configENS1_25transform_config_selectorIsLb0EEEZNS1_14transform_implILb0ES3_S5_NS0_18transform_iteratorINS0_17counting_iteratorImlEEZNS1_24adjacent_difference_implIS3_Lb1ELb0EPKsPsN6thrust23THRUST_200600_302600_NS4plusIsEEEE10hipError_tPvRmT2_T3_mT4_P12ihipStream_tbEUlmE_sEESD_NS0_8identityIvEEEESI_SL_SM_mSN_SP_bEUlT_E_NS1_11comp_targetILNS1_3genE2ELNS1_11target_archE906ELNS1_3gpuE6ELNS1_3repE0EEENS1_30default_config_static_selectorELNS0_4arch9wavefront6targetE1EEEvT1_ ; -- Begin function _ZN7rocprim17ROCPRIM_400000_NS6detail17trampoline_kernelINS0_14default_configENS1_25transform_config_selectorIsLb0EEEZNS1_14transform_implILb0ES3_S5_NS0_18transform_iteratorINS0_17counting_iteratorImlEEZNS1_24adjacent_difference_implIS3_Lb1ELb0EPKsPsN6thrust23THRUST_200600_302600_NS4plusIsEEEE10hipError_tPvRmT2_T3_mT4_P12ihipStream_tbEUlmE_sEESD_NS0_8identityIvEEEESI_SL_SM_mSN_SP_bEUlT_E_NS1_11comp_targetILNS1_3genE2ELNS1_11target_archE906ELNS1_3gpuE6ELNS1_3repE0EEENS1_30default_config_static_selectorELNS0_4arch9wavefront6targetE1EEEvT1_
	.globl	_ZN7rocprim17ROCPRIM_400000_NS6detail17trampoline_kernelINS0_14default_configENS1_25transform_config_selectorIsLb0EEEZNS1_14transform_implILb0ES3_S5_NS0_18transform_iteratorINS0_17counting_iteratorImlEEZNS1_24adjacent_difference_implIS3_Lb1ELb0EPKsPsN6thrust23THRUST_200600_302600_NS4plusIsEEEE10hipError_tPvRmT2_T3_mT4_P12ihipStream_tbEUlmE_sEESD_NS0_8identityIvEEEESI_SL_SM_mSN_SP_bEUlT_E_NS1_11comp_targetILNS1_3genE2ELNS1_11target_archE906ELNS1_3gpuE6ELNS1_3repE0EEENS1_30default_config_static_selectorELNS0_4arch9wavefront6targetE1EEEvT1_
	.p2align	8
	.type	_ZN7rocprim17ROCPRIM_400000_NS6detail17trampoline_kernelINS0_14default_configENS1_25transform_config_selectorIsLb0EEEZNS1_14transform_implILb0ES3_S5_NS0_18transform_iteratorINS0_17counting_iteratorImlEEZNS1_24adjacent_difference_implIS3_Lb1ELb0EPKsPsN6thrust23THRUST_200600_302600_NS4plusIsEEEE10hipError_tPvRmT2_T3_mT4_P12ihipStream_tbEUlmE_sEESD_NS0_8identityIvEEEESI_SL_SM_mSN_SP_bEUlT_E_NS1_11comp_targetILNS1_3genE2ELNS1_11target_archE906ELNS1_3gpuE6ELNS1_3repE0EEENS1_30default_config_static_selectorELNS0_4arch9wavefront6targetE1EEEvT1_,@function
_ZN7rocprim17ROCPRIM_400000_NS6detail17trampoline_kernelINS0_14default_configENS1_25transform_config_selectorIsLb0EEEZNS1_14transform_implILb0ES3_S5_NS0_18transform_iteratorINS0_17counting_iteratorImlEEZNS1_24adjacent_difference_implIS3_Lb1ELb0EPKsPsN6thrust23THRUST_200600_302600_NS4plusIsEEEE10hipError_tPvRmT2_T3_mT4_P12ihipStream_tbEUlmE_sEESD_NS0_8identityIvEEEESI_SL_SM_mSN_SP_bEUlT_E_NS1_11comp_targetILNS1_3genE2ELNS1_11target_archE906ELNS1_3gpuE6ELNS1_3repE0EEENS1_30default_config_static_selectorELNS0_4arch9wavefront6targetE1EEEvT1_: ; @_ZN7rocprim17ROCPRIM_400000_NS6detail17trampoline_kernelINS0_14default_configENS1_25transform_config_selectorIsLb0EEEZNS1_14transform_implILb0ES3_S5_NS0_18transform_iteratorINS0_17counting_iteratorImlEEZNS1_24adjacent_difference_implIS3_Lb1ELb0EPKsPsN6thrust23THRUST_200600_302600_NS4plusIsEEEE10hipError_tPvRmT2_T3_mT4_P12ihipStream_tbEUlmE_sEESD_NS0_8identityIvEEEESI_SL_SM_mSN_SP_bEUlT_E_NS1_11comp_targetILNS1_3genE2ELNS1_11target_archE906ELNS1_3gpuE6ELNS1_3repE0EEENS1_30default_config_static_selectorELNS0_4arch9wavefront6targetE1EEEvT1_
; %bb.0:
	.section	.rodata,"a",@progbits
	.p2align	6, 0x0
	.amdhsa_kernel _ZN7rocprim17ROCPRIM_400000_NS6detail17trampoline_kernelINS0_14default_configENS1_25transform_config_selectorIsLb0EEEZNS1_14transform_implILb0ES3_S5_NS0_18transform_iteratorINS0_17counting_iteratorImlEEZNS1_24adjacent_difference_implIS3_Lb1ELb0EPKsPsN6thrust23THRUST_200600_302600_NS4plusIsEEEE10hipError_tPvRmT2_T3_mT4_P12ihipStream_tbEUlmE_sEESD_NS0_8identityIvEEEESI_SL_SM_mSN_SP_bEUlT_E_NS1_11comp_targetILNS1_3genE2ELNS1_11target_archE906ELNS1_3gpuE6ELNS1_3repE0EEENS1_30default_config_static_selectorELNS0_4arch9wavefront6targetE1EEEvT1_
		.amdhsa_group_segment_fixed_size 0
		.amdhsa_private_segment_fixed_size 0
		.amdhsa_kernarg_size 56
		.amdhsa_user_sgpr_count 6
		.amdhsa_user_sgpr_private_segment_buffer 1
		.amdhsa_user_sgpr_dispatch_ptr 0
		.amdhsa_user_sgpr_queue_ptr 0
		.amdhsa_user_sgpr_kernarg_segment_ptr 1
		.amdhsa_user_sgpr_dispatch_id 0
		.amdhsa_user_sgpr_flat_scratch_init 0
		.amdhsa_user_sgpr_kernarg_preload_length 0
		.amdhsa_user_sgpr_kernarg_preload_offset 0
		.amdhsa_user_sgpr_private_segment_size 0
		.amdhsa_uses_dynamic_stack 0
		.amdhsa_system_sgpr_private_segment_wavefront_offset 0
		.amdhsa_system_sgpr_workgroup_id_x 1
		.amdhsa_system_sgpr_workgroup_id_y 0
		.amdhsa_system_sgpr_workgroup_id_z 0
		.amdhsa_system_sgpr_workgroup_info 0
		.amdhsa_system_vgpr_workitem_id 0
		.amdhsa_next_free_vgpr 1
		.amdhsa_next_free_sgpr 0
		.amdhsa_accum_offset 4
		.amdhsa_reserve_vcc 0
		.amdhsa_reserve_flat_scratch 0
		.amdhsa_float_round_mode_32 0
		.amdhsa_float_round_mode_16_64 0
		.amdhsa_float_denorm_mode_32 3
		.amdhsa_float_denorm_mode_16_64 3
		.amdhsa_dx10_clamp 1
		.amdhsa_ieee_mode 1
		.amdhsa_fp16_overflow 0
		.amdhsa_tg_split 0
		.amdhsa_exception_fp_ieee_invalid_op 0
		.amdhsa_exception_fp_denorm_src 0
		.amdhsa_exception_fp_ieee_div_zero 0
		.amdhsa_exception_fp_ieee_overflow 0
		.amdhsa_exception_fp_ieee_underflow 0
		.amdhsa_exception_fp_ieee_inexact 0
		.amdhsa_exception_int_div_zero 0
	.end_amdhsa_kernel
	.section	.text._ZN7rocprim17ROCPRIM_400000_NS6detail17trampoline_kernelINS0_14default_configENS1_25transform_config_selectorIsLb0EEEZNS1_14transform_implILb0ES3_S5_NS0_18transform_iteratorINS0_17counting_iteratorImlEEZNS1_24adjacent_difference_implIS3_Lb1ELb0EPKsPsN6thrust23THRUST_200600_302600_NS4plusIsEEEE10hipError_tPvRmT2_T3_mT4_P12ihipStream_tbEUlmE_sEESD_NS0_8identityIvEEEESI_SL_SM_mSN_SP_bEUlT_E_NS1_11comp_targetILNS1_3genE2ELNS1_11target_archE906ELNS1_3gpuE6ELNS1_3repE0EEENS1_30default_config_static_selectorELNS0_4arch9wavefront6targetE1EEEvT1_,"axG",@progbits,_ZN7rocprim17ROCPRIM_400000_NS6detail17trampoline_kernelINS0_14default_configENS1_25transform_config_selectorIsLb0EEEZNS1_14transform_implILb0ES3_S5_NS0_18transform_iteratorINS0_17counting_iteratorImlEEZNS1_24adjacent_difference_implIS3_Lb1ELb0EPKsPsN6thrust23THRUST_200600_302600_NS4plusIsEEEE10hipError_tPvRmT2_T3_mT4_P12ihipStream_tbEUlmE_sEESD_NS0_8identityIvEEEESI_SL_SM_mSN_SP_bEUlT_E_NS1_11comp_targetILNS1_3genE2ELNS1_11target_archE906ELNS1_3gpuE6ELNS1_3repE0EEENS1_30default_config_static_selectorELNS0_4arch9wavefront6targetE1EEEvT1_,comdat
.Lfunc_end528:
	.size	_ZN7rocprim17ROCPRIM_400000_NS6detail17trampoline_kernelINS0_14default_configENS1_25transform_config_selectorIsLb0EEEZNS1_14transform_implILb0ES3_S5_NS0_18transform_iteratorINS0_17counting_iteratorImlEEZNS1_24adjacent_difference_implIS3_Lb1ELb0EPKsPsN6thrust23THRUST_200600_302600_NS4plusIsEEEE10hipError_tPvRmT2_T3_mT4_P12ihipStream_tbEUlmE_sEESD_NS0_8identityIvEEEESI_SL_SM_mSN_SP_bEUlT_E_NS1_11comp_targetILNS1_3genE2ELNS1_11target_archE906ELNS1_3gpuE6ELNS1_3repE0EEENS1_30default_config_static_selectorELNS0_4arch9wavefront6targetE1EEEvT1_, .Lfunc_end528-_ZN7rocprim17ROCPRIM_400000_NS6detail17trampoline_kernelINS0_14default_configENS1_25transform_config_selectorIsLb0EEEZNS1_14transform_implILb0ES3_S5_NS0_18transform_iteratorINS0_17counting_iteratorImlEEZNS1_24adjacent_difference_implIS3_Lb1ELb0EPKsPsN6thrust23THRUST_200600_302600_NS4plusIsEEEE10hipError_tPvRmT2_T3_mT4_P12ihipStream_tbEUlmE_sEESD_NS0_8identityIvEEEESI_SL_SM_mSN_SP_bEUlT_E_NS1_11comp_targetILNS1_3genE2ELNS1_11target_archE906ELNS1_3gpuE6ELNS1_3repE0EEENS1_30default_config_static_selectorELNS0_4arch9wavefront6targetE1EEEvT1_
                                        ; -- End function
	.section	.AMDGPU.csdata,"",@progbits
; Kernel info:
; codeLenInByte = 0
; NumSgprs: 4
; NumVgprs: 0
; NumAgprs: 0
; TotalNumVgprs: 0
; ScratchSize: 0
; MemoryBound: 0
; FloatMode: 240
; IeeeMode: 1
; LDSByteSize: 0 bytes/workgroup (compile time only)
; SGPRBlocks: 0
; VGPRBlocks: 0
; NumSGPRsForWavesPerEU: 4
; NumVGPRsForWavesPerEU: 1
; AccumOffset: 4
; Occupancy: 8
; WaveLimiterHint : 0
; COMPUTE_PGM_RSRC2:SCRATCH_EN: 0
; COMPUTE_PGM_RSRC2:USER_SGPR: 6
; COMPUTE_PGM_RSRC2:TRAP_HANDLER: 0
; COMPUTE_PGM_RSRC2:TGID_X_EN: 1
; COMPUTE_PGM_RSRC2:TGID_Y_EN: 0
; COMPUTE_PGM_RSRC2:TGID_Z_EN: 0
; COMPUTE_PGM_RSRC2:TIDIG_COMP_CNT: 0
; COMPUTE_PGM_RSRC3_GFX90A:ACCUM_OFFSET: 0
; COMPUTE_PGM_RSRC3_GFX90A:TG_SPLIT: 0
	.section	.text._ZN7rocprim17ROCPRIM_400000_NS6detail17trampoline_kernelINS0_14default_configENS1_25transform_config_selectorIsLb0EEEZNS1_14transform_implILb0ES3_S5_NS0_18transform_iteratorINS0_17counting_iteratorImlEEZNS1_24adjacent_difference_implIS3_Lb1ELb0EPKsPsN6thrust23THRUST_200600_302600_NS4plusIsEEEE10hipError_tPvRmT2_T3_mT4_P12ihipStream_tbEUlmE_sEESD_NS0_8identityIvEEEESI_SL_SM_mSN_SP_bEUlT_E_NS1_11comp_targetILNS1_3genE10ELNS1_11target_archE1201ELNS1_3gpuE5ELNS1_3repE0EEENS1_30default_config_static_selectorELNS0_4arch9wavefront6targetE1EEEvT1_,"axG",@progbits,_ZN7rocprim17ROCPRIM_400000_NS6detail17trampoline_kernelINS0_14default_configENS1_25transform_config_selectorIsLb0EEEZNS1_14transform_implILb0ES3_S5_NS0_18transform_iteratorINS0_17counting_iteratorImlEEZNS1_24adjacent_difference_implIS3_Lb1ELb0EPKsPsN6thrust23THRUST_200600_302600_NS4plusIsEEEE10hipError_tPvRmT2_T3_mT4_P12ihipStream_tbEUlmE_sEESD_NS0_8identityIvEEEESI_SL_SM_mSN_SP_bEUlT_E_NS1_11comp_targetILNS1_3genE10ELNS1_11target_archE1201ELNS1_3gpuE5ELNS1_3repE0EEENS1_30default_config_static_selectorELNS0_4arch9wavefront6targetE1EEEvT1_,comdat
	.protected	_ZN7rocprim17ROCPRIM_400000_NS6detail17trampoline_kernelINS0_14default_configENS1_25transform_config_selectorIsLb0EEEZNS1_14transform_implILb0ES3_S5_NS0_18transform_iteratorINS0_17counting_iteratorImlEEZNS1_24adjacent_difference_implIS3_Lb1ELb0EPKsPsN6thrust23THRUST_200600_302600_NS4plusIsEEEE10hipError_tPvRmT2_T3_mT4_P12ihipStream_tbEUlmE_sEESD_NS0_8identityIvEEEESI_SL_SM_mSN_SP_bEUlT_E_NS1_11comp_targetILNS1_3genE10ELNS1_11target_archE1201ELNS1_3gpuE5ELNS1_3repE0EEENS1_30default_config_static_selectorELNS0_4arch9wavefront6targetE1EEEvT1_ ; -- Begin function _ZN7rocprim17ROCPRIM_400000_NS6detail17trampoline_kernelINS0_14default_configENS1_25transform_config_selectorIsLb0EEEZNS1_14transform_implILb0ES3_S5_NS0_18transform_iteratorINS0_17counting_iteratorImlEEZNS1_24adjacent_difference_implIS3_Lb1ELb0EPKsPsN6thrust23THRUST_200600_302600_NS4plusIsEEEE10hipError_tPvRmT2_T3_mT4_P12ihipStream_tbEUlmE_sEESD_NS0_8identityIvEEEESI_SL_SM_mSN_SP_bEUlT_E_NS1_11comp_targetILNS1_3genE10ELNS1_11target_archE1201ELNS1_3gpuE5ELNS1_3repE0EEENS1_30default_config_static_selectorELNS0_4arch9wavefront6targetE1EEEvT1_
	.globl	_ZN7rocprim17ROCPRIM_400000_NS6detail17trampoline_kernelINS0_14default_configENS1_25transform_config_selectorIsLb0EEEZNS1_14transform_implILb0ES3_S5_NS0_18transform_iteratorINS0_17counting_iteratorImlEEZNS1_24adjacent_difference_implIS3_Lb1ELb0EPKsPsN6thrust23THRUST_200600_302600_NS4plusIsEEEE10hipError_tPvRmT2_T3_mT4_P12ihipStream_tbEUlmE_sEESD_NS0_8identityIvEEEESI_SL_SM_mSN_SP_bEUlT_E_NS1_11comp_targetILNS1_3genE10ELNS1_11target_archE1201ELNS1_3gpuE5ELNS1_3repE0EEENS1_30default_config_static_selectorELNS0_4arch9wavefront6targetE1EEEvT1_
	.p2align	8
	.type	_ZN7rocprim17ROCPRIM_400000_NS6detail17trampoline_kernelINS0_14default_configENS1_25transform_config_selectorIsLb0EEEZNS1_14transform_implILb0ES3_S5_NS0_18transform_iteratorINS0_17counting_iteratorImlEEZNS1_24adjacent_difference_implIS3_Lb1ELb0EPKsPsN6thrust23THRUST_200600_302600_NS4plusIsEEEE10hipError_tPvRmT2_T3_mT4_P12ihipStream_tbEUlmE_sEESD_NS0_8identityIvEEEESI_SL_SM_mSN_SP_bEUlT_E_NS1_11comp_targetILNS1_3genE10ELNS1_11target_archE1201ELNS1_3gpuE5ELNS1_3repE0EEENS1_30default_config_static_selectorELNS0_4arch9wavefront6targetE1EEEvT1_,@function
_ZN7rocprim17ROCPRIM_400000_NS6detail17trampoline_kernelINS0_14default_configENS1_25transform_config_selectorIsLb0EEEZNS1_14transform_implILb0ES3_S5_NS0_18transform_iteratorINS0_17counting_iteratorImlEEZNS1_24adjacent_difference_implIS3_Lb1ELb0EPKsPsN6thrust23THRUST_200600_302600_NS4plusIsEEEE10hipError_tPvRmT2_T3_mT4_P12ihipStream_tbEUlmE_sEESD_NS0_8identityIvEEEESI_SL_SM_mSN_SP_bEUlT_E_NS1_11comp_targetILNS1_3genE10ELNS1_11target_archE1201ELNS1_3gpuE5ELNS1_3repE0EEENS1_30default_config_static_selectorELNS0_4arch9wavefront6targetE1EEEvT1_: ; @_ZN7rocprim17ROCPRIM_400000_NS6detail17trampoline_kernelINS0_14default_configENS1_25transform_config_selectorIsLb0EEEZNS1_14transform_implILb0ES3_S5_NS0_18transform_iteratorINS0_17counting_iteratorImlEEZNS1_24adjacent_difference_implIS3_Lb1ELb0EPKsPsN6thrust23THRUST_200600_302600_NS4plusIsEEEE10hipError_tPvRmT2_T3_mT4_P12ihipStream_tbEUlmE_sEESD_NS0_8identityIvEEEESI_SL_SM_mSN_SP_bEUlT_E_NS1_11comp_targetILNS1_3genE10ELNS1_11target_archE1201ELNS1_3gpuE5ELNS1_3repE0EEENS1_30default_config_static_selectorELNS0_4arch9wavefront6targetE1EEEvT1_
; %bb.0:
	.section	.rodata,"a",@progbits
	.p2align	6, 0x0
	.amdhsa_kernel _ZN7rocprim17ROCPRIM_400000_NS6detail17trampoline_kernelINS0_14default_configENS1_25transform_config_selectorIsLb0EEEZNS1_14transform_implILb0ES3_S5_NS0_18transform_iteratorINS0_17counting_iteratorImlEEZNS1_24adjacent_difference_implIS3_Lb1ELb0EPKsPsN6thrust23THRUST_200600_302600_NS4plusIsEEEE10hipError_tPvRmT2_T3_mT4_P12ihipStream_tbEUlmE_sEESD_NS0_8identityIvEEEESI_SL_SM_mSN_SP_bEUlT_E_NS1_11comp_targetILNS1_3genE10ELNS1_11target_archE1201ELNS1_3gpuE5ELNS1_3repE0EEENS1_30default_config_static_selectorELNS0_4arch9wavefront6targetE1EEEvT1_
		.amdhsa_group_segment_fixed_size 0
		.amdhsa_private_segment_fixed_size 0
		.amdhsa_kernarg_size 56
		.amdhsa_user_sgpr_count 6
		.amdhsa_user_sgpr_private_segment_buffer 1
		.amdhsa_user_sgpr_dispatch_ptr 0
		.amdhsa_user_sgpr_queue_ptr 0
		.amdhsa_user_sgpr_kernarg_segment_ptr 1
		.amdhsa_user_sgpr_dispatch_id 0
		.amdhsa_user_sgpr_flat_scratch_init 0
		.amdhsa_user_sgpr_kernarg_preload_length 0
		.amdhsa_user_sgpr_kernarg_preload_offset 0
		.amdhsa_user_sgpr_private_segment_size 0
		.amdhsa_uses_dynamic_stack 0
		.amdhsa_system_sgpr_private_segment_wavefront_offset 0
		.amdhsa_system_sgpr_workgroup_id_x 1
		.amdhsa_system_sgpr_workgroup_id_y 0
		.amdhsa_system_sgpr_workgroup_id_z 0
		.amdhsa_system_sgpr_workgroup_info 0
		.amdhsa_system_vgpr_workitem_id 0
		.amdhsa_next_free_vgpr 1
		.amdhsa_next_free_sgpr 0
		.amdhsa_accum_offset 4
		.amdhsa_reserve_vcc 0
		.amdhsa_reserve_flat_scratch 0
		.amdhsa_float_round_mode_32 0
		.amdhsa_float_round_mode_16_64 0
		.amdhsa_float_denorm_mode_32 3
		.amdhsa_float_denorm_mode_16_64 3
		.amdhsa_dx10_clamp 1
		.amdhsa_ieee_mode 1
		.amdhsa_fp16_overflow 0
		.amdhsa_tg_split 0
		.amdhsa_exception_fp_ieee_invalid_op 0
		.amdhsa_exception_fp_denorm_src 0
		.amdhsa_exception_fp_ieee_div_zero 0
		.amdhsa_exception_fp_ieee_overflow 0
		.amdhsa_exception_fp_ieee_underflow 0
		.amdhsa_exception_fp_ieee_inexact 0
		.amdhsa_exception_int_div_zero 0
	.end_amdhsa_kernel
	.section	.text._ZN7rocprim17ROCPRIM_400000_NS6detail17trampoline_kernelINS0_14default_configENS1_25transform_config_selectorIsLb0EEEZNS1_14transform_implILb0ES3_S5_NS0_18transform_iteratorINS0_17counting_iteratorImlEEZNS1_24adjacent_difference_implIS3_Lb1ELb0EPKsPsN6thrust23THRUST_200600_302600_NS4plusIsEEEE10hipError_tPvRmT2_T3_mT4_P12ihipStream_tbEUlmE_sEESD_NS0_8identityIvEEEESI_SL_SM_mSN_SP_bEUlT_E_NS1_11comp_targetILNS1_3genE10ELNS1_11target_archE1201ELNS1_3gpuE5ELNS1_3repE0EEENS1_30default_config_static_selectorELNS0_4arch9wavefront6targetE1EEEvT1_,"axG",@progbits,_ZN7rocprim17ROCPRIM_400000_NS6detail17trampoline_kernelINS0_14default_configENS1_25transform_config_selectorIsLb0EEEZNS1_14transform_implILb0ES3_S5_NS0_18transform_iteratorINS0_17counting_iteratorImlEEZNS1_24adjacent_difference_implIS3_Lb1ELb0EPKsPsN6thrust23THRUST_200600_302600_NS4plusIsEEEE10hipError_tPvRmT2_T3_mT4_P12ihipStream_tbEUlmE_sEESD_NS0_8identityIvEEEESI_SL_SM_mSN_SP_bEUlT_E_NS1_11comp_targetILNS1_3genE10ELNS1_11target_archE1201ELNS1_3gpuE5ELNS1_3repE0EEENS1_30default_config_static_selectorELNS0_4arch9wavefront6targetE1EEEvT1_,comdat
.Lfunc_end529:
	.size	_ZN7rocprim17ROCPRIM_400000_NS6detail17trampoline_kernelINS0_14default_configENS1_25transform_config_selectorIsLb0EEEZNS1_14transform_implILb0ES3_S5_NS0_18transform_iteratorINS0_17counting_iteratorImlEEZNS1_24adjacent_difference_implIS3_Lb1ELb0EPKsPsN6thrust23THRUST_200600_302600_NS4plusIsEEEE10hipError_tPvRmT2_T3_mT4_P12ihipStream_tbEUlmE_sEESD_NS0_8identityIvEEEESI_SL_SM_mSN_SP_bEUlT_E_NS1_11comp_targetILNS1_3genE10ELNS1_11target_archE1201ELNS1_3gpuE5ELNS1_3repE0EEENS1_30default_config_static_selectorELNS0_4arch9wavefront6targetE1EEEvT1_, .Lfunc_end529-_ZN7rocprim17ROCPRIM_400000_NS6detail17trampoline_kernelINS0_14default_configENS1_25transform_config_selectorIsLb0EEEZNS1_14transform_implILb0ES3_S5_NS0_18transform_iteratorINS0_17counting_iteratorImlEEZNS1_24adjacent_difference_implIS3_Lb1ELb0EPKsPsN6thrust23THRUST_200600_302600_NS4plusIsEEEE10hipError_tPvRmT2_T3_mT4_P12ihipStream_tbEUlmE_sEESD_NS0_8identityIvEEEESI_SL_SM_mSN_SP_bEUlT_E_NS1_11comp_targetILNS1_3genE10ELNS1_11target_archE1201ELNS1_3gpuE5ELNS1_3repE0EEENS1_30default_config_static_selectorELNS0_4arch9wavefront6targetE1EEEvT1_
                                        ; -- End function
	.section	.AMDGPU.csdata,"",@progbits
; Kernel info:
; codeLenInByte = 0
; NumSgprs: 4
; NumVgprs: 0
; NumAgprs: 0
; TotalNumVgprs: 0
; ScratchSize: 0
; MemoryBound: 0
; FloatMode: 240
; IeeeMode: 1
; LDSByteSize: 0 bytes/workgroup (compile time only)
; SGPRBlocks: 0
; VGPRBlocks: 0
; NumSGPRsForWavesPerEU: 4
; NumVGPRsForWavesPerEU: 1
; AccumOffset: 4
; Occupancy: 8
; WaveLimiterHint : 0
; COMPUTE_PGM_RSRC2:SCRATCH_EN: 0
; COMPUTE_PGM_RSRC2:USER_SGPR: 6
; COMPUTE_PGM_RSRC2:TRAP_HANDLER: 0
; COMPUTE_PGM_RSRC2:TGID_X_EN: 1
; COMPUTE_PGM_RSRC2:TGID_Y_EN: 0
; COMPUTE_PGM_RSRC2:TGID_Z_EN: 0
; COMPUTE_PGM_RSRC2:TIDIG_COMP_CNT: 0
; COMPUTE_PGM_RSRC3_GFX90A:ACCUM_OFFSET: 0
; COMPUTE_PGM_RSRC3_GFX90A:TG_SPLIT: 0
	.section	.text._ZN7rocprim17ROCPRIM_400000_NS6detail17trampoline_kernelINS0_14default_configENS1_25transform_config_selectorIsLb0EEEZNS1_14transform_implILb0ES3_S5_NS0_18transform_iteratorINS0_17counting_iteratorImlEEZNS1_24adjacent_difference_implIS3_Lb1ELb0EPKsPsN6thrust23THRUST_200600_302600_NS4plusIsEEEE10hipError_tPvRmT2_T3_mT4_P12ihipStream_tbEUlmE_sEESD_NS0_8identityIvEEEESI_SL_SM_mSN_SP_bEUlT_E_NS1_11comp_targetILNS1_3genE10ELNS1_11target_archE1200ELNS1_3gpuE4ELNS1_3repE0EEENS1_30default_config_static_selectorELNS0_4arch9wavefront6targetE1EEEvT1_,"axG",@progbits,_ZN7rocprim17ROCPRIM_400000_NS6detail17trampoline_kernelINS0_14default_configENS1_25transform_config_selectorIsLb0EEEZNS1_14transform_implILb0ES3_S5_NS0_18transform_iteratorINS0_17counting_iteratorImlEEZNS1_24adjacent_difference_implIS3_Lb1ELb0EPKsPsN6thrust23THRUST_200600_302600_NS4plusIsEEEE10hipError_tPvRmT2_T3_mT4_P12ihipStream_tbEUlmE_sEESD_NS0_8identityIvEEEESI_SL_SM_mSN_SP_bEUlT_E_NS1_11comp_targetILNS1_3genE10ELNS1_11target_archE1200ELNS1_3gpuE4ELNS1_3repE0EEENS1_30default_config_static_selectorELNS0_4arch9wavefront6targetE1EEEvT1_,comdat
	.protected	_ZN7rocprim17ROCPRIM_400000_NS6detail17trampoline_kernelINS0_14default_configENS1_25transform_config_selectorIsLb0EEEZNS1_14transform_implILb0ES3_S5_NS0_18transform_iteratorINS0_17counting_iteratorImlEEZNS1_24adjacent_difference_implIS3_Lb1ELb0EPKsPsN6thrust23THRUST_200600_302600_NS4plusIsEEEE10hipError_tPvRmT2_T3_mT4_P12ihipStream_tbEUlmE_sEESD_NS0_8identityIvEEEESI_SL_SM_mSN_SP_bEUlT_E_NS1_11comp_targetILNS1_3genE10ELNS1_11target_archE1200ELNS1_3gpuE4ELNS1_3repE0EEENS1_30default_config_static_selectorELNS0_4arch9wavefront6targetE1EEEvT1_ ; -- Begin function _ZN7rocprim17ROCPRIM_400000_NS6detail17trampoline_kernelINS0_14default_configENS1_25transform_config_selectorIsLb0EEEZNS1_14transform_implILb0ES3_S5_NS0_18transform_iteratorINS0_17counting_iteratorImlEEZNS1_24adjacent_difference_implIS3_Lb1ELb0EPKsPsN6thrust23THRUST_200600_302600_NS4plusIsEEEE10hipError_tPvRmT2_T3_mT4_P12ihipStream_tbEUlmE_sEESD_NS0_8identityIvEEEESI_SL_SM_mSN_SP_bEUlT_E_NS1_11comp_targetILNS1_3genE10ELNS1_11target_archE1200ELNS1_3gpuE4ELNS1_3repE0EEENS1_30default_config_static_selectorELNS0_4arch9wavefront6targetE1EEEvT1_
	.globl	_ZN7rocprim17ROCPRIM_400000_NS6detail17trampoline_kernelINS0_14default_configENS1_25transform_config_selectorIsLb0EEEZNS1_14transform_implILb0ES3_S5_NS0_18transform_iteratorINS0_17counting_iteratorImlEEZNS1_24adjacent_difference_implIS3_Lb1ELb0EPKsPsN6thrust23THRUST_200600_302600_NS4plusIsEEEE10hipError_tPvRmT2_T3_mT4_P12ihipStream_tbEUlmE_sEESD_NS0_8identityIvEEEESI_SL_SM_mSN_SP_bEUlT_E_NS1_11comp_targetILNS1_3genE10ELNS1_11target_archE1200ELNS1_3gpuE4ELNS1_3repE0EEENS1_30default_config_static_selectorELNS0_4arch9wavefront6targetE1EEEvT1_
	.p2align	8
	.type	_ZN7rocprim17ROCPRIM_400000_NS6detail17trampoline_kernelINS0_14default_configENS1_25transform_config_selectorIsLb0EEEZNS1_14transform_implILb0ES3_S5_NS0_18transform_iteratorINS0_17counting_iteratorImlEEZNS1_24adjacent_difference_implIS3_Lb1ELb0EPKsPsN6thrust23THRUST_200600_302600_NS4plusIsEEEE10hipError_tPvRmT2_T3_mT4_P12ihipStream_tbEUlmE_sEESD_NS0_8identityIvEEEESI_SL_SM_mSN_SP_bEUlT_E_NS1_11comp_targetILNS1_3genE10ELNS1_11target_archE1200ELNS1_3gpuE4ELNS1_3repE0EEENS1_30default_config_static_selectorELNS0_4arch9wavefront6targetE1EEEvT1_,@function
_ZN7rocprim17ROCPRIM_400000_NS6detail17trampoline_kernelINS0_14default_configENS1_25transform_config_selectorIsLb0EEEZNS1_14transform_implILb0ES3_S5_NS0_18transform_iteratorINS0_17counting_iteratorImlEEZNS1_24adjacent_difference_implIS3_Lb1ELb0EPKsPsN6thrust23THRUST_200600_302600_NS4plusIsEEEE10hipError_tPvRmT2_T3_mT4_P12ihipStream_tbEUlmE_sEESD_NS0_8identityIvEEEESI_SL_SM_mSN_SP_bEUlT_E_NS1_11comp_targetILNS1_3genE10ELNS1_11target_archE1200ELNS1_3gpuE4ELNS1_3repE0EEENS1_30default_config_static_selectorELNS0_4arch9wavefront6targetE1EEEvT1_: ; @_ZN7rocprim17ROCPRIM_400000_NS6detail17trampoline_kernelINS0_14default_configENS1_25transform_config_selectorIsLb0EEEZNS1_14transform_implILb0ES3_S5_NS0_18transform_iteratorINS0_17counting_iteratorImlEEZNS1_24adjacent_difference_implIS3_Lb1ELb0EPKsPsN6thrust23THRUST_200600_302600_NS4plusIsEEEE10hipError_tPvRmT2_T3_mT4_P12ihipStream_tbEUlmE_sEESD_NS0_8identityIvEEEESI_SL_SM_mSN_SP_bEUlT_E_NS1_11comp_targetILNS1_3genE10ELNS1_11target_archE1200ELNS1_3gpuE4ELNS1_3repE0EEENS1_30default_config_static_selectorELNS0_4arch9wavefront6targetE1EEEvT1_
; %bb.0:
	.section	.rodata,"a",@progbits
	.p2align	6, 0x0
	.amdhsa_kernel _ZN7rocprim17ROCPRIM_400000_NS6detail17trampoline_kernelINS0_14default_configENS1_25transform_config_selectorIsLb0EEEZNS1_14transform_implILb0ES3_S5_NS0_18transform_iteratorINS0_17counting_iteratorImlEEZNS1_24adjacent_difference_implIS3_Lb1ELb0EPKsPsN6thrust23THRUST_200600_302600_NS4plusIsEEEE10hipError_tPvRmT2_T3_mT4_P12ihipStream_tbEUlmE_sEESD_NS0_8identityIvEEEESI_SL_SM_mSN_SP_bEUlT_E_NS1_11comp_targetILNS1_3genE10ELNS1_11target_archE1200ELNS1_3gpuE4ELNS1_3repE0EEENS1_30default_config_static_selectorELNS0_4arch9wavefront6targetE1EEEvT1_
		.amdhsa_group_segment_fixed_size 0
		.amdhsa_private_segment_fixed_size 0
		.amdhsa_kernarg_size 56
		.amdhsa_user_sgpr_count 6
		.amdhsa_user_sgpr_private_segment_buffer 1
		.amdhsa_user_sgpr_dispatch_ptr 0
		.amdhsa_user_sgpr_queue_ptr 0
		.amdhsa_user_sgpr_kernarg_segment_ptr 1
		.amdhsa_user_sgpr_dispatch_id 0
		.amdhsa_user_sgpr_flat_scratch_init 0
		.amdhsa_user_sgpr_kernarg_preload_length 0
		.amdhsa_user_sgpr_kernarg_preload_offset 0
		.amdhsa_user_sgpr_private_segment_size 0
		.amdhsa_uses_dynamic_stack 0
		.amdhsa_system_sgpr_private_segment_wavefront_offset 0
		.amdhsa_system_sgpr_workgroup_id_x 1
		.amdhsa_system_sgpr_workgroup_id_y 0
		.amdhsa_system_sgpr_workgroup_id_z 0
		.amdhsa_system_sgpr_workgroup_info 0
		.amdhsa_system_vgpr_workitem_id 0
		.amdhsa_next_free_vgpr 1
		.amdhsa_next_free_sgpr 0
		.amdhsa_accum_offset 4
		.amdhsa_reserve_vcc 0
		.amdhsa_reserve_flat_scratch 0
		.amdhsa_float_round_mode_32 0
		.amdhsa_float_round_mode_16_64 0
		.amdhsa_float_denorm_mode_32 3
		.amdhsa_float_denorm_mode_16_64 3
		.amdhsa_dx10_clamp 1
		.amdhsa_ieee_mode 1
		.amdhsa_fp16_overflow 0
		.amdhsa_tg_split 0
		.amdhsa_exception_fp_ieee_invalid_op 0
		.amdhsa_exception_fp_denorm_src 0
		.amdhsa_exception_fp_ieee_div_zero 0
		.amdhsa_exception_fp_ieee_overflow 0
		.amdhsa_exception_fp_ieee_underflow 0
		.amdhsa_exception_fp_ieee_inexact 0
		.amdhsa_exception_int_div_zero 0
	.end_amdhsa_kernel
	.section	.text._ZN7rocprim17ROCPRIM_400000_NS6detail17trampoline_kernelINS0_14default_configENS1_25transform_config_selectorIsLb0EEEZNS1_14transform_implILb0ES3_S5_NS0_18transform_iteratorINS0_17counting_iteratorImlEEZNS1_24adjacent_difference_implIS3_Lb1ELb0EPKsPsN6thrust23THRUST_200600_302600_NS4plusIsEEEE10hipError_tPvRmT2_T3_mT4_P12ihipStream_tbEUlmE_sEESD_NS0_8identityIvEEEESI_SL_SM_mSN_SP_bEUlT_E_NS1_11comp_targetILNS1_3genE10ELNS1_11target_archE1200ELNS1_3gpuE4ELNS1_3repE0EEENS1_30default_config_static_selectorELNS0_4arch9wavefront6targetE1EEEvT1_,"axG",@progbits,_ZN7rocprim17ROCPRIM_400000_NS6detail17trampoline_kernelINS0_14default_configENS1_25transform_config_selectorIsLb0EEEZNS1_14transform_implILb0ES3_S5_NS0_18transform_iteratorINS0_17counting_iteratorImlEEZNS1_24adjacent_difference_implIS3_Lb1ELb0EPKsPsN6thrust23THRUST_200600_302600_NS4plusIsEEEE10hipError_tPvRmT2_T3_mT4_P12ihipStream_tbEUlmE_sEESD_NS0_8identityIvEEEESI_SL_SM_mSN_SP_bEUlT_E_NS1_11comp_targetILNS1_3genE10ELNS1_11target_archE1200ELNS1_3gpuE4ELNS1_3repE0EEENS1_30default_config_static_selectorELNS0_4arch9wavefront6targetE1EEEvT1_,comdat
.Lfunc_end530:
	.size	_ZN7rocprim17ROCPRIM_400000_NS6detail17trampoline_kernelINS0_14default_configENS1_25transform_config_selectorIsLb0EEEZNS1_14transform_implILb0ES3_S5_NS0_18transform_iteratorINS0_17counting_iteratorImlEEZNS1_24adjacent_difference_implIS3_Lb1ELb0EPKsPsN6thrust23THRUST_200600_302600_NS4plusIsEEEE10hipError_tPvRmT2_T3_mT4_P12ihipStream_tbEUlmE_sEESD_NS0_8identityIvEEEESI_SL_SM_mSN_SP_bEUlT_E_NS1_11comp_targetILNS1_3genE10ELNS1_11target_archE1200ELNS1_3gpuE4ELNS1_3repE0EEENS1_30default_config_static_selectorELNS0_4arch9wavefront6targetE1EEEvT1_, .Lfunc_end530-_ZN7rocprim17ROCPRIM_400000_NS6detail17trampoline_kernelINS0_14default_configENS1_25transform_config_selectorIsLb0EEEZNS1_14transform_implILb0ES3_S5_NS0_18transform_iteratorINS0_17counting_iteratorImlEEZNS1_24adjacent_difference_implIS3_Lb1ELb0EPKsPsN6thrust23THRUST_200600_302600_NS4plusIsEEEE10hipError_tPvRmT2_T3_mT4_P12ihipStream_tbEUlmE_sEESD_NS0_8identityIvEEEESI_SL_SM_mSN_SP_bEUlT_E_NS1_11comp_targetILNS1_3genE10ELNS1_11target_archE1200ELNS1_3gpuE4ELNS1_3repE0EEENS1_30default_config_static_selectorELNS0_4arch9wavefront6targetE1EEEvT1_
                                        ; -- End function
	.section	.AMDGPU.csdata,"",@progbits
; Kernel info:
; codeLenInByte = 0
; NumSgprs: 4
; NumVgprs: 0
; NumAgprs: 0
; TotalNumVgprs: 0
; ScratchSize: 0
; MemoryBound: 0
; FloatMode: 240
; IeeeMode: 1
; LDSByteSize: 0 bytes/workgroup (compile time only)
; SGPRBlocks: 0
; VGPRBlocks: 0
; NumSGPRsForWavesPerEU: 4
; NumVGPRsForWavesPerEU: 1
; AccumOffset: 4
; Occupancy: 8
; WaveLimiterHint : 0
; COMPUTE_PGM_RSRC2:SCRATCH_EN: 0
; COMPUTE_PGM_RSRC2:USER_SGPR: 6
; COMPUTE_PGM_RSRC2:TRAP_HANDLER: 0
; COMPUTE_PGM_RSRC2:TGID_X_EN: 1
; COMPUTE_PGM_RSRC2:TGID_Y_EN: 0
; COMPUTE_PGM_RSRC2:TGID_Z_EN: 0
; COMPUTE_PGM_RSRC2:TIDIG_COMP_CNT: 0
; COMPUTE_PGM_RSRC3_GFX90A:ACCUM_OFFSET: 0
; COMPUTE_PGM_RSRC3_GFX90A:TG_SPLIT: 0
	.section	.text._ZN7rocprim17ROCPRIM_400000_NS6detail17trampoline_kernelINS0_14default_configENS1_25transform_config_selectorIsLb0EEEZNS1_14transform_implILb0ES3_S5_NS0_18transform_iteratorINS0_17counting_iteratorImlEEZNS1_24adjacent_difference_implIS3_Lb1ELb0EPKsPsN6thrust23THRUST_200600_302600_NS4plusIsEEEE10hipError_tPvRmT2_T3_mT4_P12ihipStream_tbEUlmE_sEESD_NS0_8identityIvEEEESI_SL_SM_mSN_SP_bEUlT_E_NS1_11comp_targetILNS1_3genE9ELNS1_11target_archE1100ELNS1_3gpuE3ELNS1_3repE0EEENS1_30default_config_static_selectorELNS0_4arch9wavefront6targetE1EEEvT1_,"axG",@progbits,_ZN7rocprim17ROCPRIM_400000_NS6detail17trampoline_kernelINS0_14default_configENS1_25transform_config_selectorIsLb0EEEZNS1_14transform_implILb0ES3_S5_NS0_18transform_iteratorINS0_17counting_iteratorImlEEZNS1_24adjacent_difference_implIS3_Lb1ELb0EPKsPsN6thrust23THRUST_200600_302600_NS4plusIsEEEE10hipError_tPvRmT2_T3_mT4_P12ihipStream_tbEUlmE_sEESD_NS0_8identityIvEEEESI_SL_SM_mSN_SP_bEUlT_E_NS1_11comp_targetILNS1_3genE9ELNS1_11target_archE1100ELNS1_3gpuE3ELNS1_3repE0EEENS1_30default_config_static_selectorELNS0_4arch9wavefront6targetE1EEEvT1_,comdat
	.protected	_ZN7rocprim17ROCPRIM_400000_NS6detail17trampoline_kernelINS0_14default_configENS1_25transform_config_selectorIsLb0EEEZNS1_14transform_implILb0ES3_S5_NS0_18transform_iteratorINS0_17counting_iteratorImlEEZNS1_24adjacent_difference_implIS3_Lb1ELb0EPKsPsN6thrust23THRUST_200600_302600_NS4plusIsEEEE10hipError_tPvRmT2_T3_mT4_P12ihipStream_tbEUlmE_sEESD_NS0_8identityIvEEEESI_SL_SM_mSN_SP_bEUlT_E_NS1_11comp_targetILNS1_3genE9ELNS1_11target_archE1100ELNS1_3gpuE3ELNS1_3repE0EEENS1_30default_config_static_selectorELNS0_4arch9wavefront6targetE1EEEvT1_ ; -- Begin function _ZN7rocprim17ROCPRIM_400000_NS6detail17trampoline_kernelINS0_14default_configENS1_25transform_config_selectorIsLb0EEEZNS1_14transform_implILb0ES3_S5_NS0_18transform_iteratorINS0_17counting_iteratorImlEEZNS1_24adjacent_difference_implIS3_Lb1ELb0EPKsPsN6thrust23THRUST_200600_302600_NS4plusIsEEEE10hipError_tPvRmT2_T3_mT4_P12ihipStream_tbEUlmE_sEESD_NS0_8identityIvEEEESI_SL_SM_mSN_SP_bEUlT_E_NS1_11comp_targetILNS1_3genE9ELNS1_11target_archE1100ELNS1_3gpuE3ELNS1_3repE0EEENS1_30default_config_static_selectorELNS0_4arch9wavefront6targetE1EEEvT1_
	.globl	_ZN7rocprim17ROCPRIM_400000_NS6detail17trampoline_kernelINS0_14default_configENS1_25transform_config_selectorIsLb0EEEZNS1_14transform_implILb0ES3_S5_NS0_18transform_iteratorINS0_17counting_iteratorImlEEZNS1_24adjacent_difference_implIS3_Lb1ELb0EPKsPsN6thrust23THRUST_200600_302600_NS4plusIsEEEE10hipError_tPvRmT2_T3_mT4_P12ihipStream_tbEUlmE_sEESD_NS0_8identityIvEEEESI_SL_SM_mSN_SP_bEUlT_E_NS1_11comp_targetILNS1_3genE9ELNS1_11target_archE1100ELNS1_3gpuE3ELNS1_3repE0EEENS1_30default_config_static_selectorELNS0_4arch9wavefront6targetE1EEEvT1_
	.p2align	8
	.type	_ZN7rocprim17ROCPRIM_400000_NS6detail17trampoline_kernelINS0_14default_configENS1_25transform_config_selectorIsLb0EEEZNS1_14transform_implILb0ES3_S5_NS0_18transform_iteratorINS0_17counting_iteratorImlEEZNS1_24adjacent_difference_implIS3_Lb1ELb0EPKsPsN6thrust23THRUST_200600_302600_NS4plusIsEEEE10hipError_tPvRmT2_T3_mT4_P12ihipStream_tbEUlmE_sEESD_NS0_8identityIvEEEESI_SL_SM_mSN_SP_bEUlT_E_NS1_11comp_targetILNS1_3genE9ELNS1_11target_archE1100ELNS1_3gpuE3ELNS1_3repE0EEENS1_30default_config_static_selectorELNS0_4arch9wavefront6targetE1EEEvT1_,@function
_ZN7rocprim17ROCPRIM_400000_NS6detail17trampoline_kernelINS0_14default_configENS1_25transform_config_selectorIsLb0EEEZNS1_14transform_implILb0ES3_S5_NS0_18transform_iteratorINS0_17counting_iteratorImlEEZNS1_24adjacent_difference_implIS3_Lb1ELb0EPKsPsN6thrust23THRUST_200600_302600_NS4plusIsEEEE10hipError_tPvRmT2_T3_mT4_P12ihipStream_tbEUlmE_sEESD_NS0_8identityIvEEEESI_SL_SM_mSN_SP_bEUlT_E_NS1_11comp_targetILNS1_3genE9ELNS1_11target_archE1100ELNS1_3gpuE3ELNS1_3repE0EEENS1_30default_config_static_selectorELNS0_4arch9wavefront6targetE1EEEvT1_: ; @_ZN7rocprim17ROCPRIM_400000_NS6detail17trampoline_kernelINS0_14default_configENS1_25transform_config_selectorIsLb0EEEZNS1_14transform_implILb0ES3_S5_NS0_18transform_iteratorINS0_17counting_iteratorImlEEZNS1_24adjacent_difference_implIS3_Lb1ELb0EPKsPsN6thrust23THRUST_200600_302600_NS4plusIsEEEE10hipError_tPvRmT2_T3_mT4_P12ihipStream_tbEUlmE_sEESD_NS0_8identityIvEEEESI_SL_SM_mSN_SP_bEUlT_E_NS1_11comp_targetILNS1_3genE9ELNS1_11target_archE1100ELNS1_3gpuE3ELNS1_3repE0EEENS1_30default_config_static_selectorELNS0_4arch9wavefront6targetE1EEEvT1_
; %bb.0:
	.section	.rodata,"a",@progbits
	.p2align	6, 0x0
	.amdhsa_kernel _ZN7rocprim17ROCPRIM_400000_NS6detail17trampoline_kernelINS0_14default_configENS1_25transform_config_selectorIsLb0EEEZNS1_14transform_implILb0ES3_S5_NS0_18transform_iteratorINS0_17counting_iteratorImlEEZNS1_24adjacent_difference_implIS3_Lb1ELb0EPKsPsN6thrust23THRUST_200600_302600_NS4plusIsEEEE10hipError_tPvRmT2_T3_mT4_P12ihipStream_tbEUlmE_sEESD_NS0_8identityIvEEEESI_SL_SM_mSN_SP_bEUlT_E_NS1_11comp_targetILNS1_3genE9ELNS1_11target_archE1100ELNS1_3gpuE3ELNS1_3repE0EEENS1_30default_config_static_selectorELNS0_4arch9wavefront6targetE1EEEvT1_
		.amdhsa_group_segment_fixed_size 0
		.amdhsa_private_segment_fixed_size 0
		.amdhsa_kernarg_size 56
		.amdhsa_user_sgpr_count 6
		.amdhsa_user_sgpr_private_segment_buffer 1
		.amdhsa_user_sgpr_dispatch_ptr 0
		.amdhsa_user_sgpr_queue_ptr 0
		.amdhsa_user_sgpr_kernarg_segment_ptr 1
		.amdhsa_user_sgpr_dispatch_id 0
		.amdhsa_user_sgpr_flat_scratch_init 0
		.amdhsa_user_sgpr_kernarg_preload_length 0
		.amdhsa_user_sgpr_kernarg_preload_offset 0
		.amdhsa_user_sgpr_private_segment_size 0
		.amdhsa_uses_dynamic_stack 0
		.amdhsa_system_sgpr_private_segment_wavefront_offset 0
		.amdhsa_system_sgpr_workgroup_id_x 1
		.amdhsa_system_sgpr_workgroup_id_y 0
		.amdhsa_system_sgpr_workgroup_id_z 0
		.amdhsa_system_sgpr_workgroup_info 0
		.amdhsa_system_vgpr_workitem_id 0
		.amdhsa_next_free_vgpr 1
		.amdhsa_next_free_sgpr 0
		.amdhsa_accum_offset 4
		.amdhsa_reserve_vcc 0
		.amdhsa_reserve_flat_scratch 0
		.amdhsa_float_round_mode_32 0
		.amdhsa_float_round_mode_16_64 0
		.amdhsa_float_denorm_mode_32 3
		.amdhsa_float_denorm_mode_16_64 3
		.amdhsa_dx10_clamp 1
		.amdhsa_ieee_mode 1
		.amdhsa_fp16_overflow 0
		.amdhsa_tg_split 0
		.amdhsa_exception_fp_ieee_invalid_op 0
		.amdhsa_exception_fp_denorm_src 0
		.amdhsa_exception_fp_ieee_div_zero 0
		.amdhsa_exception_fp_ieee_overflow 0
		.amdhsa_exception_fp_ieee_underflow 0
		.amdhsa_exception_fp_ieee_inexact 0
		.amdhsa_exception_int_div_zero 0
	.end_amdhsa_kernel
	.section	.text._ZN7rocprim17ROCPRIM_400000_NS6detail17trampoline_kernelINS0_14default_configENS1_25transform_config_selectorIsLb0EEEZNS1_14transform_implILb0ES3_S5_NS0_18transform_iteratorINS0_17counting_iteratorImlEEZNS1_24adjacent_difference_implIS3_Lb1ELb0EPKsPsN6thrust23THRUST_200600_302600_NS4plusIsEEEE10hipError_tPvRmT2_T3_mT4_P12ihipStream_tbEUlmE_sEESD_NS0_8identityIvEEEESI_SL_SM_mSN_SP_bEUlT_E_NS1_11comp_targetILNS1_3genE9ELNS1_11target_archE1100ELNS1_3gpuE3ELNS1_3repE0EEENS1_30default_config_static_selectorELNS0_4arch9wavefront6targetE1EEEvT1_,"axG",@progbits,_ZN7rocprim17ROCPRIM_400000_NS6detail17trampoline_kernelINS0_14default_configENS1_25transform_config_selectorIsLb0EEEZNS1_14transform_implILb0ES3_S5_NS0_18transform_iteratorINS0_17counting_iteratorImlEEZNS1_24adjacent_difference_implIS3_Lb1ELb0EPKsPsN6thrust23THRUST_200600_302600_NS4plusIsEEEE10hipError_tPvRmT2_T3_mT4_P12ihipStream_tbEUlmE_sEESD_NS0_8identityIvEEEESI_SL_SM_mSN_SP_bEUlT_E_NS1_11comp_targetILNS1_3genE9ELNS1_11target_archE1100ELNS1_3gpuE3ELNS1_3repE0EEENS1_30default_config_static_selectorELNS0_4arch9wavefront6targetE1EEEvT1_,comdat
.Lfunc_end531:
	.size	_ZN7rocprim17ROCPRIM_400000_NS6detail17trampoline_kernelINS0_14default_configENS1_25transform_config_selectorIsLb0EEEZNS1_14transform_implILb0ES3_S5_NS0_18transform_iteratorINS0_17counting_iteratorImlEEZNS1_24adjacent_difference_implIS3_Lb1ELb0EPKsPsN6thrust23THRUST_200600_302600_NS4plusIsEEEE10hipError_tPvRmT2_T3_mT4_P12ihipStream_tbEUlmE_sEESD_NS0_8identityIvEEEESI_SL_SM_mSN_SP_bEUlT_E_NS1_11comp_targetILNS1_3genE9ELNS1_11target_archE1100ELNS1_3gpuE3ELNS1_3repE0EEENS1_30default_config_static_selectorELNS0_4arch9wavefront6targetE1EEEvT1_, .Lfunc_end531-_ZN7rocprim17ROCPRIM_400000_NS6detail17trampoline_kernelINS0_14default_configENS1_25transform_config_selectorIsLb0EEEZNS1_14transform_implILb0ES3_S5_NS0_18transform_iteratorINS0_17counting_iteratorImlEEZNS1_24adjacent_difference_implIS3_Lb1ELb0EPKsPsN6thrust23THRUST_200600_302600_NS4plusIsEEEE10hipError_tPvRmT2_T3_mT4_P12ihipStream_tbEUlmE_sEESD_NS0_8identityIvEEEESI_SL_SM_mSN_SP_bEUlT_E_NS1_11comp_targetILNS1_3genE9ELNS1_11target_archE1100ELNS1_3gpuE3ELNS1_3repE0EEENS1_30default_config_static_selectorELNS0_4arch9wavefront6targetE1EEEvT1_
                                        ; -- End function
	.section	.AMDGPU.csdata,"",@progbits
; Kernel info:
; codeLenInByte = 0
; NumSgprs: 4
; NumVgprs: 0
; NumAgprs: 0
; TotalNumVgprs: 0
; ScratchSize: 0
; MemoryBound: 0
; FloatMode: 240
; IeeeMode: 1
; LDSByteSize: 0 bytes/workgroup (compile time only)
; SGPRBlocks: 0
; VGPRBlocks: 0
; NumSGPRsForWavesPerEU: 4
; NumVGPRsForWavesPerEU: 1
; AccumOffset: 4
; Occupancy: 8
; WaveLimiterHint : 0
; COMPUTE_PGM_RSRC2:SCRATCH_EN: 0
; COMPUTE_PGM_RSRC2:USER_SGPR: 6
; COMPUTE_PGM_RSRC2:TRAP_HANDLER: 0
; COMPUTE_PGM_RSRC2:TGID_X_EN: 1
; COMPUTE_PGM_RSRC2:TGID_Y_EN: 0
; COMPUTE_PGM_RSRC2:TGID_Z_EN: 0
; COMPUTE_PGM_RSRC2:TIDIG_COMP_CNT: 0
; COMPUTE_PGM_RSRC3_GFX90A:ACCUM_OFFSET: 0
; COMPUTE_PGM_RSRC3_GFX90A:TG_SPLIT: 0
	.section	.text._ZN7rocprim17ROCPRIM_400000_NS6detail17trampoline_kernelINS0_14default_configENS1_25transform_config_selectorIsLb0EEEZNS1_14transform_implILb0ES3_S5_NS0_18transform_iteratorINS0_17counting_iteratorImlEEZNS1_24adjacent_difference_implIS3_Lb1ELb0EPKsPsN6thrust23THRUST_200600_302600_NS4plusIsEEEE10hipError_tPvRmT2_T3_mT4_P12ihipStream_tbEUlmE_sEESD_NS0_8identityIvEEEESI_SL_SM_mSN_SP_bEUlT_E_NS1_11comp_targetILNS1_3genE8ELNS1_11target_archE1030ELNS1_3gpuE2ELNS1_3repE0EEENS1_30default_config_static_selectorELNS0_4arch9wavefront6targetE1EEEvT1_,"axG",@progbits,_ZN7rocprim17ROCPRIM_400000_NS6detail17trampoline_kernelINS0_14default_configENS1_25transform_config_selectorIsLb0EEEZNS1_14transform_implILb0ES3_S5_NS0_18transform_iteratorINS0_17counting_iteratorImlEEZNS1_24adjacent_difference_implIS3_Lb1ELb0EPKsPsN6thrust23THRUST_200600_302600_NS4plusIsEEEE10hipError_tPvRmT2_T3_mT4_P12ihipStream_tbEUlmE_sEESD_NS0_8identityIvEEEESI_SL_SM_mSN_SP_bEUlT_E_NS1_11comp_targetILNS1_3genE8ELNS1_11target_archE1030ELNS1_3gpuE2ELNS1_3repE0EEENS1_30default_config_static_selectorELNS0_4arch9wavefront6targetE1EEEvT1_,comdat
	.protected	_ZN7rocprim17ROCPRIM_400000_NS6detail17trampoline_kernelINS0_14default_configENS1_25transform_config_selectorIsLb0EEEZNS1_14transform_implILb0ES3_S5_NS0_18transform_iteratorINS0_17counting_iteratorImlEEZNS1_24adjacent_difference_implIS3_Lb1ELb0EPKsPsN6thrust23THRUST_200600_302600_NS4plusIsEEEE10hipError_tPvRmT2_T3_mT4_P12ihipStream_tbEUlmE_sEESD_NS0_8identityIvEEEESI_SL_SM_mSN_SP_bEUlT_E_NS1_11comp_targetILNS1_3genE8ELNS1_11target_archE1030ELNS1_3gpuE2ELNS1_3repE0EEENS1_30default_config_static_selectorELNS0_4arch9wavefront6targetE1EEEvT1_ ; -- Begin function _ZN7rocprim17ROCPRIM_400000_NS6detail17trampoline_kernelINS0_14default_configENS1_25transform_config_selectorIsLb0EEEZNS1_14transform_implILb0ES3_S5_NS0_18transform_iteratorINS0_17counting_iteratorImlEEZNS1_24adjacent_difference_implIS3_Lb1ELb0EPKsPsN6thrust23THRUST_200600_302600_NS4plusIsEEEE10hipError_tPvRmT2_T3_mT4_P12ihipStream_tbEUlmE_sEESD_NS0_8identityIvEEEESI_SL_SM_mSN_SP_bEUlT_E_NS1_11comp_targetILNS1_3genE8ELNS1_11target_archE1030ELNS1_3gpuE2ELNS1_3repE0EEENS1_30default_config_static_selectorELNS0_4arch9wavefront6targetE1EEEvT1_
	.globl	_ZN7rocprim17ROCPRIM_400000_NS6detail17trampoline_kernelINS0_14default_configENS1_25transform_config_selectorIsLb0EEEZNS1_14transform_implILb0ES3_S5_NS0_18transform_iteratorINS0_17counting_iteratorImlEEZNS1_24adjacent_difference_implIS3_Lb1ELb0EPKsPsN6thrust23THRUST_200600_302600_NS4plusIsEEEE10hipError_tPvRmT2_T3_mT4_P12ihipStream_tbEUlmE_sEESD_NS0_8identityIvEEEESI_SL_SM_mSN_SP_bEUlT_E_NS1_11comp_targetILNS1_3genE8ELNS1_11target_archE1030ELNS1_3gpuE2ELNS1_3repE0EEENS1_30default_config_static_selectorELNS0_4arch9wavefront6targetE1EEEvT1_
	.p2align	8
	.type	_ZN7rocprim17ROCPRIM_400000_NS6detail17trampoline_kernelINS0_14default_configENS1_25transform_config_selectorIsLb0EEEZNS1_14transform_implILb0ES3_S5_NS0_18transform_iteratorINS0_17counting_iteratorImlEEZNS1_24adjacent_difference_implIS3_Lb1ELb0EPKsPsN6thrust23THRUST_200600_302600_NS4plusIsEEEE10hipError_tPvRmT2_T3_mT4_P12ihipStream_tbEUlmE_sEESD_NS0_8identityIvEEEESI_SL_SM_mSN_SP_bEUlT_E_NS1_11comp_targetILNS1_3genE8ELNS1_11target_archE1030ELNS1_3gpuE2ELNS1_3repE0EEENS1_30default_config_static_selectorELNS0_4arch9wavefront6targetE1EEEvT1_,@function
_ZN7rocprim17ROCPRIM_400000_NS6detail17trampoline_kernelINS0_14default_configENS1_25transform_config_selectorIsLb0EEEZNS1_14transform_implILb0ES3_S5_NS0_18transform_iteratorINS0_17counting_iteratorImlEEZNS1_24adjacent_difference_implIS3_Lb1ELb0EPKsPsN6thrust23THRUST_200600_302600_NS4plusIsEEEE10hipError_tPvRmT2_T3_mT4_P12ihipStream_tbEUlmE_sEESD_NS0_8identityIvEEEESI_SL_SM_mSN_SP_bEUlT_E_NS1_11comp_targetILNS1_3genE8ELNS1_11target_archE1030ELNS1_3gpuE2ELNS1_3repE0EEENS1_30default_config_static_selectorELNS0_4arch9wavefront6targetE1EEEvT1_: ; @_ZN7rocprim17ROCPRIM_400000_NS6detail17trampoline_kernelINS0_14default_configENS1_25transform_config_selectorIsLb0EEEZNS1_14transform_implILb0ES3_S5_NS0_18transform_iteratorINS0_17counting_iteratorImlEEZNS1_24adjacent_difference_implIS3_Lb1ELb0EPKsPsN6thrust23THRUST_200600_302600_NS4plusIsEEEE10hipError_tPvRmT2_T3_mT4_P12ihipStream_tbEUlmE_sEESD_NS0_8identityIvEEEESI_SL_SM_mSN_SP_bEUlT_E_NS1_11comp_targetILNS1_3genE8ELNS1_11target_archE1030ELNS1_3gpuE2ELNS1_3repE0EEENS1_30default_config_static_selectorELNS0_4arch9wavefront6targetE1EEEvT1_
; %bb.0:
	.section	.rodata,"a",@progbits
	.p2align	6, 0x0
	.amdhsa_kernel _ZN7rocprim17ROCPRIM_400000_NS6detail17trampoline_kernelINS0_14default_configENS1_25transform_config_selectorIsLb0EEEZNS1_14transform_implILb0ES3_S5_NS0_18transform_iteratorINS0_17counting_iteratorImlEEZNS1_24adjacent_difference_implIS3_Lb1ELb0EPKsPsN6thrust23THRUST_200600_302600_NS4plusIsEEEE10hipError_tPvRmT2_T3_mT4_P12ihipStream_tbEUlmE_sEESD_NS0_8identityIvEEEESI_SL_SM_mSN_SP_bEUlT_E_NS1_11comp_targetILNS1_3genE8ELNS1_11target_archE1030ELNS1_3gpuE2ELNS1_3repE0EEENS1_30default_config_static_selectorELNS0_4arch9wavefront6targetE1EEEvT1_
		.amdhsa_group_segment_fixed_size 0
		.amdhsa_private_segment_fixed_size 0
		.amdhsa_kernarg_size 56
		.amdhsa_user_sgpr_count 6
		.amdhsa_user_sgpr_private_segment_buffer 1
		.amdhsa_user_sgpr_dispatch_ptr 0
		.amdhsa_user_sgpr_queue_ptr 0
		.amdhsa_user_sgpr_kernarg_segment_ptr 1
		.amdhsa_user_sgpr_dispatch_id 0
		.amdhsa_user_sgpr_flat_scratch_init 0
		.amdhsa_user_sgpr_kernarg_preload_length 0
		.amdhsa_user_sgpr_kernarg_preload_offset 0
		.amdhsa_user_sgpr_private_segment_size 0
		.amdhsa_uses_dynamic_stack 0
		.amdhsa_system_sgpr_private_segment_wavefront_offset 0
		.amdhsa_system_sgpr_workgroup_id_x 1
		.amdhsa_system_sgpr_workgroup_id_y 0
		.amdhsa_system_sgpr_workgroup_id_z 0
		.amdhsa_system_sgpr_workgroup_info 0
		.amdhsa_system_vgpr_workitem_id 0
		.amdhsa_next_free_vgpr 1
		.amdhsa_next_free_sgpr 0
		.amdhsa_accum_offset 4
		.amdhsa_reserve_vcc 0
		.amdhsa_reserve_flat_scratch 0
		.amdhsa_float_round_mode_32 0
		.amdhsa_float_round_mode_16_64 0
		.amdhsa_float_denorm_mode_32 3
		.amdhsa_float_denorm_mode_16_64 3
		.amdhsa_dx10_clamp 1
		.amdhsa_ieee_mode 1
		.amdhsa_fp16_overflow 0
		.amdhsa_tg_split 0
		.amdhsa_exception_fp_ieee_invalid_op 0
		.amdhsa_exception_fp_denorm_src 0
		.amdhsa_exception_fp_ieee_div_zero 0
		.amdhsa_exception_fp_ieee_overflow 0
		.amdhsa_exception_fp_ieee_underflow 0
		.amdhsa_exception_fp_ieee_inexact 0
		.amdhsa_exception_int_div_zero 0
	.end_amdhsa_kernel
	.section	.text._ZN7rocprim17ROCPRIM_400000_NS6detail17trampoline_kernelINS0_14default_configENS1_25transform_config_selectorIsLb0EEEZNS1_14transform_implILb0ES3_S5_NS0_18transform_iteratorINS0_17counting_iteratorImlEEZNS1_24adjacent_difference_implIS3_Lb1ELb0EPKsPsN6thrust23THRUST_200600_302600_NS4plusIsEEEE10hipError_tPvRmT2_T3_mT4_P12ihipStream_tbEUlmE_sEESD_NS0_8identityIvEEEESI_SL_SM_mSN_SP_bEUlT_E_NS1_11comp_targetILNS1_3genE8ELNS1_11target_archE1030ELNS1_3gpuE2ELNS1_3repE0EEENS1_30default_config_static_selectorELNS0_4arch9wavefront6targetE1EEEvT1_,"axG",@progbits,_ZN7rocprim17ROCPRIM_400000_NS6detail17trampoline_kernelINS0_14default_configENS1_25transform_config_selectorIsLb0EEEZNS1_14transform_implILb0ES3_S5_NS0_18transform_iteratorINS0_17counting_iteratorImlEEZNS1_24adjacent_difference_implIS3_Lb1ELb0EPKsPsN6thrust23THRUST_200600_302600_NS4plusIsEEEE10hipError_tPvRmT2_T3_mT4_P12ihipStream_tbEUlmE_sEESD_NS0_8identityIvEEEESI_SL_SM_mSN_SP_bEUlT_E_NS1_11comp_targetILNS1_3genE8ELNS1_11target_archE1030ELNS1_3gpuE2ELNS1_3repE0EEENS1_30default_config_static_selectorELNS0_4arch9wavefront6targetE1EEEvT1_,comdat
.Lfunc_end532:
	.size	_ZN7rocprim17ROCPRIM_400000_NS6detail17trampoline_kernelINS0_14default_configENS1_25transform_config_selectorIsLb0EEEZNS1_14transform_implILb0ES3_S5_NS0_18transform_iteratorINS0_17counting_iteratorImlEEZNS1_24adjacent_difference_implIS3_Lb1ELb0EPKsPsN6thrust23THRUST_200600_302600_NS4plusIsEEEE10hipError_tPvRmT2_T3_mT4_P12ihipStream_tbEUlmE_sEESD_NS0_8identityIvEEEESI_SL_SM_mSN_SP_bEUlT_E_NS1_11comp_targetILNS1_3genE8ELNS1_11target_archE1030ELNS1_3gpuE2ELNS1_3repE0EEENS1_30default_config_static_selectorELNS0_4arch9wavefront6targetE1EEEvT1_, .Lfunc_end532-_ZN7rocprim17ROCPRIM_400000_NS6detail17trampoline_kernelINS0_14default_configENS1_25transform_config_selectorIsLb0EEEZNS1_14transform_implILb0ES3_S5_NS0_18transform_iteratorINS0_17counting_iteratorImlEEZNS1_24adjacent_difference_implIS3_Lb1ELb0EPKsPsN6thrust23THRUST_200600_302600_NS4plusIsEEEE10hipError_tPvRmT2_T3_mT4_P12ihipStream_tbEUlmE_sEESD_NS0_8identityIvEEEESI_SL_SM_mSN_SP_bEUlT_E_NS1_11comp_targetILNS1_3genE8ELNS1_11target_archE1030ELNS1_3gpuE2ELNS1_3repE0EEENS1_30default_config_static_selectorELNS0_4arch9wavefront6targetE1EEEvT1_
                                        ; -- End function
	.section	.AMDGPU.csdata,"",@progbits
; Kernel info:
; codeLenInByte = 0
; NumSgprs: 4
; NumVgprs: 0
; NumAgprs: 0
; TotalNumVgprs: 0
; ScratchSize: 0
; MemoryBound: 0
; FloatMode: 240
; IeeeMode: 1
; LDSByteSize: 0 bytes/workgroup (compile time only)
; SGPRBlocks: 0
; VGPRBlocks: 0
; NumSGPRsForWavesPerEU: 4
; NumVGPRsForWavesPerEU: 1
; AccumOffset: 4
; Occupancy: 8
; WaveLimiterHint : 0
; COMPUTE_PGM_RSRC2:SCRATCH_EN: 0
; COMPUTE_PGM_RSRC2:USER_SGPR: 6
; COMPUTE_PGM_RSRC2:TRAP_HANDLER: 0
; COMPUTE_PGM_RSRC2:TGID_X_EN: 1
; COMPUTE_PGM_RSRC2:TGID_Y_EN: 0
; COMPUTE_PGM_RSRC2:TGID_Z_EN: 0
; COMPUTE_PGM_RSRC2:TIDIG_COMP_CNT: 0
; COMPUTE_PGM_RSRC3_GFX90A:ACCUM_OFFSET: 0
; COMPUTE_PGM_RSRC3_GFX90A:TG_SPLIT: 0
	.section	.text._ZN7rocprim17ROCPRIM_400000_NS6detail17trampoline_kernelINS0_14default_configENS1_35adjacent_difference_config_selectorILb1EsEEZNS1_24adjacent_difference_implIS3_Lb1ELb0EPKsPsN6thrust23THRUST_200600_302600_NS4plusIsEEEE10hipError_tPvRmT2_T3_mT4_P12ihipStream_tbEUlT_E_NS1_11comp_targetILNS1_3genE0ELNS1_11target_archE4294967295ELNS1_3gpuE0ELNS1_3repE0EEENS1_30default_config_static_selectorELNS0_4arch9wavefront6targetE1EEEvT1_,"axG",@progbits,_ZN7rocprim17ROCPRIM_400000_NS6detail17trampoline_kernelINS0_14default_configENS1_35adjacent_difference_config_selectorILb1EsEEZNS1_24adjacent_difference_implIS3_Lb1ELb0EPKsPsN6thrust23THRUST_200600_302600_NS4plusIsEEEE10hipError_tPvRmT2_T3_mT4_P12ihipStream_tbEUlT_E_NS1_11comp_targetILNS1_3genE0ELNS1_11target_archE4294967295ELNS1_3gpuE0ELNS1_3repE0EEENS1_30default_config_static_selectorELNS0_4arch9wavefront6targetE1EEEvT1_,comdat
	.protected	_ZN7rocprim17ROCPRIM_400000_NS6detail17trampoline_kernelINS0_14default_configENS1_35adjacent_difference_config_selectorILb1EsEEZNS1_24adjacent_difference_implIS3_Lb1ELb0EPKsPsN6thrust23THRUST_200600_302600_NS4plusIsEEEE10hipError_tPvRmT2_T3_mT4_P12ihipStream_tbEUlT_E_NS1_11comp_targetILNS1_3genE0ELNS1_11target_archE4294967295ELNS1_3gpuE0ELNS1_3repE0EEENS1_30default_config_static_selectorELNS0_4arch9wavefront6targetE1EEEvT1_ ; -- Begin function _ZN7rocprim17ROCPRIM_400000_NS6detail17trampoline_kernelINS0_14default_configENS1_35adjacent_difference_config_selectorILb1EsEEZNS1_24adjacent_difference_implIS3_Lb1ELb0EPKsPsN6thrust23THRUST_200600_302600_NS4plusIsEEEE10hipError_tPvRmT2_T3_mT4_P12ihipStream_tbEUlT_E_NS1_11comp_targetILNS1_3genE0ELNS1_11target_archE4294967295ELNS1_3gpuE0ELNS1_3repE0EEENS1_30default_config_static_selectorELNS0_4arch9wavefront6targetE1EEEvT1_
	.globl	_ZN7rocprim17ROCPRIM_400000_NS6detail17trampoline_kernelINS0_14default_configENS1_35adjacent_difference_config_selectorILb1EsEEZNS1_24adjacent_difference_implIS3_Lb1ELb0EPKsPsN6thrust23THRUST_200600_302600_NS4plusIsEEEE10hipError_tPvRmT2_T3_mT4_P12ihipStream_tbEUlT_E_NS1_11comp_targetILNS1_3genE0ELNS1_11target_archE4294967295ELNS1_3gpuE0ELNS1_3repE0EEENS1_30default_config_static_selectorELNS0_4arch9wavefront6targetE1EEEvT1_
	.p2align	8
	.type	_ZN7rocprim17ROCPRIM_400000_NS6detail17trampoline_kernelINS0_14default_configENS1_35adjacent_difference_config_selectorILb1EsEEZNS1_24adjacent_difference_implIS3_Lb1ELb0EPKsPsN6thrust23THRUST_200600_302600_NS4plusIsEEEE10hipError_tPvRmT2_T3_mT4_P12ihipStream_tbEUlT_E_NS1_11comp_targetILNS1_3genE0ELNS1_11target_archE4294967295ELNS1_3gpuE0ELNS1_3repE0EEENS1_30default_config_static_selectorELNS0_4arch9wavefront6targetE1EEEvT1_,@function
_ZN7rocprim17ROCPRIM_400000_NS6detail17trampoline_kernelINS0_14default_configENS1_35adjacent_difference_config_selectorILb1EsEEZNS1_24adjacent_difference_implIS3_Lb1ELb0EPKsPsN6thrust23THRUST_200600_302600_NS4plusIsEEEE10hipError_tPvRmT2_T3_mT4_P12ihipStream_tbEUlT_E_NS1_11comp_targetILNS1_3genE0ELNS1_11target_archE4294967295ELNS1_3gpuE0ELNS1_3repE0EEENS1_30default_config_static_selectorELNS0_4arch9wavefront6targetE1EEEvT1_: ; @_ZN7rocprim17ROCPRIM_400000_NS6detail17trampoline_kernelINS0_14default_configENS1_35adjacent_difference_config_selectorILb1EsEEZNS1_24adjacent_difference_implIS3_Lb1ELb0EPKsPsN6thrust23THRUST_200600_302600_NS4plusIsEEEE10hipError_tPvRmT2_T3_mT4_P12ihipStream_tbEUlT_E_NS1_11comp_targetILNS1_3genE0ELNS1_11target_archE4294967295ELNS1_3gpuE0ELNS1_3repE0EEENS1_30default_config_static_selectorELNS0_4arch9wavefront6targetE1EEEvT1_
; %bb.0:
	.section	.rodata,"a",@progbits
	.p2align	6, 0x0
	.amdhsa_kernel _ZN7rocprim17ROCPRIM_400000_NS6detail17trampoline_kernelINS0_14default_configENS1_35adjacent_difference_config_selectorILb1EsEEZNS1_24adjacent_difference_implIS3_Lb1ELb0EPKsPsN6thrust23THRUST_200600_302600_NS4plusIsEEEE10hipError_tPvRmT2_T3_mT4_P12ihipStream_tbEUlT_E_NS1_11comp_targetILNS1_3genE0ELNS1_11target_archE4294967295ELNS1_3gpuE0ELNS1_3repE0EEENS1_30default_config_static_selectorELNS0_4arch9wavefront6targetE1EEEvT1_
		.amdhsa_group_segment_fixed_size 0
		.amdhsa_private_segment_fixed_size 0
		.amdhsa_kernarg_size 56
		.amdhsa_user_sgpr_count 6
		.amdhsa_user_sgpr_private_segment_buffer 1
		.amdhsa_user_sgpr_dispatch_ptr 0
		.amdhsa_user_sgpr_queue_ptr 0
		.amdhsa_user_sgpr_kernarg_segment_ptr 1
		.amdhsa_user_sgpr_dispatch_id 0
		.amdhsa_user_sgpr_flat_scratch_init 0
		.amdhsa_user_sgpr_kernarg_preload_length 0
		.amdhsa_user_sgpr_kernarg_preload_offset 0
		.amdhsa_user_sgpr_private_segment_size 0
		.amdhsa_uses_dynamic_stack 0
		.amdhsa_system_sgpr_private_segment_wavefront_offset 0
		.amdhsa_system_sgpr_workgroup_id_x 1
		.amdhsa_system_sgpr_workgroup_id_y 0
		.amdhsa_system_sgpr_workgroup_id_z 0
		.amdhsa_system_sgpr_workgroup_info 0
		.amdhsa_system_vgpr_workitem_id 0
		.amdhsa_next_free_vgpr 1
		.amdhsa_next_free_sgpr 0
		.amdhsa_accum_offset 4
		.amdhsa_reserve_vcc 0
		.amdhsa_reserve_flat_scratch 0
		.amdhsa_float_round_mode_32 0
		.amdhsa_float_round_mode_16_64 0
		.amdhsa_float_denorm_mode_32 3
		.amdhsa_float_denorm_mode_16_64 3
		.amdhsa_dx10_clamp 1
		.amdhsa_ieee_mode 1
		.amdhsa_fp16_overflow 0
		.amdhsa_tg_split 0
		.amdhsa_exception_fp_ieee_invalid_op 0
		.amdhsa_exception_fp_denorm_src 0
		.amdhsa_exception_fp_ieee_div_zero 0
		.amdhsa_exception_fp_ieee_overflow 0
		.amdhsa_exception_fp_ieee_underflow 0
		.amdhsa_exception_fp_ieee_inexact 0
		.amdhsa_exception_int_div_zero 0
	.end_amdhsa_kernel
	.section	.text._ZN7rocprim17ROCPRIM_400000_NS6detail17trampoline_kernelINS0_14default_configENS1_35adjacent_difference_config_selectorILb1EsEEZNS1_24adjacent_difference_implIS3_Lb1ELb0EPKsPsN6thrust23THRUST_200600_302600_NS4plusIsEEEE10hipError_tPvRmT2_T3_mT4_P12ihipStream_tbEUlT_E_NS1_11comp_targetILNS1_3genE0ELNS1_11target_archE4294967295ELNS1_3gpuE0ELNS1_3repE0EEENS1_30default_config_static_selectorELNS0_4arch9wavefront6targetE1EEEvT1_,"axG",@progbits,_ZN7rocprim17ROCPRIM_400000_NS6detail17trampoline_kernelINS0_14default_configENS1_35adjacent_difference_config_selectorILb1EsEEZNS1_24adjacent_difference_implIS3_Lb1ELb0EPKsPsN6thrust23THRUST_200600_302600_NS4plusIsEEEE10hipError_tPvRmT2_T3_mT4_P12ihipStream_tbEUlT_E_NS1_11comp_targetILNS1_3genE0ELNS1_11target_archE4294967295ELNS1_3gpuE0ELNS1_3repE0EEENS1_30default_config_static_selectorELNS0_4arch9wavefront6targetE1EEEvT1_,comdat
.Lfunc_end533:
	.size	_ZN7rocprim17ROCPRIM_400000_NS6detail17trampoline_kernelINS0_14default_configENS1_35adjacent_difference_config_selectorILb1EsEEZNS1_24adjacent_difference_implIS3_Lb1ELb0EPKsPsN6thrust23THRUST_200600_302600_NS4plusIsEEEE10hipError_tPvRmT2_T3_mT4_P12ihipStream_tbEUlT_E_NS1_11comp_targetILNS1_3genE0ELNS1_11target_archE4294967295ELNS1_3gpuE0ELNS1_3repE0EEENS1_30default_config_static_selectorELNS0_4arch9wavefront6targetE1EEEvT1_, .Lfunc_end533-_ZN7rocprim17ROCPRIM_400000_NS6detail17trampoline_kernelINS0_14default_configENS1_35adjacent_difference_config_selectorILb1EsEEZNS1_24adjacent_difference_implIS3_Lb1ELb0EPKsPsN6thrust23THRUST_200600_302600_NS4plusIsEEEE10hipError_tPvRmT2_T3_mT4_P12ihipStream_tbEUlT_E_NS1_11comp_targetILNS1_3genE0ELNS1_11target_archE4294967295ELNS1_3gpuE0ELNS1_3repE0EEENS1_30default_config_static_selectorELNS0_4arch9wavefront6targetE1EEEvT1_
                                        ; -- End function
	.section	.AMDGPU.csdata,"",@progbits
; Kernel info:
; codeLenInByte = 0
; NumSgprs: 4
; NumVgprs: 0
; NumAgprs: 0
; TotalNumVgprs: 0
; ScratchSize: 0
; MemoryBound: 0
; FloatMode: 240
; IeeeMode: 1
; LDSByteSize: 0 bytes/workgroup (compile time only)
; SGPRBlocks: 0
; VGPRBlocks: 0
; NumSGPRsForWavesPerEU: 4
; NumVGPRsForWavesPerEU: 1
; AccumOffset: 4
; Occupancy: 8
; WaveLimiterHint : 0
; COMPUTE_PGM_RSRC2:SCRATCH_EN: 0
; COMPUTE_PGM_RSRC2:USER_SGPR: 6
; COMPUTE_PGM_RSRC2:TRAP_HANDLER: 0
; COMPUTE_PGM_RSRC2:TGID_X_EN: 1
; COMPUTE_PGM_RSRC2:TGID_Y_EN: 0
; COMPUTE_PGM_RSRC2:TGID_Z_EN: 0
; COMPUTE_PGM_RSRC2:TIDIG_COMP_CNT: 0
; COMPUTE_PGM_RSRC3_GFX90A:ACCUM_OFFSET: 0
; COMPUTE_PGM_RSRC3_GFX90A:TG_SPLIT: 0
	.section	.text._ZN7rocprim17ROCPRIM_400000_NS6detail17trampoline_kernelINS0_14default_configENS1_35adjacent_difference_config_selectorILb1EsEEZNS1_24adjacent_difference_implIS3_Lb1ELb0EPKsPsN6thrust23THRUST_200600_302600_NS4plusIsEEEE10hipError_tPvRmT2_T3_mT4_P12ihipStream_tbEUlT_E_NS1_11comp_targetILNS1_3genE10ELNS1_11target_archE1201ELNS1_3gpuE5ELNS1_3repE0EEENS1_30default_config_static_selectorELNS0_4arch9wavefront6targetE1EEEvT1_,"axG",@progbits,_ZN7rocprim17ROCPRIM_400000_NS6detail17trampoline_kernelINS0_14default_configENS1_35adjacent_difference_config_selectorILb1EsEEZNS1_24adjacent_difference_implIS3_Lb1ELb0EPKsPsN6thrust23THRUST_200600_302600_NS4plusIsEEEE10hipError_tPvRmT2_T3_mT4_P12ihipStream_tbEUlT_E_NS1_11comp_targetILNS1_3genE10ELNS1_11target_archE1201ELNS1_3gpuE5ELNS1_3repE0EEENS1_30default_config_static_selectorELNS0_4arch9wavefront6targetE1EEEvT1_,comdat
	.protected	_ZN7rocprim17ROCPRIM_400000_NS6detail17trampoline_kernelINS0_14default_configENS1_35adjacent_difference_config_selectorILb1EsEEZNS1_24adjacent_difference_implIS3_Lb1ELb0EPKsPsN6thrust23THRUST_200600_302600_NS4plusIsEEEE10hipError_tPvRmT2_T3_mT4_P12ihipStream_tbEUlT_E_NS1_11comp_targetILNS1_3genE10ELNS1_11target_archE1201ELNS1_3gpuE5ELNS1_3repE0EEENS1_30default_config_static_selectorELNS0_4arch9wavefront6targetE1EEEvT1_ ; -- Begin function _ZN7rocprim17ROCPRIM_400000_NS6detail17trampoline_kernelINS0_14default_configENS1_35adjacent_difference_config_selectorILb1EsEEZNS1_24adjacent_difference_implIS3_Lb1ELb0EPKsPsN6thrust23THRUST_200600_302600_NS4plusIsEEEE10hipError_tPvRmT2_T3_mT4_P12ihipStream_tbEUlT_E_NS1_11comp_targetILNS1_3genE10ELNS1_11target_archE1201ELNS1_3gpuE5ELNS1_3repE0EEENS1_30default_config_static_selectorELNS0_4arch9wavefront6targetE1EEEvT1_
	.globl	_ZN7rocprim17ROCPRIM_400000_NS6detail17trampoline_kernelINS0_14default_configENS1_35adjacent_difference_config_selectorILb1EsEEZNS1_24adjacent_difference_implIS3_Lb1ELb0EPKsPsN6thrust23THRUST_200600_302600_NS4plusIsEEEE10hipError_tPvRmT2_T3_mT4_P12ihipStream_tbEUlT_E_NS1_11comp_targetILNS1_3genE10ELNS1_11target_archE1201ELNS1_3gpuE5ELNS1_3repE0EEENS1_30default_config_static_selectorELNS0_4arch9wavefront6targetE1EEEvT1_
	.p2align	8
	.type	_ZN7rocprim17ROCPRIM_400000_NS6detail17trampoline_kernelINS0_14default_configENS1_35adjacent_difference_config_selectorILb1EsEEZNS1_24adjacent_difference_implIS3_Lb1ELb0EPKsPsN6thrust23THRUST_200600_302600_NS4plusIsEEEE10hipError_tPvRmT2_T3_mT4_P12ihipStream_tbEUlT_E_NS1_11comp_targetILNS1_3genE10ELNS1_11target_archE1201ELNS1_3gpuE5ELNS1_3repE0EEENS1_30default_config_static_selectorELNS0_4arch9wavefront6targetE1EEEvT1_,@function
_ZN7rocprim17ROCPRIM_400000_NS6detail17trampoline_kernelINS0_14default_configENS1_35adjacent_difference_config_selectorILb1EsEEZNS1_24adjacent_difference_implIS3_Lb1ELb0EPKsPsN6thrust23THRUST_200600_302600_NS4plusIsEEEE10hipError_tPvRmT2_T3_mT4_P12ihipStream_tbEUlT_E_NS1_11comp_targetILNS1_3genE10ELNS1_11target_archE1201ELNS1_3gpuE5ELNS1_3repE0EEENS1_30default_config_static_selectorELNS0_4arch9wavefront6targetE1EEEvT1_: ; @_ZN7rocprim17ROCPRIM_400000_NS6detail17trampoline_kernelINS0_14default_configENS1_35adjacent_difference_config_selectorILb1EsEEZNS1_24adjacent_difference_implIS3_Lb1ELb0EPKsPsN6thrust23THRUST_200600_302600_NS4plusIsEEEE10hipError_tPvRmT2_T3_mT4_P12ihipStream_tbEUlT_E_NS1_11comp_targetILNS1_3genE10ELNS1_11target_archE1201ELNS1_3gpuE5ELNS1_3repE0EEENS1_30default_config_static_selectorELNS0_4arch9wavefront6targetE1EEEvT1_
; %bb.0:
	.section	.rodata,"a",@progbits
	.p2align	6, 0x0
	.amdhsa_kernel _ZN7rocprim17ROCPRIM_400000_NS6detail17trampoline_kernelINS0_14default_configENS1_35adjacent_difference_config_selectorILb1EsEEZNS1_24adjacent_difference_implIS3_Lb1ELb0EPKsPsN6thrust23THRUST_200600_302600_NS4plusIsEEEE10hipError_tPvRmT2_T3_mT4_P12ihipStream_tbEUlT_E_NS1_11comp_targetILNS1_3genE10ELNS1_11target_archE1201ELNS1_3gpuE5ELNS1_3repE0EEENS1_30default_config_static_selectorELNS0_4arch9wavefront6targetE1EEEvT1_
		.amdhsa_group_segment_fixed_size 0
		.amdhsa_private_segment_fixed_size 0
		.amdhsa_kernarg_size 56
		.amdhsa_user_sgpr_count 6
		.amdhsa_user_sgpr_private_segment_buffer 1
		.amdhsa_user_sgpr_dispatch_ptr 0
		.amdhsa_user_sgpr_queue_ptr 0
		.amdhsa_user_sgpr_kernarg_segment_ptr 1
		.amdhsa_user_sgpr_dispatch_id 0
		.amdhsa_user_sgpr_flat_scratch_init 0
		.amdhsa_user_sgpr_kernarg_preload_length 0
		.amdhsa_user_sgpr_kernarg_preload_offset 0
		.amdhsa_user_sgpr_private_segment_size 0
		.amdhsa_uses_dynamic_stack 0
		.amdhsa_system_sgpr_private_segment_wavefront_offset 0
		.amdhsa_system_sgpr_workgroup_id_x 1
		.amdhsa_system_sgpr_workgroup_id_y 0
		.amdhsa_system_sgpr_workgroup_id_z 0
		.amdhsa_system_sgpr_workgroup_info 0
		.amdhsa_system_vgpr_workitem_id 0
		.amdhsa_next_free_vgpr 1
		.amdhsa_next_free_sgpr 0
		.amdhsa_accum_offset 4
		.amdhsa_reserve_vcc 0
		.amdhsa_reserve_flat_scratch 0
		.amdhsa_float_round_mode_32 0
		.amdhsa_float_round_mode_16_64 0
		.amdhsa_float_denorm_mode_32 3
		.amdhsa_float_denorm_mode_16_64 3
		.amdhsa_dx10_clamp 1
		.amdhsa_ieee_mode 1
		.amdhsa_fp16_overflow 0
		.amdhsa_tg_split 0
		.amdhsa_exception_fp_ieee_invalid_op 0
		.amdhsa_exception_fp_denorm_src 0
		.amdhsa_exception_fp_ieee_div_zero 0
		.amdhsa_exception_fp_ieee_overflow 0
		.amdhsa_exception_fp_ieee_underflow 0
		.amdhsa_exception_fp_ieee_inexact 0
		.amdhsa_exception_int_div_zero 0
	.end_amdhsa_kernel
	.section	.text._ZN7rocprim17ROCPRIM_400000_NS6detail17trampoline_kernelINS0_14default_configENS1_35adjacent_difference_config_selectorILb1EsEEZNS1_24adjacent_difference_implIS3_Lb1ELb0EPKsPsN6thrust23THRUST_200600_302600_NS4plusIsEEEE10hipError_tPvRmT2_T3_mT4_P12ihipStream_tbEUlT_E_NS1_11comp_targetILNS1_3genE10ELNS1_11target_archE1201ELNS1_3gpuE5ELNS1_3repE0EEENS1_30default_config_static_selectorELNS0_4arch9wavefront6targetE1EEEvT1_,"axG",@progbits,_ZN7rocprim17ROCPRIM_400000_NS6detail17trampoline_kernelINS0_14default_configENS1_35adjacent_difference_config_selectorILb1EsEEZNS1_24adjacent_difference_implIS3_Lb1ELb0EPKsPsN6thrust23THRUST_200600_302600_NS4plusIsEEEE10hipError_tPvRmT2_T3_mT4_P12ihipStream_tbEUlT_E_NS1_11comp_targetILNS1_3genE10ELNS1_11target_archE1201ELNS1_3gpuE5ELNS1_3repE0EEENS1_30default_config_static_selectorELNS0_4arch9wavefront6targetE1EEEvT1_,comdat
.Lfunc_end534:
	.size	_ZN7rocprim17ROCPRIM_400000_NS6detail17trampoline_kernelINS0_14default_configENS1_35adjacent_difference_config_selectorILb1EsEEZNS1_24adjacent_difference_implIS3_Lb1ELb0EPKsPsN6thrust23THRUST_200600_302600_NS4plusIsEEEE10hipError_tPvRmT2_T3_mT4_P12ihipStream_tbEUlT_E_NS1_11comp_targetILNS1_3genE10ELNS1_11target_archE1201ELNS1_3gpuE5ELNS1_3repE0EEENS1_30default_config_static_selectorELNS0_4arch9wavefront6targetE1EEEvT1_, .Lfunc_end534-_ZN7rocprim17ROCPRIM_400000_NS6detail17trampoline_kernelINS0_14default_configENS1_35adjacent_difference_config_selectorILb1EsEEZNS1_24adjacent_difference_implIS3_Lb1ELb0EPKsPsN6thrust23THRUST_200600_302600_NS4plusIsEEEE10hipError_tPvRmT2_T3_mT4_P12ihipStream_tbEUlT_E_NS1_11comp_targetILNS1_3genE10ELNS1_11target_archE1201ELNS1_3gpuE5ELNS1_3repE0EEENS1_30default_config_static_selectorELNS0_4arch9wavefront6targetE1EEEvT1_
                                        ; -- End function
	.section	.AMDGPU.csdata,"",@progbits
; Kernel info:
; codeLenInByte = 0
; NumSgprs: 4
; NumVgprs: 0
; NumAgprs: 0
; TotalNumVgprs: 0
; ScratchSize: 0
; MemoryBound: 0
; FloatMode: 240
; IeeeMode: 1
; LDSByteSize: 0 bytes/workgroup (compile time only)
; SGPRBlocks: 0
; VGPRBlocks: 0
; NumSGPRsForWavesPerEU: 4
; NumVGPRsForWavesPerEU: 1
; AccumOffset: 4
; Occupancy: 8
; WaveLimiterHint : 0
; COMPUTE_PGM_RSRC2:SCRATCH_EN: 0
; COMPUTE_PGM_RSRC2:USER_SGPR: 6
; COMPUTE_PGM_RSRC2:TRAP_HANDLER: 0
; COMPUTE_PGM_RSRC2:TGID_X_EN: 1
; COMPUTE_PGM_RSRC2:TGID_Y_EN: 0
; COMPUTE_PGM_RSRC2:TGID_Z_EN: 0
; COMPUTE_PGM_RSRC2:TIDIG_COMP_CNT: 0
; COMPUTE_PGM_RSRC3_GFX90A:ACCUM_OFFSET: 0
; COMPUTE_PGM_RSRC3_GFX90A:TG_SPLIT: 0
	.section	.text._ZN7rocprim17ROCPRIM_400000_NS6detail17trampoline_kernelINS0_14default_configENS1_35adjacent_difference_config_selectorILb1EsEEZNS1_24adjacent_difference_implIS3_Lb1ELb0EPKsPsN6thrust23THRUST_200600_302600_NS4plusIsEEEE10hipError_tPvRmT2_T3_mT4_P12ihipStream_tbEUlT_E_NS1_11comp_targetILNS1_3genE5ELNS1_11target_archE942ELNS1_3gpuE9ELNS1_3repE0EEENS1_30default_config_static_selectorELNS0_4arch9wavefront6targetE1EEEvT1_,"axG",@progbits,_ZN7rocprim17ROCPRIM_400000_NS6detail17trampoline_kernelINS0_14default_configENS1_35adjacent_difference_config_selectorILb1EsEEZNS1_24adjacent_difference_implIS3_Lb1ELb0EPKsPsN6thrust23THRUST_200600_302600_NS4plusIsEEEE10hipError_tPvRmT2_T3_mT4_P12ihipStream_tbEUlT_E_NS1_11comp_targetILNS1_3genE5ELNS1_11target_archE942ELNS1_3gpuE9ELNS1_3repE0EEENS1_30default_config_static_selectorELNS0_4arch9wavefront6targetE1EEEvT1_,comdat
	.protected	_ZN7rocprim17ROCPRIM_400000_NS6detail17trampoline_kernelINS0_14default_configENS1_35adjacent_difference_config_selectorILb1EsEEZNS1_24adjacent_difference_implIS3_Lb1ELb0EPKsPsN6thrust23THRUST_200600_302600_NS4plusIsEEEE10hipError_tPvRmT2_T3_mT4_P12ihipStream_tbEUlT_E_NS1_11comp_targetILNS1_3genE5ELNS1_11target_archE942ELNS1_3gpuE9ELNS1_3repE0EEENS1_30default_config_static_selectorELNS0_4arch9wavefront6targetE1EEEvT1_ ; -- Begin function _ZN7rocprim17ROCPRIM_400000_NS6detail17trampoline_kernelINS0_14default_configENS1_35adjacent_difference_config_selectorILb1EsEEZNS1_24adjacent_difference_implIS3_Lb1ELb0EPKsPsN6thrust23THRUST_200600_302600_NS4plusIsEEEE10hipError_tPvRmT2_T3_mT4_P12ihipStream_tbEUlT_E_NS1_11comp_targetILNS1_3genE5ELNS1_11target_archE942ELNS1_3gpuE9ELNS1_3repE0EEENS1_30default_config_static_selectorELNS0_4arch9wavefront6targetE1EEEvT1_
	.globl	_ZN7rocprim17ROCPRIM_400000_NS6detail17trampoline_kernelINS0_14default_configENS1_35adjacent_difference_config_selectorILb1EsEEZNS1_24adjacent_difference_implIS3_Lb1ELb0EPKsPsN6thrust23THRUST_200600_302600_NS4plusIsEEEE10hipError_tPvRmT2_T3_mT4_P12ihipStream_tbEUlT_E_NS1_11comp_targetILNS1_3genE5ELNS1_11target_archE942ELNS1_3gpuE9ELNS1_3repE0EEENS1_30default_config_static_selectorELNS0_4arch9wavefront6targetE1EEEvT1_
	.p2align	8
	.type	_ZN7rocprim17ROCPRIM_400000_NS6detail17trampoline_kernelINS0_14default_configENS1_35adjacent_difference_config_selectorILb1EsEEZNS1_24adjacent_difference_implIS3_Lb1ELb0EPKsPsN6thrust23THRUST_200600_302600_NS4plusIsEEEE10hipError_tPvRmT2_T3_mT4_P12ihipStream_tbEUlT_E_NS1_11comp_targetILNS1_3genE5ELNS1_11target_archE942ELNS1_3gpuE9ELNS1_3repE0EEENS1_30default_config_static_selectorELNS0_4arch9wavefront6targetE1EEEvT1_,@function
_ZN7rocprim17ROCPRIM_400000_NS6detail17trampoline_kernelINS0_14default_configENS1_35adjacent_difference_config_selectorILb1EsEEZNS1_24adjacent_difference_implIS3_Lb1ELb0EPKsPsN6thrust23THRUST_200600_302600_NS4plusIsEEEE10hipError_tPvRmT2_T3_mT4_P12ihipStream_tbEUlT_E_NS1_11comp_targetILNS1_3genE5ELNS1_11target_archE942ELNS1_3gpuE9ELNS1_3repE0EEENS1_30default_config_static_selectorELNS0_4arch9wavefront6targetE1EEEvT1_: ; @_ZN7rocprim17ROCPRIM_400000_NS6detail17trampoline_kernelINS0_14default_configENS1_35adjacent_difference_config_selectorILb1EsEEZNS1_24adjacent_difference_implIS3_Lb1ELb0EPKsPsN6thrust23THRUST_200600_302600_NS4plusIsEEEE10hipError_tPvRmT2_T3_mT4_P12ihipStream_tbEUlT_E_NS1_11comp_targetILNS1_3genE5ELNS1_11target_archE942ELNS1_3gpuE9ELNS1_3repE0EEENS1_30default_config_static_selectorELNS0_4arch9wavefront6targetE1EEEvT1_
; %bb.0:
	.section	.rodata,"a",@progbits
	.p2align	6, 0x0
	.amdhsa_kernel _ZN7rocprim17ROCPRIM_400000_NS6detail17trampoline_kernelINS0_14default_configENS1_35adjacent_difference_config_selectorILb1EsEEZNS1_24adjacent_difference_implIS3_Lb1ELb0EPKsPsN6thrust23THRUST_200600_302600_NS4plusIsEEEE10hipError_tPvRmT2_T3_mT4_P12ihipStream_tbEUlT_E_NS1_11comp_targetILNS1_3genE5ELNS1_11target_archE942ELNS1_3gpuE9ELNS1_3repE0EEENS1_30default_config_static_selectorELNS0_4arch9wavefront6targetE1EEEvT1_
		.amdhsa_group_segment_fixed_size 0
		.amdhsa_private_segment_fixed_size 0
		.amdhsa_kernarg_size 56
		.amdhsa_user_sgpr_count 6
		.amdhsa_user_sgpr_private_segment_buffer 1
		.amdhsa_user_sgpr_dispatch_ptr 0
		.amdhsa_user_sgpr_queue_ptr 0
		.amdhsa_user_sgpr_kernarg_segment_ptr 1
		.amdhsa_user_sgpr_dispatch_id 0
		.amdhsa_user_sgpr_flat_scratch_init 0
		.amdhsa_user_sgpr_kernarg_preload_length 0
		.amdhsa_user_sgpr_kernarg_preload_offset 0
		.amdhsa_user_sgpr_private_segment_size 0
		.amdhsa_uses_dynamic_stack 0
		.amdhsa_system_sgpr_private_segment_wavefront_offset 0
		.amdhsa_system_sgpr_workgroup_id_x 1
		.amdhsa_system_sgpr_workgroup_id_y 0
		.amdhsa_system_sgpr_workgroup_id_z 0
		.amdhsa_system_sgpr_workgroup_info 0
		.amdhsa_system_vgpr_workitem_id 0
		.amdhsa_next_free_vgpr 1
		.amdhsa_next_free_sgpr 0
		.amdhsa_accum_offset 4
		.amdhsa_reserve_vcc 0
		.amdhsa_reserve_flat_scratch 0
		.amdhsa_float_round_mode_32 0
		.amdhsa_float_round_mode_16_64 0
		.amdhsa_float_denorm_mode_32 3
		.amdhsa_float_denorm_mode_16_64 3
		.amdhsa_dx10_clamp 1
		.amdhsa_ieee_mode 1
		.amdhsa_fp16_overflow 0
		.amdhsa_tg_split 0
		.amdhsa_exception_fp_ieee_invalid_op 0
		.amdhsa_exception_fp_denorm_src 0
		.amdhsa_exception_fp_ieee_div_zero 0
		.amdhsa_exception_fp_ieee_overflow 0
		.amdhsa_exception_fp_ieee_underflow 0
		.amdhsa_exception_fp_ieee_inexact 0
		.amdhsa_exception_int_div_zero 0
	.end_amdhsa_kernel
	.section	.text._ZN7rocprim17ROCPRIM_400000_NS6detail17trampoline_kernelINS0_14default_configENS1_35adjacent_difference_config_selectorILb1EsEEZNS1_24adjacent_difference_implIS3_Lb1ELb0EPKsPsN6thrust23THRUST_200600_302600_NS4plusIsEEEE10hipError_tPvRmT2_T3_mT4_P12ihipStream_tbEUlT_E_NS1_11comp_targetILNS1_3genE5ELNS1_11target_archE942ELNS1_3gpuE9ELNS1_3repE0EEENS1_30default_config_static_selectorELNS0_4arch9wavefront6targetE1EEEvT1_,"axG",@progbits,_ZN7rocprim17ROCPRIM_400000_NS6detail17trampoline_kernelINS0_14default_configENS1_35adjacent_difference_config_selectorILb1EsEEZNS1_24adjacent_difference_implIS3_Lb1ELb0EPKsPsN6thrust23THRUST_200600_302600_NS4plusIsEEEE10hipError_tPvRmT2_T3_mT4_P12ihipStream_tbEUlT_E_NS1_11comp_targetILNS1_3genE5ELNS1_11target_archE942ELNS1_3gpuE9ELNS1_3repE0EEENS1_30default_config_static_selectorELNS0_4arch9wavefront6targetE1EEEvT1_,comdat
.Lfunc_end535:
	.size	_ZN7rocprim17ROCPRIM_400000_NS6detail17trampoline_kernelINS0_14default_configENS1_35adjacent_difference_config_selectorILb1EsEEZNS1_24adjacent_difference_implIS3_Lb1ELb0EPKsPsN6thrust23THRUST_200600_302600_NS4plusIsEEEE10hipError_tPvRmT2_T3_mT4_P12ihipStream_tbEUlT_E_NS1_11comp_targetILNS1_3genE5ELNS1_11target_archE942ELNS1_3gpuE9ELNS1_3repE0EEENS1_30default_config_static_selectorELNS0_4arch9wavefront6targetE1EEEvT1_, .Lfunc_end535-_ZN7rocprim17ROCPRIM_400000_NS6detail17trampoline_kernelINS0_14default_configENS1_35adjacent_difference_config_selectorILb1EsEEZNS1_24adjacent_difference_implIS3_Lb1ELb0EPKsPsN6thrust23THRUST_200600_302600_NS4plusIsEEEE10hipError_tPvRmT2_T3_mT4_P12ihipStream_tbEUlT_E_NS1_11comp_targetILNS1_3genE5ELNS1_11target_archE942ELNS1_3gpuE9ELNS1_3repE0EEENS1_30default_config_static_selectorELNS0_4arch9wavefront6targetE1EEEvT1_
                                        ; -- End function
	.section	.AMDGPU.csdata,"",@progbits
; Kernel info:
; codeLenInByte = 0
; NumSgprs: 4
; NumVgprs: 0
; NumAgprs: 0
; TotalNumVgprs: 0
; ScratchSize: 0
; MemoryBound: 0
; FloatMode: 240
; IeeeMode: 1
; LDSByteSize: 0 bytes/workgroup (compile time only)
; SGPRBlocks: 0
; VGPRBlocks: 0
; NumSGPRsForWavesPerEU: 4
; NumVGPRsForWavesPerEU: 1
; AccumOffset: 4
; Occupancy: 8
; WaveLimiterHint : 0
; COMPUTE_PGM_RSRC2:SCRATCH_EN: 0
; COMPUTE_PGM_RSRC2:USER_SGPR: 6
; COMPUTE_PGM_RSRC2:TRAP_HANDLER: 0
; COMPUTE_PGM_RSRC2:TGID_X_EN: 1
; COMPUTE_PGM_RSRC2:TGID_Y_EN: 0
; COMPUTE_PGM_RSRC2:TGID_Z_EN: 0
; COMPUTE_PGM_RSRC2:TIDIG_COMP_CNT: 0
; COMPUTE_PGM_RSRC3_GFX90A:ACCUM_OFFSET: 0
; COMPUTE_PGM_RSRC3_GFX90A:TG_SPLIT: 0
	.section	.text._ZN7rocprim17ROCPRIM_400000_NS6detail17trampoline_kernelINS0_14default_configENS1_35adjacent_difference_config_selectorILb1EsEEZNS1_24adjacent_difference_implIS3_Lb1ELb0EPKsPsN6thrust23THRUST_200600_302600_NS4plusIsEEEE10hipError_tPvRmT2_T3_mT4_P12ihipStream_tbEUlT_E_NS1_11comp_targetILNS1_3genE4ELNS1_11target_archE910ELNS1_3gpuE8ELNS1_3repE0EEENS1_30default_config_static_selectorELNS0_4arch9wavefront6targetE1EEEvT1_,"axG",@progbits,_ZN7rocprim17ROCPRIM_400000_NS6detail17trampoline_kernelINS0_14default_configENS1_35adjacent_difference_config_selectorILb1EsEEZNS1_24adjacent_difference_implIS3_Lb1ELb0EPKsPsN6thrust23THRUST_200600_302600_NS4plusIsEEEE10hipError_tPvRmT2_T3_mT4_P12ihipStream_tbEUlT_E_NS1_11comp_targetILNS1_3genE4ELNS1_11target_archE910ELNS1_3gpuE8ELNS1_3repE0EEENS1_30default_config_static_selectorELNS0_4arch9wavefront6targetE1EEEvT1_,comdat
	.protected	_ZN7rocprim17ROCPRIM_400000_NS6detail17trampoline_kernelINS0_14default_configENS1_35adjacent_difference_config_selectorILb1EsEEZNS1_24adjacent_difference_implIS3_Lb1ELb0EPKsPsN6thrust23THRUST_200600_302600_NS4plusIsEEEE10hipError_tPvRmT2_T3_mT4_P12ihipStream_tbEUlT_E_NS1_11comp_targetILNS1_3genE4ELNS1_11target_archE910ELNS1_3gpuE8ELNS1_3repE0EEENS1_30default_config_static_selectorELNS0_4arch9wavefront6targetE1EEEvT1_ ; -- Begin function _ZN7rocprim17ROCPRIM_400000_NS6detail17trampoline_kernelINS0_14default_configENS1_35adjacent_difference_config_selectorILb1EsEEZNS1_24adjacent_difference_implIS3_Lb1ELb0EPKsPsN6thrust23THRUST_200600_302600_NS4plusIsEEEE10hipError_tPvRmT2_T3_mT4_P12ihipStream_tbEUlT_E_NS1_11comp_targetILNS1_3genE4ELNS1_11target_archE910ELNS1_3gpuE8ELNS1_3repE0EEENS1_30default_config_static_selectorELNS0_4arch9wavefront6targetE1EEEvT1_
	.globl	_ZN7rocprim17ROCPRIM_400000_NS6detail17trampoline_kernelINS0_14default_configENS1_35adjacent_difference_config_selectorILb1EsEEZNS1_24adjacent_difference_implIS3_Lb1ELb0EPKsPsN6thrust23THRUST_200600_302600_NS4plusIsEEEE10hipError_tPvRmT2_T3_mT4_P12ihipStream_tbEUlT_E_NS1_11comp_targetILNS1_3genE4ELNS1_11target_archE910ELNS1_3gpuE8ELNS1_3repE0EEENS1_30default_config_static_selectorELNS0_4arch9wavefront6targetE1EEEvT1_
	.p2align	8
	.type	_ZN7rocprim17ROCPRIM_400000_NS6detail17trampoline_kernelINS0_14default_configENS1_35adjacent_difference_config_selectorILb1EsEEZNS1_24adjacent_difference_implIS3_Lb1ELb0EPKsPsN6thrust23THRUST_200600_302600_NS4plusIsEEEE10hipError_tPvRmT2_T3_mT4_P12ihipStream_tbEUlT_E_NS1_11comp_targetILNS1_3genE4ELNS1_11target_archE910ELNS1_3gpuE8ELNS1_3repE0EEENS1_30default_config_static_selectorELNS0_4arch9wavefront6targetE1EEEvT1_,@function
_ZN7rocprim17ROCPRIM_400000_NS6detail17trampoline_kernelINS0_14default_configENS1_35adjacent_difference_config_selectorILb1EsEEZNS1_24adjacent_difference_implIS3_Lb1ELb0EPKsPsN6thrust23THRUST_200600_302600_NS4plusIsEEEE10hipError_tPvRmT2_T3_mT4_P12ihipStream_tbEUlT_E_NS1_11comp_targetILNS1_3genE4ELNS1_11target_archE910ELNS1_3gpuE8ELNS1_3repE0EEENS1_30default_config_static_selectorELNS0_4arch9wavefront6targetE1EEEvT1_: ; @_ZN7rocprim17ROCPRIM_400000_NS6detail17trampoline_kernelINS0_14default_configENS1_35adjacent_difference_config_selectorILb1EsEEZNS1_24adjacent_difference_implIS3_Lb1ELb0EPKsPsN6thrust23THRUST_200600_302600_NS4plusIsEEEE10hipError_tPvRmT2_T3_mT4_P12ihipStream_tbEUlT_E_NS1_11comp_targetILNS1_3genE4ELNS1_11target_archE910ELNS1_3gpuE8ELNS1_3repE0EEENS1_30default_config_static_selectorELNS0_4arch9wavefront6targetE1EEEvT1_
; %bb.0:
	s_load_dwordx8 s[8:15], s[4:5], 0x0
	s_mov_b32 s0, 0xfc3c3710
	s_load_dwordx4 s[16:19], s[4:5], 0x28
	s_movk_i32 s2, 0x440
	s_mul_i32 s4, s6, 0x440
	s_waitcnt lgkmcnt(0)
	s_lshl_b64 s[10:11], s[10:11], 1
	s_add_u32 s26, s8, s10
	s_addc_u32 s27, s9, s11
	s_add_u32 s0, 0x10c, s0
	s_addc_u32 s3, 0, 0
	v_add_co_u32_e64 v1, s[0:1], s0, 2.0
	s_cmp_lg_u64 s[0:1], 0
	s_addc_u32 s0, s3, 0x3c3c3b
	v_readfirstlane_b32 s3, v1
	s_mul_hi_u32 s5, s3, 0xfffffbc0
	s_mul_i32 s1, s0, 0xfffffbc0
	s_sub_i32 s5, s5, s3
	s_add_i32 s5, s5, s1
	s_mul_i32 s9, s3, 0xfffffbc0
	s_mul_hi_u32 s1, s3, s5
	s_mul_i32 s8, s3, s5
	s_mul_hi_u32 s3, s3, s9
	s_add_u32 s3, s3, s8
	s_addc_u32 s1, 0, s1
	s_mul_hi_u32 s20, s0, s9
	s_mul_i32 s9, s0, s9
	s_add_u32 s3, s3, s9
	s_mul_hi_u32 s8, s0, s5
	s_addc_u32 s1, s1, s20
	s_addc_u32 s3, s8, 0
	s_mul_i32 s5, s0, s5
	s_add_u32 s1, s1, s5
	s_addc_u32 s3, 0, s3
	v_add_co_u32_e32 v1, vcc, s1, v1
	s_cmp_lg_u64 vcc, 0
	s_addc_u32 s0, s0, s3
	v_readfirstlane_b32 s5, v1
	s_mul_i32 s3, s14, s0
	s_mul_hi_u32 s8, s14, s5
	s_mul_hi_u32 s1, s14, s0
	s_add_u32 s3, s8, s3
	s_addc_u32 s1, 0, s1
	s_mul_hi_u32 s9, s15, s5
	s_mul_i32 s5, s15, s5
	s_add_u32 s3, s3, s5
	s_mul_hi_u32 s8, s15, s0
	s_addc_u32 s1, s1, s9
	s_addc_u32 s3, s8, 0
	s_mul_i32 s0, s15, s0
	s_add_u32 s0, s1, s0
	s_addc_u32 s1, 0, s3
	s_add_u32 s3, s0, 1
	s_addc_u32 s5, s1, 0
	s_add_u32 s8, s0, 2
	s_mul_i32 s20, s1, 0x440
	s_mul_hi_u32 s21, s0, 0x440
	s_addc_u32 s9, s1, 0
	s_add_i32 s21, s21, s20
	s_mul_i32 s20, s0, 0x440
	v_mov_b32_e32 v1, s20
	v_sub_co_u32_e32 v1, vcc, s14, v1
	s_cmp_lg_u64 vcc, 0
	s_subb_u32 s20, s15, s21
	v_subrev_co_u32_e32 v2, vcc, s2, v1
	s_cmp_lg_u64 vcc, 0
	s_subb_u32 s2, s20, 0
	v_readfirstlane_b32 s21, v2
	s_cmpk_gt_u32 s21, 0x43f
	s_cselect_b32 s21, -1, 0
	s_cmp_eq_u32 s2, 0
	s_cselect_b32 s2, s21, -1
	s_cmp_lg_u32 s2, 0
	s_cselect_b32 s2, s8, s3
	s_cselect_b32 s3, s9, s5
	v_readfirstlane_b32 s5, v1
	s_cmpk_gt_u32 s5, 0x43f
	s_cselect_b32 s5, -1, 0
	s_cmp_eq_u32 s20, 0
	s_cselect_b32 s5, s5, -1
	s_cmp_lg_u32 s5, 0
	s_cselect_b32 s3, s3, s1
	s_cselect_b32 s2, s2, s0
	s_mul_i32 s0, s3, 0x440
	s_mul_hi_u32 s1, s2, 0x440
	s_add_i32 s1, s1, s0
	s_mul_i32 s0, s2, 0x440
	s_sub_u32 s0, s14, s0
	s_subb_u32 s1, s15, s1
	s_cmp_lg_u64 s[0:1], 0
	s_cselect_b64 s[0:1], -1, 0
	v_cndmask_b32_e64 v1, 0, 1, s[0:1]
	v_readfirstlane_b32 s0, v1
	s_add_u32 s2, s2, s0
	s_addc_u32 s3, s3, 0
	s_add_u32 s8, s18, s6
	s_addc_u32 s9, s19, 0
	s_add_u32 s20, s2, -1
	s_addc_u32 s21, s3, -1
	v_pk_mov_b32 v[2:3], s[20:21], s[20:21] op_sel:[0,1]
	v_cmp_ge_u64_e64 s[0:1], s[8:9], v[2:3]
	s_mov_b32 s7, 0
	s_mov_b64 s[22:23], -1
	s_and_b64 vcc, exec, s[0:1]
	s_mul_i32 s15, s20, 0xfffffbc0
	s_cbranch_vccz .LBB536_36
; %bb.1:
	s_mov_b32 s5, s7
	s_add_i32 s28, s15, s14
	s_lshl_b64 s[22:23], s[4:5], 1
	s_add_u32 s22, s26, s22
	s_addc_u32 s23, s27, s23
	v_cmp_gt_u32_e32 vcc, s28, v0
                                        ; implicit-def: $vgpr1
	s_and_saveexec_b64 s[24:25], vcc
	s_cbranch_execz .LBB536_3
; %bb.2:
	v_lshlrev_b32_e32 v1, 1, v0
	global_load_ushort v1, v1, s[22:23]
.LBB536_3:
	s_or_b64 exec, exec, s[24:25]
	v_or_b32_e32 v2, 64, v0
	v_cmp_gt_u32_e32 vcc, s28, v2
                                        ; implicit-def: $vgpr2
	s_and_saveexec_b64 s[24:25], vcc
	s_cbranch_execz .LBB536_5
; %bb.4:
	v_lshlrev_b32_e32 v2, 1, v0
	global_load_ushort v2, v2, s[22:23] offset:128
.LBB536_5:
	s_or_b64 exec, exec, s[24:25]
	v_or_b32_e32 v3, 0x80, v0
	v_cmp_gt_u32_e32 vcc, s28, v3
                                        ; implicit-def: $vgpr3
	s_and_saveexec_b64 s[24:25], vcc
	s_cbranch_execz .LBB536_7
; %bb.6:
	v_lshlrev_b32_e32 v3, 1, v0
	global_load_ushort v3, v3, s[22:23] offset:256
.LBB536_7:
	s_or_b64 exec, exec, s[24:25]
	v_or_b32_e32 v4, 0xc0, v0
	v_cmp_gt_u32_e32 vcc, s28, v4
                                        ; implicit-def: $vgpr4
	s_and_saveexec_b64 s[24:25], vcc
	s_cbranch_execz .LBB536_9
; %bb.8:
	v_lshlrev_b32_e32 v4, 1, v0
	global_load_ushort v4, v4, s[22:23] offset:384
.LBB536_9:
	s_or_b64 exec, exec, s[24:25]
	v_or_b32_e32 v5, 0x100, v0
	v_cmp_gt_u32_e32 vcc, s28, v5
                                        ; implicit-def: $vgpr5
	s_and_saveexec_b64 s[24:25], vcc
	s_cbranch_execz .LBB536_11
; %bb.10:
	v_lshlrev_b32_e32 v5, 1, v0
	global_load_ushort v5, v5, s[22:23] offset:512
.LBB536_11:
	s_or_b64 exec, exec, s[24:25]
	v_or_b32_e32 v6, 0x140, v0
	v_cmp_gt_u32_e32 vcc, s28, v6
                                        ; implicit-def: $vgpr6
	s_and_saveexec_b64 s[24:25], vcc
	s_cbranch_execz .LBB536_13
; %bb.12:
	v_lshlrev_b32_e32 v6, 1, v0
	global_load_ushort v6, v6, s[22:23] offset:640
.LBB536_13:
	s_or_b64 exec, exec, s[24:25]
	v_or_b32_e32 v7, 0x180, v0
	v_cmp_gt_u32_e32 vcc, s28, v7
                                        ; implicit-def: $vgpr7
	s_and_saveexec_b64 s[24:25], vcc
	s_cbranch_execz .LBB536_15
; %bb.14:
	v_lshlrev_b32_e32 v7, 1, v0
	global_load_ushort v7, v7, s[22:23] offset:768
.LBB536_15:
	s_or_b64 exec, exec, s[24:25]
	v_or_b32_e32 v8, 0x1c0, v0
	v_cmp_gt_u32_e32 vcc, s28, v8
                                        ; implicit-def: $vgpr8
	s_and_saveexec_b64 s[24:25], vcc
	s_cbranch_execz .LBB536_17
; %bb.16:
	v_lshlrev_b32_e32 v8, 1, v0
	global_load_ushort v8, v8, s[22:23] offset:896
.LBB536_17:
	s_or_b64 exec, exec, s[24:25]
	v_or_b32_e32 v9, 0x200, v0
	v_cmp_gt_u32_e32 vcc, s28, v9
                                        ; implicit-def: $vgpr9
	s_and_saveexec_b64 s[24:25], vcc
	s_cbranch_execz .LBB536_19
; %bb.18:
	v_lshlrev_b32_e32 v9, 1, v0
	global_load_ushort v9, v9, s[22:23] offset:1024
.LBB536_19:
	s_or_b64 exec, exec, s[24:25]
	v_or_b32_e32 v10, 0x240, v0
	v_cmp_gt_u32_e32 vcc, s28, v10
                                        ; implicit-def: $vgpr10
	s_and_saveexec_b64 s[24:25], vcc
	s_cbranch_execz .LBB536_21
; %bb.20:
	v_lshlrev_b32_e32 v10, 1, v0
	global_load_ushort v10, v10, s[22:23] offset:1152
.LBB536_21:
	s_or_b64 exec, exec, s[24:25]
	v_or_b32_e32 v11, 0x280, v0
	v_cmp_gt_u32_e32 vcc, s28, v11
                                        ; implicit-def: $vgpr11
	s_and_saveexec_b64 s[24:25], vcc
	s_cbranch_execz .LBB536_23
; %bb.22:
	v_lshlrev_b32_e32 v11, 1, v0
	global_load_ushort v11, v11, s[22:23] offset:1280
.LBB536_23:
	s_or_b64 exec, exec, s[24:25]
	v_or_b32_e32 v12, 0x2c0, v0
	v_cmp_gt_u32_e32 vcc, s28, v12
                                        ; implicit-def: $vgpr12
	s_and_saveexec_b64 s[24:25], vcc
	s_cbranch_execz .LBB536_25
; %bb.24:
	v_lshlrev_b32_e32 v12, 1, v0
	global_load_ushort v12, v12, s[22:23] offset:1408
.LBB536_25:
	s_or_b64 exec, exec, s[24:25]
	v_or_b32_e32 v13, 0x300, v0
	v_cmp_gt_u32_e32 vcc, s28, v13
                                        ; implicit-def: $vgpr13
	s_and_saveexec_b64 s[24:25], vcc
	s_cbranch_execz .LBB536_27
; %bb.26:
	v_lshlrev_b32_e32 v13, 1, v0
	global_load_ushort v13, v13, s[22:23] offset:1536
.LBB536_27:
	s_or_b64 exec, exec, s[24:25]
	v_or_b32_e32 v14, 0x340, v0
	v_cmp_gt_u32_e32 vcc, s28, v14
                                        ; implicit-def: $vgpr14
	s_and_saveexec_b64 s[24:25], vcc
	s_cbranch_execz .LBB536_29
; %bb.28:
	v_lshlrev_b32_e32 v14, 1, v0
	global_load_ushort v14, v14, s[22:23] offset:1664
.LBB536_29:
	s_or_b64 exec, exec, s[24:25]
	v_or_b32_e32 v15, 0x380, v0
	v_cmp_gt_u32_e32 vcc, s28, v15
                                        ; implicit-def: $vgpr15
	s_and_saveexec_b64 s[24:25], vcc
	s_cbranch_execz .LBB536_31
; %bb.30:
	v_lshlrev_b32_e32 v15, 1, v0
	global_load_ushort v15, v15, s[22:23] offset:1792
.LBB536_31:
	s_or_b64 exec, exec, s[24:25]
	v_or_b32_e32 v16, 0x3c0, v0
	v_cmp_gt_u32_e32 vcc, s28, v16
                                        ; implicit-def: $vgpr16
	s_and_saveexec_b64 s[24:25], vcc
	s_cbranch_execz .LBB536_33
; %bb.32:
	v_lshlrev_b32_e32 v16, 1, v0
	global_load_ushort v16, v16, s[22:23] offset:1920
.LBB536_33:
	s_or_b64 exec, exec, s[24:25]
	v_or_b32_e32 v17, 0x400, v0
	v_cmp_gt_u32_e32 vcc, s28, v17
                                        ; implicit-def: $vgpr17
	s_and_saveexec_b64 s[24:25], vcc
	s_cbranch_execz .LBB536_35
; %bb.34:
	v_lshlrev_b32_e32 v17, 1, v0
	global_load_ushort v17, v17, s[22:23] offset:2048
.LBB536_35:
	s_or_b64 exec, exec, s[24:25]
	v_lshlrev_b32_e32 v18, 1, v0
	s_mov_b64 s[22:23], 0
	s_waitcnt vmcnt(0)
	ds_write_b16 v18, v1
	ds_write_b16 v18, v2 offset:128
	ds_write_b16 v18, v3 offset:256
	;; [unrolled: 1-line block ×16, first 2 shown]
	s_waitcnt lgkmcnt(0)
	; wave barrier
.LBB536_36:
	s_and_b64 vcc, exec, s[22:23]
	v_lshlrev_b32_e32 v1, 1, v0
	s_cbranch_vccz .LBB536_38
; %bb.37:
	s_mov_b32 s5, 0
	s_lshl_b64 s[22:23], s[4:5], 1
	s_add_u32 s22, s26, s22
	s_addc_u32 s23, s27, s23
	global_load_ushort v2, v1, s[22:23]
	global_load_ushort v3, v1, s[22:23] offset:128
	global_load_ushort v4, v1, s[22:23] offset:256
	;; [unrolled: 1-line block ×16, first 2 shown]
	s_waitcnt vmcnt(16)
	ds_write_b16 v1, v2
	s_waitcnt vmcnt(15)
	ds_write_b16 v1, v3 offset:128
	s_waitcnt vmcnt(14)
	ds_write_b16 v1, v4 offset:256
	;; [unrolled: 2-line block ×16, first 2 shown]
	s_waitcnt lgkmcnt(0)
	; wave barrier
.LBB536_38:
	v_mul_u32_u24_e32 v2, 17, v0
	v_lshlrev_b32_e32 v10, 1, v2
	s_waitcnt lgkmcnt(0)
	ds_read_b128 v[6:9], v10
	ds_read_b128 v[2:5], v10 offset:16
	ds_read_u16 v18, v10 offset:32
	s_cmp_eq_u64 s[8:9], 0
	s_waitcnt lgkmcnt(0)
	; wave barrier
	s_waitcnt lgkmcnt(0)
	s_cbranch_scc1 .LBB536_43
; %bb.39:
	s_lshl_b64 s[18:19], s[18:19], 1
	s_add_u32 s5, s16, s18
	s_addc_u32 s16, s17, s19
	s_lshl_b64 s[6:7], s[6:7], 1
	s_add_u32 s6, s5, s6
	s_addc_u32 s7, s16, s7
	v_mov_b32_e32 v10, 0
	global_load_ushort v20, v10, s[6:7] offset:-2
	s_cmp_eq_u64 s[8:9], s[20:21]
	s_cbranch_scc1 .LBB536_44
; %bb.40:
	v_cmp_ne_u32_e32 vcc, 0, v0
	s_waitcnt vmcnt(0)
	v_mov_b32_e32 v10, v20
	ds_write_b16 v1, v18
	s_waitcnt lgkmcnt(0)
	; wave barrier
	s_waitcnt lgkmcnt(0)
	s_and_saveexec_b64 s[6:7], vcc
	s_cbranch_execz .LBB536_42
; %bb.41:
	v_add_u32_e32 v10, -2, v1
	ds_read_u16 v10, v10
.LBB536_42:
	s_or_b64 exec, exec, s[6:7]
	s_waitcnt lgkmcnt(0)
	v_add_u16_e32 v19, v10, v6
	s_mov_b64 s[6:7], 0
	s_branch .LBB536_45
.LBB536_43:
                                        ; implicit-def: $vgpr10_vgpr11
                                        ; implicit-def: $vgpr12_vgpr13
                                        ; implicit-def: $vgpr14_vgpr15
                                        ; implicit-def: $vgpr16_vgpr17
                                        ; implicit-def: $vgpr19
	s_branch .LBB536_50
.LBB536_44:
	s_mov_b64 s[6:7], -1
                                        ; implicit-def: $vgpr19
.LBB536_45:
	s_and_b64 vcc, exec, s[6:7]
	v_pk_mov_b32 v[10:11], v[4:5], v[4:5] op_sel:[0,1]
	v_pk_mov_b32 v[12:13], v[2:3], v[2:3] op_sel:[0,1]
	;; [unrolled: 1-line block ×4, first 2 shown]
	s_cbranch_vccz .LBB536_49
; %bb.46:
	v_mul_u32_u24_e32 v19, 17, v0
	v_cmp_ne_u32_e32 vcc, 0, v0
	ds_write_b16 v1, v18
	s_waitcnt lgkmcnt(0)
	; wave barrier
	s_waitcnt lgkmcnt(0)
	s_and_saveexec_b64 s[6:7], vcc
	s_cbranch_execz .LBB536_48
; %bb.47:
	v_add_u32_e32 v10, -2, v1
	s_waitcnt vmcnt(0)
	ds_read_u16 v20, v10
.LBB536_48:
	s_or_b64 exec, exec, s[6:7]
	s_mul_i32 s5, s8, 0xfffffbc0
	s_add_i32 s5, s5, s14
	v_add_u32_e32 v10, 15, v19
	v_add_u32_e32 v11, 16, v19
	v_cmp_gt_u32_e32 vcc, s5, v10
	v_add_u32_e32 v12, 13, v19
	v_cndmask_b32_e32 v10, 0, v5, vcc
	v_lshrrev_b32_e32 v14, 16, v5
	v_cmp_gt_u32_e32 vcc, s5, v11
	v_add_u32_e32 v13, 14, v19
	v_cndmask_b32_e32 v11, 0, v14, vcc
	s_mov_b32 s6, 0x5040100
	v_cmp_gt_u32_e32 vcc, s5, v12
	v_perm_b32 v11, v11, v10, s6
	v_cndmask_b32_e32 v10, 0, v4, vcc
	v_lshrrev_b32_e32 v12, 16, v4
	v_cmp_gt_u32_e32 vcc, s5, v13
	v_cndmask_b32_e32 v12, 0, v12, vcc
	v_perm_b32 v10, v12, v10, s6
	v_add_u32_e32 v12, 11, v19
	v_add_u32_e32 v13, 12, v19
	v_cmp_gt_u32_e32 vcc, s5, v12
	v_add_u32_e32 v14, 9, v19
	v_cndmask_b32_e32 v12, 0, v3, vcc
	v_lshrrev_b32_e32 v16, 16, v3
	v_cmp_gt_u32_e32 vcc, s5, v13
	v_add_u32_e32 v15, 10, v19
	v_cndmask_b32_e32 v13, 0, v16, vcc
	v_cmp_gt_u32_e32 vcc, s5, v14
	v_perm_b32 v13, v13, v12, s6
	v_cndmask_b32_e32 v12, 0, v2, vcc
	v_lshrrev_b32_e32 v14, 16, v2
	v_cmp_gt_u32_e32 vcc, s5, v15
	v_cndmask_b32_e32 v14, 0, v14, vcc
	v_perm_b32 v12, v14, v12, s6
	v_add_u32_e32 v14, 7, v19
	v_add_u32_e32 v15, 8, v19
	v_cmp_gt_u32_e32 vcc, s5, v14
	v_add_u32_e32 v16, 5, v19
	v_cndmask_b32_e32 v14, 0, v9, vcc
	v_lshrrev_b32_e32 v21, 16, v9
	v_cmp_gt_u32_e32 vcc, s5, v15
	v_add_u32_e32 v17, 6, v19
	v_cndmask_b32_e32 v15, 0, v21, vcc
	;; [unrolled: 16-line block ×3, first 2 shown]
	v_cmp_gt_u32_e32 vcc, s5, v21
	v_perm_b32 v17, v17, v16, s6
	v_cndmask_b32_e32 v16, 0, v6, vcc
	v_lshrrev_b32_e32 v21, 16, v6
	v_cmp_gt_u32_e32 vcc, s5, v22
	v_cndmask_b32_e32 v21, 0, v21, vcc
	v_cmp_gt_u32_e32 vcc, s5, v19
	s_waitcnt vmcnt(0) lgkmcnt(0)
	v_cndmask_b32_e32 v19, 0, v20, vcc
	v_perm_b32 v16, v21, v16, s6
	v_add_u16_e32 v19, v19, v6
.LBB536_49:
	s_cbranch_execnz .LBB536_59
.LBB536_50:
	s_cmp_eq_u64 s[2:3], 1
	v_cmp_ne_u32_e32 vcc, 0, v0
	s_cbranch_scc1 .LBB536_54
; %bb.51:
	v_mov_b32_e32 v19, v6
	ds_write_b16 v1, v18
	s_waitcnt lgkmcnt(0)
	; wave barrier
	s_waitcnt lgkmcnt(0)
	s_and_saveexec_b64 s[2:3], vcc
	s_cbranch_execz .LBB536_53
; %bb.52:
	v_add_u32_e32 v10, -2, v1
	ds_read_u16 v10, v10
	s_waitcnt lgkmcnt(0)
	v_add_u16_e32 v19, v10, v6
.LBB536_53:
	s_or_b64 exec, exec, s[2:3]
	s_mov_b64 s[2:3], 0
	s_branch .LBB536_55
.LBB536_54:
	s_mov_b64 s[2:3], -1
                                        ; implicit-def: $vgpr19
.LBB536_55:
	s_andn2_b64 vcc, exec, s[2:3]
	v_pk_mov_b32 v[10:11], v[4:5], v[4:5] op_sel:[0,1]
	v_pk_mov_b32 v[12:13], v[2:3], v[2:3] op_sel:[0,1]
	;; [unrolled: 1-line block ×4, first 2 shown]
	s_cbranch_vccnz .LBB536_59
; %bb.56:
	v_mad_u32_u24 v10, v0, 17, 15
	v_mad_u32_u24 v11, v0, 17, 16
	v_cmp_gt_u32_e32 vcc, s14, v10
	v_mad_u32_u24 v12, v0, 17, 13
	v_cndmask_b32_e32 v10, 0, v5, vcc
	v_lshrrev_b32_e32 v14, 16, v5
	v_cmp_gt_u32_e32 vcc, s14, v11
	v_mad_u32_u24 v13, v0, 17, 14
	v_cndmask_b32_e32 v11, 0, v14, vcc
	s_mov_b32 s2, 0x5040100
	v_cmp_gt_u32_e32 vcc, s14, v12
	v_perm_b32 v11, v11, v10, s2
	v_cndmask_b32_e32 v10, 0, v4, vcc
	v_lshrrev_b32_e32 v12, 16, v4
	v_cmp_gt_u32_e32 vcc, s14, v13
	v_cndmask_b32_e32 v12, 0, v12, vcc
	v_perm_b32 v10, v12, v10, s2
	v_mad_u32_u24 v12, v0, 17, 11
	v_mad_u32_u24 v13, v0, 17, 12
	v_cmp_gt_u32_e32 vcc, s14, v12
	v_mad_u32_u24 v14, v0, 17, 9
	v_cndmask_b32_e32 v12, 0, v3, vcc
	v_lshrrev_b32_e32 v16, 16, v3
	v_cmp_gt_u32_e32 vcc, s14, v13
	v_mad_u32_u24 v15, v0, 17, 10
	v_cndmask_b32_e32 v13, 0, v16, vcc
	v_cmp_gt_u32_e32 vcc, s14, v14
	v_perm_b32 v13, v13, v12, s2
	v_cndmask_b32_e32 v12, 0, v2, vcc
	v_lshrrev_b32_e32 v14, 16, v2
	v_cmp_gt_u32_e32 vcc, s14, v15
	v_cndmask_b32_e32 v14, 0, v14, vcc
	v_perm_b32 v12, v14, v12, s2
	v_mad_u32_u24 v14, v0, 17, 7
	v_mad_u32_u24 v15, v0, 17, 8
	v_cmp_gt_u32_e32 vcc, s14, v14
	v_mad_u32_u24 v16, v0, 17, 5
	v_cndmask_b32_e32 v14, 0, v9, vcc
	s_waitcnt vmcnt(0)
	v_lshrrev_b32_e32 v20, 16, v9
	v_cmp_gt_u32_e32 vcc, s14, v15
	v_mad_u32_u24 v17, v0, 17, 6
	v_cndmask_b32_e32 v15, 0, v20, vcc
	v_cmp_gt_u32_e32 vcc, s14, v16
	v_perm_b32 v15, v15, v14, s2
	v_cndmask_b32_e32 v14, 0, v8, vcc
	v_lshrrev_b32_e32 v16, 16, v8
	v_cmp_gt_u32_e32 vcc, s14, v17
	v_cndmask_b32_e32 v16, 0, v16, vcc
	v_perm_b32 v14, v16, v14, s2
	v_mad_u32_u24 v16, v0, 17, 3
	v_mad_u32_u24 v17, v0, 17, 4
	v_cmp_gt_u32_e32 vcc, s14, v16
	v_mad_u32_u24 v20, v0, 17, 1
	v_cndmask_b32_e32 v16, 0, v7, vcc
	v_lshrrev_b32_e32 v22, 16, v7
	v_cmp_gt_u32_e32 vcc, s14, v17
	v_mad_u32_u24 v21, v0, 17, 2
	v_cndmask_b32_e32 v17, 0, v22, vcc
	v_cmp_gt_u32_e32 vcc, s14, v20
	v_perm_b32 v17, v17, v16, s2
	v_cndmask_b32_e32 v16, 0, v6, vcc
	v_lshrrev_b32_e32 v20, 16, v6
	v_cmp_gt_u32_e32 vcc, s14, v21
	v_mul_u32_u24_e32 v19, 17, v0
	v_cndmask_b32_e32 v20, 0, v20, vcc
	v_perm_b32 v16, v20, v16, s2
	v_cmp_ne_u32_e32 vcc, 0, v0
	v_cmp_gt_u32_e64 s[2:3], s14, v19
	s_and_b64 s[6:7], vcc, s[2:3]
	v_mov_b32_e32 v19, v6
	ds_write_b16 v1, v18
	s_waitcnt lgkmcnt(0)
	; wave barrier
	s_waitcnt lgkmcnt(0)
	s_and_saveexec_b64 s[2:3], s[6:7]
	s_cbranch_execz .LBB536_58
; %bb.57:
	v_add_u32_e32 v19, -2, v1
	ds_read_u16 v19, v19
	s_waitcnt lgkmcnt(0)
	v_add_u16_e32 v19, v19, v6
.LBB536_58:
	s_or_b64 exec, exec, s[2:3]
.LBB536_59:
	s_add_u32 s6, s12, s10
	v_alignbit_b32 v6, v7, v6, 16
	v_alignbit_b32 v7, v8, v7, 16
	;; [unrolled: 1-line block ×8, first 2 shown]
	s_addc_u32 s7, s13, s11
	v_pk_add_u16 v7, v17, v7
	v_pk_add_u16 v6, v16, v6
	;; [unrolled: 1-line block ×8, first 2 shown]
	s_and_b64 vcc, exec, s[0:1]
	v_mul_u32_u24_e32 v12, 34, v0
	v_lshlrev_b32_e32 v13, 5, v0
	s_waitcnt lgkmcnt(0)
	; wave barrier
	s_cbranch_vccz .LBB536_93
; %bb.60:
	v_sub_u32_e32 v10, v12, v13
	ds_write_b16 v12, v19
	ds_write_b128 v12, v[6:9] offset:2
	ds_write_b128 v12, v[2:5] offset:18
	s_waitcnt lgkmcnt(0)
	; wave barrier
	s_waitcnt lgkmcnt(0)
	ds_read_u16 v30, v10 offset:128
	ds_read_u16 v29, v10 offset:256
	;; [unrolled: 1-line block ×10, first 2 shown]
	s_waitcnt vmcnt(0)
	ds_read_u16 v20, v10 offset:1408
	ds_read_u16 v18, v10 offset:1536
	;; [unrolled: 1-line block ×6, first 2 shown]
	s_mov_b32 s5, 0
	s_add_i32 s15, s15, s14
	s_lshl_b64 s[0:1], s[4:5], 1
	s_add_u32 s0, s6, s0
	s_addc_u32 s1, s7, s1
	v_mov_b32_e32 v11, s1
	v_add_co_u32_e32 v10, vcc, s0, v1
	v_addc_co_u32_e32 v11, vcc, 0, v11, vcc
	v_cmp_gt_u32_e32 vcc, s15, v0
	s_and_saveexec_b64 s[0:1], vcc
	s_cbranch_execz .LBB536_62
; %bb.61:
	v_sub_u32_e32 v31, 0, v13
	v_add_u32_e32 v31, v12, v31
	ds_read_u16 v31, v31
	s_waitcnt lgkmcnt(0)
	global_store_short v[10:11], v31, off
.LBB536_62:
	s_or_b64 exec, exec, s[0:1]
	v_or_b32_e32 v31, 64, v0
	v_cmp_gt_u32_e32 vcc, s15, v31
	s_and_saveexec_b64 s[0:1], vcc
	s_cbranch_execz .LBB536_64
; %bb.63:
	s_waitcnt lgkmcnt(14)
	global_store_short v[10:11], v30, off offset:128
.LBB536_64:
	s_or_b64 exec, exec, s[0:1]
	s_waitcnt lgkmcnt(14)
	v_or_b32_e32 v30, 0x80, v0
	v_cmp_gt_u32_e32 vcc, s15, v30
	s_and_saveexec_b64 s[0:1], vcc
	s_cbranch_execz .LBB536_66
; %bb.65:
	global_store_short v[10:11], v29, off offset:256
.LBB536_66:
	s_or_b64 exec, exec, s[0:1]
	v_or_b32_e32 v29, 0xc0, v0
	v_cmp_gt_u32_e32 vcc, s15, v29
	s_and_saveexec_b64 s[0:1], vcc
	s_cbranch_execz .LBB536_68
; %bb.67:
	s_waitcnt lgkmcnt(13)
	global_store_short v[10:11], v28, off offset:384
.LBB536_68:
	s_or_b64 exec, exec, s[0:1]
	s_waitcnt lgkmcnt(13)
	v_or_b32_e32 v28, 0x100, v0
	v_cmp_gt_u32_e32 vcc, s15, v28
	s_and_saveexec_b64 s[0:1], vcc
	s_cbranch_execz .LBB536_70
; %bb.69:
	s_waitcnt lgkmcnt(12)
	global_store_short v[10:11], v27, off offset:512
.LBB536_70:
	s_or_b64 exec, exec, s[0:1]
	s_waitcnt lgkmcnt(12)
	;; [unrolled: 10-line block ×12, first 2 shown]
	v_or_b32_e32 v16, 0x3c0, v0
	v_cmp_gt_u32_e32 vcc, s15, v16
	s_and_saveexec_b64 s[0:1], vcc
	s_cbranch_execz .LBB536_92
; %bb.91:
	s_waitcnt lgkmcnt(1)
	global_store_short v[10:11], v15, off offset:1920
.LBB536_92:
	s_or_b64 exec, exec, s[0:1]
	v_or_b32_e32 v0, 0x400, v0
	v_cmp_gt_u32_e64 s[0:1], s15, v0
	s_branch .LBB536_95
.LBB536_93:
	s_mov_b64 s[0:1], 0
                                        ; implicit-def: $vgpr14
                                        ; implicit-def: $vgpr10_vgpr11
	s_cbranch_execz .LBB536_95
; %bb.94:
	s_mov_b32 s5, 0
	s_lshl_b64 s[2:3], s[4:5], 1
	v_sub_u32_e32 v0, v12, v13
	s_add_u32 s2, s6, s2
	ds_write_b16 v12, v19
	ds_write_b128 v12, v[6:9] offset:2
	ds_write_b128 v12, v[2:5] offset:18
	s_waitcnt lgkmcnt(0)
	; wave barrier
	s_waitcnt lgkmcnt(0)
	ds_read_u16 v2, v0
	ds_read_u16 v3, v0 offset:128
	ds_read_u16 v4, v0 offset:256
	;; [unrolled: 1-line block ×14, first 2 shown]
	s_waitcnt vmcnt(0)
	ds_read_u16 v20, v0 offset:1920
	ds_read_u16 v14, v0 offset:2048
	s_addc_u32 s3, s7, s3
	v_mov_b32_e32 v0, s3
	v_add_co_u32_e32 v10, vcc, s2, v1
	v_addc_co_u32_e32 v11, vcc, 0, v0, vcc
	s_or_b64 s[0:1], s[0:1], exec
	s_waitcnt lgkmcnt(14)
	global_store_short v1, v2, s[2:3]
	global_store_short v1, v3, s[2:3] offset:128
	global_store_short v1, v4, s[2:3] offset:256
	s_waitcnt lgkmcnt(13)
	global_store_short v1, v5, s[2:3] offset:384
	s_waitcnt lgkmcnt(12)
	;; [unrolled: 2-line block ×13, first 2 shown]
	global_store_short v1, v20, s[2:3] offset:1920
.LBB536_95:
	s_and_saveexec_b64 s[2:3], s[0:1]
	s_cbranch_execnz .LBB536_97
; %bb.96:
	s_endpgm
.LBB536_97:
	s_waitcnt lgkmcnt(0)
	global_store_short v[10:11], v14, off offset:2048
	s_endpgm
	.section	.rodata,"a",@progbits
	.p2align	6, 0x0
	.amdhsa_kernel _ZN7rocprim17ROCPRIM_400000_NS6detail17trampoline_kernelINS0_14default_configENS1_35adjacent_difference_config_selectorILb1EsEEZNS1_24adjacent_difference_implIS3_Lb1ELb0EPKsPsN6thrust23THRUST_200600_302600_NS4plusIsEEEE10hipError_tPvRmT2_T3_mT4_P12ihipStream_tbEUlT_E_NS1_11comp_targetILNS1_3genE4ELNS1_11target_archE910ELNS1_3gpuE8ELNS1_3repE0EEENS1_30default_config_static_selectorELNS0_4arch9wavefront6targetE1EEEvT1_
		.amdhsa_group_segment_fixed_size 2176
		.amdhsa_private_segment_fixed_size 0
		.amdhsa_kernarg_size 56
		.amdhsa_user_sgpr_count 6
		.amdhsa_user_sgpr_private_segment_buffer 1
		.amdhsa_user_sgpr_dispatch_ptr 0
		.amdhsa_user_sgpr_queue_ptr 0
		.amdhsa_user_sgpr_kernarg_segment_ptr 1
		.amdhsa_user_sgpr_dispatch_id 0
		.amdhsa_user_sgpr_flat_scratch_init 0
		.amdhsa_user_sgpr_kernarg_preload_length 0
		.amdhsa_user_sgpr_kernarg_preload_offset 0
		.amdhsa_user_sgpr_private_segment_size 0
		.amdhsa_uses_dynamic_stack 0
		.amdhsa_system_sgpr_private_segment_wavefront_offset 0
		.amdhsa_system_sgpr_workgroup_id_x 1
		.amdhsa_system_sgpr_workgroup_id_y 0
		.amdhsa_system_sgpr_workgroup_id_z 0
		.amdhsa_system_sgpr_workgroup_info 0
		.amdhsa_system_vgpr_workitem_id 0
		.amdhsa_next_free_vgpr 32
		.amdhsa_next_free_sgpr 29
		.amdhsa_accum_offset 32
		.amdhsa_reserve_vcc 1
		.amdhsa_reserve_flat_scratch 0
		.amdhsa_float_round_mode_32 0
		.amdhsa_float_round_mode_16_64 0
		.amdhsa_float_denorm_mode_32 3
		.amdhsa_float_denorm_mode_16_64 3
		.amdhsa_dx10_clamp 1
		.amdhsa_ieee_mode 1
		.amdhsa_fp16_overflow 0
		.amdhsa_tg_split 0
		.amdhsa_exception_fp_ieee_invalid_op 0
		.amdhsa_exception_fp_denorm_src 0
		.amdhsa_exception_fp_ieee_div_zero 0
		.amdhsa_exception_fp_ieee_overflow 0
		.amdhsa_exception_fp_ieee_underflow 0
		.amdhsa_exception_fp_ieee_inexact 0
		.amdhsa_exception_int_div_zero 0
	.end_amdhsa_kernel
	.section	.text._ZN7rocprim17ROCPRIM_400000_NS6detail17trampoline_kernelINS0_14default_configENS1_35adjacent_difference_config_selectorILb1EsEEZNS1_24adjacent_difference_implIS3_Lb1ELb0EPKsPsN6thrust23THRUST_200600_302600_NS4plusIsEEEE10hipError_tPvRmT2_T3_mT4_P12ihipStream_tbEUlT_E_NS1_11comp_targetILNS1_3genE4ELNS1_11target_archE910ELNS1_3gpuE8ELNS1_3repE0EEENS1_30default_config_static_selectorELNS0_4arch9wavefront6targetE1EEEvT1_,"axG",@progbits,_ZN7rocprim17ROCPRIM_400000_NS6detail17trampoline_kernelINS0_14default_configENS1_35adjacent_difference_config_selectorILb1EsEEZNS1_24adjacent_difference_implIS3_Lb1ELb0EPKsPsN6thrust23THRUST_200600_302600_NS4plusIsEEEE10hipError_tPvRmT2_T3_mT4_P12ihipStream_tbEUlT_E_NS1_11comp_targetILNS1_3genE4ELNS1_11target_archE910ELNS1_3gpuE8ELNS1_3repE0EEENS1_30default_config_static_selectorELNS0_4arch9wavefront6targetE1EEEvT1_,comdat
.Lfunc_end536:
	.size	_ZN7rocprim17ROCPRIM_400000_NS6detail17trampoline_kernelINS0_14default_configENS1_35adjacent_difference_config_selectorILb1EsEEZNS1_24adjacent_difference_implIS3_Lb1ELb0EPKsPsN6thrust23THRUST_200600_302600_NS4plusIsEEEE10hipError_tPvRmT2_T3_mT4_P12ihipStream_tbEUlT_E_NS1_11comp_targetILNS1_3genE4ELNS1_11target_archE910ELNS1_3gpuE8ELNS1_3repE0EEENS1_30default_config_static_selectorELNS0_4arch9wavefront6targetE1EEEvT1_, .Lfunc_end536-_ZN7rocprim17ROCPRIM_400000_NS6detail17trampoline_kernelINS0_14default_configENS1_35adjacent_difference_config_selectorILb1EsEEZNS1_24adjacent_difference_implIS3_Lb1ELb0EPKsPsN6thrust23THRUST_200600_302600_NS4plusIsEEEE10hipError_tPvRmT2_T3_mT4_P12ihipStream_tbEUlT_E_NS1_11comp_targetILNS1_3genE4ELNS1_11target_archE910ELNS1_3gpuE8ELNS1_3repE0EEENS1_30default_config_static_selectorELNS0_4arch9wavefront6targetE1EEEvT1_
                                        ; -- End function
	.section	.AMDGPU.csdata,"",@progbits
; Kernel info:
; codeLenInByte = 4224
; NumSgprs: 33
; NumVgprs: 32
; NumAgprs: 0
; TotalNumVgprs: 32
; ScratchSize: 0
; MemoryBound: 0
; FloatMode: 240
; IeeeMode: 1
; LDSByteSize: 2176 bytes/workgroup (compile time only)
; SGPRBlocks: 4
; VGPRBlocks: 3
; NumSGPRsForWavesPerEU: 33
; NumVGPRsForWavesPerEU: 32
; AccumOffset: 32
; Occupancy: 8
; WaveLimiterHint : 1
; COMPUTE_PGM_RSRC2:SCRATCH_EN: 0
; COMPUTE_PGM_RSRC2:USER_SGPR: 6
; COMPUTE_PGM_RSRC2:TRAP_HANDLER: 0
; COMPUTE_PGM_RSRC2:TGID_X_EN: 1
; COMPUTE_PGM_RSRC2:TGID_Y_EN: 0
; COMPUTE_PGM_RSRC2:TGID_Z_EN: 0
; COMPUTE_PGM_RSRC2:TIDIG_COMP_CNT: 0
; COMPUTE_PGM_RSRC3_GFX90A:ACCUM_OFFSET: 7
; COMPUTE_PGM_RSRC3_GFX90A:TG_SPLIT: 0
	.section	.text._ZN7rocprim17ROCPRIM_400000_NS6detail17trampoline_kernelINS0_14default_configENS1_35adjacent_difference_config_selectorILb1EsEEZNS1_24adjacent_difference_implIS3_Lb1ELb0EPKsPsN6thrust23THRUST_200600_302600_NS4plusIsEEEE10hipError_tPvRmT2_T3_mT4_P12ihipStream_tbEUlT_E_NS1_11comp_targetILNS1_3genE3ELNS1_11target_archE908ELNS1_3gpuE7ELNS1_3repE0EEENS1_30default_config_static_selectorELNS0_4arch9wavefront6targetE1EEEvT1_,"axG",@progbits,_ZN7rocprim17ROCPRIM_400000_NS6detail17trampoline_kernelINS0_14default_configENS1_35adjacent_difference_config_selectorILb1EsEEZNS1_24adjacent_difference_implIS3_Lb1ELb0EPKsPsN6thrust23THRUST_200600_302600_NS4plusIsEEEE10hipError_tPvRmT2_T3_mT4_P12ihipStream_tbEUlT_E_NS1_11comp_targetILNS1_3genE3ELNS1_11target_archE908ELNS1_3gpuE7ELNS1_3repE0EEENS1_30default_config_static_selectorELNS0_4arch9wavefront6targetE1EEEvT1_,comdat
	.protected	_ZN7rocprim17ROCPRIM_400000_NS6detail17trampoline_kernelINS0_14default_configENS1_35adjacent_difference_config_selectorILb1EsEEZNS1_24adjacent_difference_implIS3_Lb1ELb0EPKsPsN6thrust23THRUST_200600_302600_NS4plusIsEEEE10hipError_tPvRmT2_T3_mT4_P12ihipStream_tbEUlT_E_NS1_11comp_targetILNS1_3genE3ELNS1_11target_archE908ELNS1_3gpuE7ELNS1_3repE0EEENS1_30default_config_static_selectorELNS0_4arch9wavefront6targetE1EEEvT1_ ; -- Begin function _ZN7rocprim17ROCPRIM_400000_NS6detail17trampoline_kernelINS0_14default_configENS1_35adjacent_difference_config_selectorILb1EsEEZNS1_24adjacent_difference_implIS3_Lb1ELb0EPKsPsN6thrust23THRUST_200600_302600_NS4plusIsEEEE10hipError_tPvRmT2_T3_mT4_P12ihipStream_tbEUlT_E_NS1_11comp_targetILNS1_3genE3ELNS1_11target_archE908ELNS1_3gpuE7ELNS1_3repE0EEENS1_30default_config_static_selectorELNS0_4arch9wavefront6targetE1EEEvT1_
	.globl	_ZN7rocprim17ROCPRIM_400000_NS6detail17trampoline_kernelINS0_14default_configENS1_35adjacent_difference_config_selectorILb1EsEEZNS1_24adjacent_difference_implIS3_Lb1ELb0EPKsPsN6thrust23THRUST_200600_302600_NS4plusIsEEEE10hipError_tPvRmT2_T3_mT4_P12ihipStream_tbEUlT_E_NS1_11comp_targetILNS1_3genE3ELNS1_11target_archE908ELNS1_3gpuE7ELNS1_3repE0EEENS1_30default_config_static_selectorELNS0_4arch9wavefront6targetE1EEEvT1_
	.p2align	8
	.type	_ZN7rocprim17ROCPRIM_400000_NS6detail17trampoline_kernelINS0_14default_configENS1_35adjacent_difference_config_selectorILb1EsEEZNS1_24adjacent_difference_implIS3_Lb1ELb0EPKsPsN6thrust23THRUST_200600_302600_NS4plusIsEEEE10hipError_tPvRmT2_T3_mT4_P12ihipStream_tbEUlT_E_NS1_11comp_targetILNS1_3genE3ELNS1_11target_archE908ELNS1_3gpuE7ELNS1_3repE0EEENS1_30default_config_static_selectorELNS0_4arch9wavefront6targetE1EEEvT1_,@function
_ZN7rocprim17ROCPRIM_400000_NS6detail17trampoline_kernelINS0_14default_configENS1_35adjacent_difference_config_selectorILb1EsEEZNS1_24adjacent_difference_implIS3_Lb1ELb0EPKsPsN6thrust23THRUST_200600_302600_NS4plusIsEEEE10hipError_tPvRmT2_T3_mT4_P12ihipStream_tbEUlT_E_NS1_11comp_targetILNS1_3genE3ELNS1_11target_archE908ELNS1_3gpuE7ELNS1_3repE0EEENS1_30default_config_static_selectorELNS0_4arch9wavefront6targetE1EEEvT1_: ; @_ZN7rocprim17ROCPRIM_400000_NS6detail17trampoline_kernelINS0_14default_configENS1_35adjacent_difference_config_selectorILb1EsEEZNS1_24adjacent_difference_implIS3_Lb1ELb0EPKsPsN6thrust23THRUST_200600_302600_NS4plusIsEEEE10hipError_tPvRmT2_T3_mT4_P12ihipStream_tbEUlT_E_NS1_11comp_targetILNS1_3genE3ELNS1_11target_archE908ELNS1_3gpuE7ELNS1_3repE0EEENS1_30default_config_static_selectorELNS0_4arch9wavefront6targetE1EEEvT1_
; %bb.0:
	.section	.rodata,"a",@progbits
	.p2align	6, 0x0
	.amdhsa_kernel _ZN7rocprim17ROCPRIM_400000_NS6detail17trampoline_kernelINS0_14default_configENS1_35adjacent_difference_config_selectorILb1EsEEZNS1_24adjacent_difference_implIS3_Lb1ELb0EPKsPsN6thrust23THRUST_200600_302600_NS4plusIsEEEE10hipError_tPvRmT2_T3_mT4_P12ihipStream_tbEUlT_E_NS1_11comp_targetILNS1_3genE3ELNS1_11target_archE908ELNS1_3gpuE7ELNS1_3repE0EEENS1_30default_config_static_selectorELNS0_4arch9wavefront6targetE1EEEvT1_
		.amdhsa_group_segment_fixed_size 0
		.amdhsa_private_segment_fixed_size 0
		.amdhsa_kernarg_size 56
		.amdhsa_user_sgpr_count 6
		.amdhsa_user_sgpr_private_segment_buffer 1
		.amdhsa_user_sgpr_dispatch_ptr 0
		.amdhsa_user_sgpr_queue_ptr 0
		.amdhsa_user_sgpr_kernarg_segment_ptr 1
		.amdhsa_user_sgpr_dispatch_id 0
		.amdhsa_user_sgpr_flat_scratch_init 0
		.amdhsa_user_sgpr_kernarg_preload_length 0
		.amdhsa_user_sgpr_kernarg_preload_offset 0
		.amdhsa_user_sgpr_private_segment_size 0
		.amdhsa_uses_dynamic_stack 0
		.amdhsa_system_sgpr_private_segment_wavefront_offset 0
		.amdhsa_system_sgpr_workgroup_id_x 1
		.amdhsa_system_sgpr_workgroup_id_y 0
		.amdhsa_system_sgpr_workgroup_id_z 0
		.amdhsa_system_sgpr_workgroup_info 0
		.amdhsa_system_vgpr_workitem_id 0
		.amdhsa_next_free_vgpr 1
		.amdhsa_next_free_sgpr 0
		.amdhsa_accum_offset 4
		.amdhsa_reserve_vcc 0
		.amdhsa_reserve_flat_scratch 0
		.amdhsa_float_round_mode_32 0
		.amdhsa_float_round_mode_16_64 0
		.amdhsa_float_denorm_mode_32 3
		.amdhsa_float_denorm_mode_16_64 3
		.amdhsa_dx10_clamp 1
		.amdhsa_ieee_mode 1
		.amdhsa_fp16_overflow 0
		.amdhsa_tg_split 0
		.amdhsa_exception_fp_ieee_invalid_op 0
		.amdhsa_exception_fp_denorm_src 0
		.amdhsa_exception_fp_ieee_div_zero 0
		.amdhsa_exception_fp_ieee_overflow 0
		.amdhsa_exception_fp_ieee_underflow 0
		.amdhsa_exception_fp_ieee_inexact 0
		.amdhsa_exception_int_div_zero 0
	.end_amdhsa_kernel
	.section	.text._ZN7rocprim17ROCPRIM_400000_NS6detail17trampoline_kernelINS0_14default_configENS1_35adjacent_difference_config_selectorILb1EsEEZNS1_24adjacent_difference_implIS3_Lb1ELb0EPKsPsN6thrust23THRUST_200600_302600_NS4plusIsEEEE10hipError_tPvRmT2_T3_mT4_P12ihipStream_tbEUlT_E_NS1_11comp_targetILNS1_3genE3ELNS1_11target_archE908ELNS1_3gpuE7ELNS1_3repE0EEENS1_30default_config_static_selectorELNS0_4arch9wavefront6targetE1EEEvT1_,"axG",@progbits,_ZN7rocprim17ROCPRIM_400000_NS6detail17trampoline_kernelINS0_14default_configENS1_35adjacent_difference_config_selectorILb1EsEEZNS1_24adjacent_difference_implIS3_Lb1ELb0EPKsPsN6thrust23THRUST_200600_302600_NS4plusIsEEEE10hipError_tPvRmT2_T3_mT4_P12ihipStream_tbEUlT_E_NS1_11comp_targetILNS1_3genE3ELNS1_11target_archE908ELNS1_3gpuE7ELNS1_3repE0EEENS1_30default_config_static_selectorELNS0_4arch9wavefront6targetE1EEEvT1_,comdat
.Lfunc_end537:
	.size	_ZN7rocprim17ROCPRIM_400000_NS6detail17trampoline_kernelINS0_14default_configENS1_35adjacent_difference_config_selectorILb1EsEEZNS1_24adjacent_difference_implIS3_Lb1ELb0EPKsPsN6thrust23THRUST_200600_302600_NS4plusIsEEEE10hipError_tPvRmT2_T3_mT4_P12ihipStream_tbEUlT_E_NS1_11comp_targetILNS1_3genE3ELNS1_11target_archE908ELNS1_3gpuE7ELNS1_3repE0EEENS1_30default_config_static_selectorELNS0_4arch9wavefront6targetE1EEEvT1_, .Lfunc_end537-_ZN7rocprim17ROCPRIM_400000_NS6detail17trampoline_kernelINS0_14default_configENS1_35adjacent_difference_config_selectorILb1EsEEZNS1_24adjacent_difference_implIS3_Lb1ELb0EPKsPsN6thrust23THRUST_200600_302600_NS4plusIsEEEE10hipError_tPvRmT2_T3_mT4_P12ihipStream_tbEUlT_E_NS1_11comp_targetILNS1_3genE3ELNS1_11target_archE908ELNS1_3gpuE7ELNS1_3repE0EEENS1_30default_config_static_selectorELNS0_4arch9wavefront6targetE1EEEvT1_
                                        ; -- End function
	.section	.AMDGPU.csdata,"",@progbits
; Kernel info:
; codeLenInByte = 0
; NumSgprs: 4
; NumVgprs: 0
; NumAgprs: 0
; TotalNumVgprs: 0
; ScratchSize: 0
; MemoryBound: 0
; FloatMode: 240
; IeeeMode: 1
; LDSByteSize: 0 bytes/workgroup (compile time only)
; SGPRBlocks: 0
; VGPRBlocks: 0
; NumSGPRsForWavesPerEU: 4
; NumVGPRsForWavesPerEU: 1
; AccumOffset: 4
; Occupancy: 8
; WaveLimiterHint : 0
; COMPUTE_PGM_RSRC2:SCRATCH_EN: 0
; COMPUTE_PGM_RSRC2:USER_SGPR: 6
; COMPUTE_PGM_RSRC2:TRAP_HANDLER: 0
; COMPUTE_PGM_RSRC2:TGID_X_EN: 1
; COMPUTE_PGM_RSRC2:TGID_Y_EN: 0
; COMPUTE_PGM_RSRC2:TGID_Z_EN: 0
; COMPUTE_PGM_RSRC2:TIDIG_COMP_CNT: 0
; COMPUTE_PGM_RSRC3_GFX90A:ACCUM_OFFSET: 0
; COMPUTE_PGM_RSRC3_GFX90A:TG_SPLIT: 0
	.section	.text._ZN7rocprim17ROCPRIM_400000_NS6detail17trampoline_kernelINS0_14default_configENS1_35adjacent_difference_config_selectorILb1EsEEZNS1_24adjacent_difference_implIS3_Lb1ELb0EPKsPsN6thrust23THRUST_200600_302600_NS4plusIsEEEE10hipError_tPvRmT2_T3_mT4_P12ihipStream_tbEUlT_E_NS1_11comp_targetILNS1_3genE2ELNS1_11target_archE906ELNS1_3gpuE6ELNS1_3repE0EEENS1_30default_config_static_selectorELNS0_4arch9wavefront6targetE1EEEvT1_,"axG",@progbits,_ZN7rocprim17ROCPRIM_400000_NS6detail17trampoline_kernelINS0_14default_configENS1_35adjacent_difference_config_selectorILb1EsEEZNS1_24adjacent_difference_implIS3_Lb1ELb0EPKsPsN6thrust23THRUST_200600_302600_NS4plusIsEEEE10hipError_tPvRmT2_T3_mT4_P12ihipStream_tbEUlT_E_NS1_11comp_targetILNS1_3genE2ELNS1_11target_archE906ELNS1_3gpuE6ELNS1_3repE0EEENS1_30default_config_static_selectorELNS0_4arch9wavefront6targetE1EEEvT1_,comdat
	.protected	_ZN7rocprim17ROCPRIM_400000_NS6detail17trampoline_kernelINS0_14default_configENS1_35adjacent_difference_config_selectorILb1EsEEZNS1_24adjacent_difference_implIS3_Lb1ELb0EPKsPsN6thrust23THRUST_200600_302600_NS4plusIsEEEE10hipError_tPvRmT2_T3_mT4_P12ihipStream_tbEUlT_E_NS1_11comp_targetILNS1_3genE2ELNS1_11target_archE906ELNS1_3gpuE6ELNS1_3repE0EEENS1_30default_config_static_selectorELNS0_4arch9wavefront6targetE1EEEvT1_ ; -- Begin function _ZN7rocprim17ROCPRIM_400000_NS6detail17trampoline_kernelINS0_14default_configENS1_35adjacent_difference_config_selectorILb1EsEEZNS1_24adjacent_difference_implIS3_Lb1ELb0EPKsPsN6thrust23THRUST_200600_302600_NS4plusIsEEEE10hipError_tPvRmT2_T3_mT4_P12ihipStream_tbEUlT_E_NS1_11comp_targetILNS1_3genE2ELNS1_11target_archE906ELNS1_3gpuE6ELNS1_3repE0EEENS1_30default_config_static_selectorELNS0_4arch9wavefront6targetE1EEEvT1_
	.globl	_ZN7rocprim17ROCPRIM_400000_NS6detail17trampoline_kernelINS0_14default_configENS1_35adjacent_difference_config_selectorILb1EsEEZNS1_24adjacent_difference_implIS3_Lb1ELb0EPKsPsN6thrust23THRUST_200600_302600_NS4plusIsEEEE10hipError_tPvRmT2_T3_mT4_P12ihipStream_tbEUlT_E_NS1_11comp_targetILNS1_3genE2ELNS1_11target_archE906ELNS1_3gpuE6ELNS1_3repE0EEENS1_30default_config_static_selectorELNS0_4arch9wavefront6targetE1EEEvT1_
	.p2align	8
	.type	_ZN7rocprim17ROCPRIM_400000_NS6detail17trampoline_kernelINS0_14default_configENS1_35adjacent_difference_config_selectorILb1EsEEZNS1_24adjacent_difference_implIS3_Lb1ELb0EPKsPsN6thrust23THRUST_200600_302600_NS4plusIsEEEE10hipError_tPvRmT2_T3_mT4_P12ihipStream_tbEUlT_E_NS1_11comp_targetILNS1_3genE2ELNS1_11target_archE906ELNS1_3gpuE6ELNS1_3repE0EEENS1_30default_config_static_selectorELNS0_4arch9wavefront6targetE1EEEvT1_,@function
_ZN7rocprim17ROCPRIM_400000_NS6detail17trampoline_kernelINS0_14default_configENS1_35adjacent_difference_config_selectorILb1EsEEZNS1_24adjacent_difference_implIS3_Lb1ELb0EPKsPsN6thrust23THRUST_200600_302600_NS4plusIsEEEE10hipError_tPvRmT2_T3_mT4_P12ihipStream_tbEUlT_E_NS1_11comp_targetILNS1_3genE2ELNS1_11target_archE906ELNS1_3gpuE6ELNS1_3repE0EEENS1_30default_config_static_selectorELNS0_4arch9wavefront6targetE1EEEvT1_: ; @_ZN7rocprim17ROCPRIM_400000_NS6detail17trampoline_kernelINS0_14default_configENS1_35adjacent_difference_config_selectorILb1EsEEZNS1_24adjacent_difference_implIS3_Lb1ELb0EPKsPsN6thrust23THRUST_200600_302600_NS4plusIsEEEE10hipError_tPvRmT2_T3_mT4_P12ihipStream_tbEUlT_E_NS1_11comp_targetILNS1_3genE2ELNS1_11target_archE906ELNS1_3gpuE6ELNS1_3repE0EEENS1_30default_config_static_selectorELNS0_4arch9wavefront6targetE1EEEvT1_
; %bb.0:
	.section	.rodata,"a",@progbits
	.p2align	6, 0x0
	.amdhsa_kernel _ZN7rocprim17ROCPRIM_400000_NS6detail17trampoline_kernelINS0_14default_configENS1_35adjacent_difference_config_selectorILb1EsEEZNS1_24adjacent_difference_implIS3_Lb1ELb0EPKsPsN6thrust23THRUST_200600_302600_NS4plusIsEEEE10hipError_tPvRmT2_T3_mT4_P12ihipStream_tbEUlT_E_NS1_11comp_targetILNS1_3genE2ELNS1_11target_archE906ELNS1_3gpuE6ELNS1_3repE0EEENS1_30default_config_static_selectorELNS0_4arch9wavefront6targetE1EEEvT1_
		.amdhsa_group_segment_fixed_size 0
		.amdhsa_private_segment_fixed_size 0
		.amdhsa_kernarg_size 56
		.amdhsa_user_sgpr_count 6
		.amdhsa_user_sgpr_private_segment_buffer 1
		.amdhsa_user_sgpr_dispatch_ptr 0
		.amdhsa_user_sgpr_queue_ptr 0
		.amdhsa_user_sgpr_kernarg_segment_ptr 1
		.amdhsa_user_sgpr_dispatch_id 0
		.amdhsa_user_sgpr_flat_scratch_init 0
		.amdhsa_user_sgpr_kernarg_preload_length 0
		.amdhsa_user_sgpr_kernarg_preload_offset 0
		.amdhsa_user_sgpr_private_segment_size 0
		.amdhsa_uses_dynamic_stack 0
		.amdhsa_system_sgpr_private_segment_wavefront_offset 0
		.amdhsa_system_sgpr_workgroup_id_x 1
		.amdhsa_system_sgpr_workgroup_id_y 0
		.amdhsa_system_sgpr_workgroup_id_z 0
		.amdhsa_system_sgpr_workgroup_info 0
		.amdhsa_system_vgpr_workitem_id 0
		.amdhsa_next_free_vgpr 1
		.amdhsa_next_free_sgpr 0
		.amdhsa_accum_offset 4
		.amdhsa_reserve_vcc 0
		.amdhsa_reserve_flat_scratch 0
		.amdhsa_float_round_mode_32 0
		.amdhsa_float_round_mode_16_64 0
		.amdhsa_float_denorm_mode_32 3
		.amdhsa_float_denorm_mode_16_64 3
		.amdhsa_dx10_clamp 1
		.amdhsa_ieee_mode 1
		.amdhsa_fp16_overflow 0
		.amdhsa_tg_split 0
		.amdhsa_exception_fp_ieee_invalid_op 0
		.amdhsa_exception_fp_denorm_src 0
		.amdhsa_exception_fp_ieee_div_zero 0
		.amdhsa_exception_fp_ieee_overflow 0
		.amdhsa_exception_fp_ieee_underflow 0
		.amdhsa_exception_fp_ieee_inexact 0
		.amdhsa_exception_int_div_zero 0
	.end_amdhsa_kernel
	.section	.text._ZN7rocprim17ROCPRIM_400000_NS6detail17trampoline_kernelINS0_14default_configENS1_35adjacent_difference_config_selectorILb1EsEEZNS1_24adjacent_difference_implIS3_Lb1ELb0EPKsPsN6thrust23THRUST_200600_302600_NS4plusIsEEEE10hipError_tPvRmT2_T3_mT4_P12ihipStream_tbEUlT_E_NS1_11comp_targetILNS1_3genE2ELNS1_11target_archE906ELNS1_3gpuE6ELNS1_3repE0EEENS1_30default_config_static_selectorELNS0_4arch9wavefront6targetE1EEEvT1_,"axG",@progbits,_ZN7rocprim17ROCPRIM_400000_NS6detail17trampoline_kernelINS0_14default_configENS1_35adjacent_difference_config_selectorILb1EsEEZNS1_24adjacent_difference_implIS3_Lb1ELb0EPKsPsN6thrust23THRUST_200600_302600_NS4plusIsEEEE10hipError_tPvRmT2_T3_mT4_P12ihipStream_tbEUlT_E_NS1_11comp_targetILNS1_3genE2ELNS1_11target_archE906ELNS1_3gpuE6ELNS1_3repE0EEENS1_30default_config_static_selectorELNS0_4arch9wavefront6targetE1EEEvT1_,comdat
.Lfunc_end538:
	.size	_ZN7rocprim17ROCPRIM_400000_NS6detail17trampoline_kernelINS0_14default_configENS1_35adjacent_difference_config_selectorILb1EsEEZNS1_24adjacent_difference_implIS3_Lb1ELb0EPKsPsN6thrust23THRUST_200600_302600_NS4plusIsEEEE10hipError_tPvRmT2_T3_mT4_P12ihipStream_tbEUlT_E_NS1_11comp_targetILNS1_3genE2ELNS1_11target_archE906ELNS1_3gpuE6ELNS1_3repE0EEENS1_30default_config_static_selectorELNS0_4arch9wavefront6targetE1EEEvT1_, .Lfunc_end538-_ZN7rocprim17ROCPRIM_400000_NS6detail17trampoline_kernelINS0_14default_configENS1_35adjacent_difference_config_selectorILb1EsEEZNS1_24adjacent_difference_implIS3_Lb1ELb0EPKsPsN6thrust23THRUST_200600_302600_NS4plusIsEEEE10hipError_tPvRmT2_T3_mT4_P12ihipStream_tbEUlT_E_NS1_11comp_targetILNS1_3genE2ELNS1_11target_archE906ELNS1_3gpuE6ELNS1_3repE0EEENS1_30default_config_static_selectorELNS0_4arch9wavefront6targetE1EEEvT1_
                                        ; -- End function
	.section	.AMDGPU.csdata,"",@progbits
; Kernel info:
; codeLenInByte = 0
; NumSgprs: 4
; NumVgprs: 0
; NumAgprs: 0
; TotalNumVgprs: 0
; ScratchSize: 0
; MemoryBound: 0
; FloatMode: 240
; IeeeMode: 1
; LDSByteSize: 0 bytes/workgroup (compile time only)
; SGPRBlocks: 0
; VGPRBlocks: 0
; NumSGPRsForWavesPerEU: 4
; NumVGPRsForWavesPerEU: 1
; AccumOffset: 4
; Occupancy: 8
; WaveLimiterHint : 0
; COMPUTE_PGM_RSRC2:SCRATCH_EN: 0
; COMPUTE_PGM_RSRC2:USER_SGPR: 6
; COMPUTE_PGM_RSRC2:TRAP_HANDLER: 0
; COMPUTE_PGM_RSRC2:TGID_X_EN: 1
; COMPUTE_PGM_RSRC2:TGID_Y_EN: 0
; COMPUTE_PGM_RSRC2:TGID_Z_EN: 0
; COMPUTE_PGM_RSRC2:TIDIG_COMP_CNT: 0
; COMPUTE_PGM_RSRC3_GFX90A:ACCUM_OFFSET: 0
; COMPUTE_PGM_RSRC3_GFX90A:TG_SPLIT: 0
	.section	.text._ZN7rocprim17ROCPRIM_400000_NS6detail17trampoline_kernelINS0_14default_configENS1_35adjacent_difference_config_selectorILb1EsEEZNS1_24adjacent_difference_implIS3_Lb1ELb0EPKsPsN6thrust23THRUST_200600_302600_NS4plusIsEEEE10hipError_tPvRmT2_T3_mT4_P12ihipStream_tbEUlT_E_NS1_11comp_targetILNS1_3genE9ELNS1_11target_archE1100ELNS1_3gpuE3ELNS1_3repE0EEENS1_30default_config_static_selectorELNS0_4arch9wavefront6targetE1EEEvT1_,"axG",@progbits,_ZN7rocprim17ROCPRIM_400000_NS6detail17trampoline_kernelINS0_14default_configENS1_35adjacent_difference_config_selectorILb1EsEEZNS1_24adjacent_difference_implIS3_Lb1ELb0EPKsPsN6thrust23THRUST_200600_302600_NS4plusIsEEEE10hipError_tPvRmT2_T3_mT4_P12ihipStream_tbEUlT_E_NS1_11comp_targetILNS1_3genE9ELNS1_11target_archE1100ELNS1_3gpuE3ELNS1_3repE0EEENS1_30default_config_static_selectorELNS0_4arch9wavefront6targetE1EEEvT1_,comdat
	.protected	_ZN7rocprim17ROCPRIM_400000_NS6detail17trampoline_kernelINS0_14default_configENS1_35adjacent_difference_config_selectorILb1EsEEZNS1_24adjacent_difference_implIS3_Lb1ELb0EPKsPsN6thrust23THRUST_200600_302600_NS4plusIsEEEE10hipError_tPvRmT2_T3_mT4_P12ihipStream_tbEUlT_E_NS1_11comp_targetILNS1_3genE9ELNS1_11target_archE1100ELNS1_3gpuE3ELNS1_3repE0EEENS1_30default_config_static_selectorELNS0_4arch9wavefront6targetE1EEEvT1_ ; -- Begin function _ZN7rocprim17ROCPRIM_400000_NS6detail17trampoline_kernelINS0_14default_configENS1_35adjacent_difference_config_selectorILb1EsEEZNS1_24adjacent_difference_implIS3_Lb1ELb0EPKsPsN6thrust23THRUST_200600_302600_NS4plusIsEEEE10hipError_tPvRmT2_T3_mT4_P12ihipStream_tbEUlT_E_NS1_11comp_targetILNS1_3genE9ELNS1_11target_archE1100ELNS1_3gpuE3ELNS1_3repE0EEENS1_30default_config_static_selectorELNS0_4arch9wavefront6targetE1EEEvT1_
	.globl	_ZN7rocprim17ROCPRIM_400000_NS6detail17trampoline_kernelINS0_14default_configENS1_35adjacent_difference_config_selectorILb1EsEEZNS1_24adjacent_difference_implIS3_Lb1ELb0EPKsPsN6thrust23THRUST_200600_302600_NS4plusIsEEEE10hipError_tPvRmT2_T3_mT4_P12ihipStream_tbEUlT_E_NS1_11comp_targetILNS1_3genE9ELNS1_11target_archE1100ELNS1_3gpuE3ELNS1_3repE0EEENS1_30default_config_static_selectorELNS0_4arch9wavefront6targetE1EEEvT1_
	.p2align	8
	.type	_ZN7rocprim17ROCPRIM_400000_NS6detail17trampoline_kernelINS0_14default_configENS1_35adjacent_difference_config_selectorILb1EsEEZNS1_24adjacent_difference_implIS3_Lb1ELb0EPKsPsN6thrust23THRUST_200600_302600_NS4plusIsEEEE10hipError_tPvRmT2_T3_mT4_P12ihipStream_tbEUlT_E_NS1_11comp_targetILNS1_3genE9ELNS1_11target_archE1100ELNS1_3gpuE3ELNS1_3repE0EEENS1_30default_config_static_selectorELNS0_4arch9wavefront6targetE1EEEvT1_,@function
_ZN7rocprim17ROCPRIM_400000_NS6detail17trampoline_kernelINS0_14default_configENS1_35adjacent_difference_config_selectorILb1EsEEZNS1_24adjacent_difference_implIS3_Lb1ELb0EPKsPsN6thrust23THRUST_200600_302600_NS4plusIsEEEE10hipError_tPvRmT2_T3_mT4_P12ihipStream_tbEUlT_E_NS1_11comp_targetILNS1_3genE9ELNS1_11target_archE1100ELNS1_3gpuE3ELNS1_3repE0EEENS1_30default_config_static_selectorELNS0_4arch9wavefront6targetE1EEEvT1_: ; @_ZN7rocprim17ROCPRIM_400000_NS6detail17trampoline_kernelINS0_14default_configENS1_35adjacent_difference_config_selectorILb1EsEEZNS1_24adjacent_difference_implIS3_Lb1ELb0EPKsPsN6thrust23THRUST_200600_302600_NS4plusIsEEEE10hipError_tPvRmT2_T3_mT4_P12ihipStream_tbEUlT_E_NS1_11comp_targetILNS1_3genE9ELNS1_11target_archE1100ELNS1_3gpuE3ELNS1_3repE0EEENS1_30default_config_static_selectorELNS0_4arch9wavefront6targetE1EEEvT1_
; %bb.0:
	.section	.rodata,"a",@progbits
	.p2align	6, 0x0
	.amdhsa_kernel _ZN7rocprim17ROCPRIM_400000_NS6detail17trampoline_kernelINS0_14default_configENS1_35adjacent_difference_config_selectorILb1EsEEZNS1_24adjacent_difference_implIS3_Lb1ELb0EPKsPsN6thrust23THRUST_200600_302600_NS4plusIsEEEE10hipError_tPvRmT2_T3_mT4_P12ihipStream_tbEUlT_E_NS1_11comp_targetILNS1_3genE9ELNS1_11target_archE1100ELNS1_3gpuE3ELNS1_3repE0EEENS1_30default_config_static_selectorELNS0_4arch9wavefront6targetE1EEEvT1_
		.amdhsa_group_segment_fixed_size 0
		.amdhsa_private_segment_fixed_size 0
		.amdhsa_kernarg_size 56
		.amdhsa_user_sgpr_count 6
		.amdhsa_user_sgpr_private_segment_buffer 1
		.amdhsa_user_sgpr_dispatch_ptr 0
		.amdhsa_user_sgpr_queue_ptr 0
		.amdhsa_user_sgpr_kernarg_segment_ptr 1
		.amdhsa_user_sgpr_dispatch_id 0
		.amdhsa_user_sgpr_flat_scratch_init 0
		.amdhsa_user_sgpr_kernarg_preload_length 0
		.amdhsa_user_sgpr_kernarg_preload_offset 0
		.amdhsa_user_sgpr_private_segment_size 0
		.amdhsa_uses_dynamic_stack 0
		.amdhsa_system_sgpr_private_segment_wavefront_offset 0
		.amdhsa_system_sgpr_workgroup_id_x 1
		.amdhsa_system_sgpr_workgroup_id_y 0
		.amdhsa_system_sgpr_workgroup_id_z 0
		.amdhsa_system_sgpr_workgroup_info 0
		.amdhsa_system_vgpr_workitem_id 0
		.amdhsa_next_free_vgpr 1
		.amdhsa_next_free_sgpr 0
		.amdhsa_accum_offset 4
		.amdhsa_reserve_vcc 0
		.amdhsa_reserve_flat_scratch 0
		.amdhsa_float_round_mode_32 0
		.amdhsa_float_round_mode_16_64 0
		.amdhsa_float_denorm_mode_32 3
		.amdhsa_float_denorm_mode_16_64 3
		.amdhsa_dx10_clamp 1
		.amdhsa_ieee_mode 1
		.amdhsa_fp16_overflow 0
		.amdhsa_tg_split 0
		.amdhsa_exception_fp_ieee_invalid_op 0
		.amdhsa_exception_fp_denorm_src 0
		.amdhsa_exception_fp_ieee_div_zero 0
		.amdhsa_exception_fp_ieee_overflow 0
		.amdhsa_exception_fp_ieee_underflow 0
		.amdhsa_exception_fp_ieee_inexact 0
		.amdhsa_exception_int_div_zero 0
	.end_amdhsa_kernel
	.section	.text._ZN7rocprim17ROCPRIM_400000_NS6detail17trampoline_kernelINS0_14default_configENS1_35adjacent_difference_config_selectorILb1EsEEZNS1_24adjacent_difference_implIS3_Lb1ELb0EPKsPsN6thrust23THRUST_200600_302600_NS4plusIsEEEE10hipError_tPvRmT2_T3_mT4_P12ihipStream_tbEUlT_E_NS1_11comp_targetILNS1_3genE9ELNS1_11target_archE1100ELNS1_3gpuE3ELNS1_3repE0EEENS1_30default_config_static_selectorELNS0_4arch9wavefront6targetE1EEEvT1_,"axG",@progbits,_ZN7rocprim17ROCPRIM_400000_NS6detail17trampoline_kernelINS0_14default_configENS1_35adjacent_difference_config_selectorILb1EsEEZNS1_24adjacent_difference_implIS3_Lb1ELb0EPKsPsN6thrust23THRUST_200600_302600_NS4plusIsEEEE10hipError_tPvRmT2_T3_mT4_P12ihipStream_tbEUlT_E_NS1_11comp_targetILNS1_3genE9ELNS1_11target_archE1100ELNS1_3gpuE3ELNS1_3repE0EEENS1_30default_config_static_selectorELNS0_4arch9wavefront6targetE1EEEvT1_,comdat
.Lfunc_end539:
	.size	_ZN7rocprim17ROCPRIM_400000_NS6detail17trampoline_kernelINS0_14default_configENS1_35adjacent_difference_config_selectorILb1EsEEZNS1_24adjacent_difference_implIS3_Lb1ELb0EPKsPsN6thrust23THRUST_200600_302600_NS4plusIsEEEE10hipError_tPvRmT2_T3_mT4_P12ihipStream_tbEUlT_E_NS1_11comp_targetILNS1_3genE9ELNS1_11target_archE1100ELNS1_3gpuE3ELNS1_3repE0EEENS1_30default_config_static_selectorELNS0_4arch9wavefront6targetE1EEEvT1_, .Lfunc_end539-_ZN7rocprim17ROCPRIM_400000_NS6detail17trampoline_kernelINS0_14default_configENS1_35adjacent_difference_config_selectorILb1EsEEZNS1_24adjacent_difference_implIS3_Lb1ELb0EPKsPsN6thrust23THRUST_200600_302600_NS4plusIsEEEE10hipError_tPvRmT2_T3_mT4_P12ihipStream_tbEUlT_E_NS1_11comp_targetILNS1_3genE9ELNS1_11target_archE1100ELNS1_3gpuE3ELNS1_3repE0EEENS1_30default_config_static_selectorELNS0_4arch9wavefront6targetE1EEEvT1_
                                        ; -- End function
	.section	.AMDGPU.csdata,"",@progbits
; Kernel info:
; codeLenInByte = 0
; NumSgprs: 4
; NumVgprs: 0
; NumAgprs: 0
; TotalNumVgprs: 0
; ScratchSize: 0
; MemoryBound: 0
; FloatMode: 240
; IeeeMode: 1
; LDSByteSize: 0 bytes/workgroup (compile time only)
; SGPRBlocks: 0
; VGPRBlocks: 0
; NumSGPRsForWavesPerEU: 4
; NumVGPRsForWavesPerEU: 1
; AccumOffset: 4
; Occupancy: 8
; WaveLimiterHint : 0
; COMPUTE_PGM_RSRC2:SCRATCH_EN: 0
; COMPUTE_PGM_RSRC2:USER_SGPR: 6
; COMPUTE_PGM_RSRC2:TRAP_HANDLER: 0
; COMPUTE_PGM_RSRC2:TGID_X_EN: 1
; COMPUTE_PGM_RSRC2:TGID_Y_EN: 0
; COMPUTE_PGM_RSRC2:TGID_Z_EN: 0
; COMPUTE_PGM_RSRC2:TIDIG_COMP_CNT: 0
; COMPUTE_PGM_RSRC3_GFX90A:ACCUM_OFFSET: 0
; COMPUTE_PGM_RSRC3_GFX90A:TG_SPLIT: 0
	.section	.text._ZN7rocprim17ROCPRIM_400000_NS6detail17trampoline_kernelINS0_14default_configENS1_35adjacent_difference_config_selectorILb1EsEEZNS1_24adjacent_difference_implIS3_Lb1ELb0EPKsPsN6thrust23THRUST_200600_302600_NS4plusIsEEEE10hipError_tPvRmT2_T3_mT4_P12ihipStream_tbEUlT_E_NS1_11comp_targetILNS1_3genE8ELNS1_11target_archE1030ELNS1_3gpuE2ELNS1_3repE0EEENS1_30default_config_static_selectorELNS0_4arch9wavefront6targetE1EEEvT1_,"axG",@progbits,_ZN7rocprim17ROCPRIM_400000_NS6detail17trampoline_kernelINS0_14default_configENS1_35adjacent_difference_config_selectorILb1EsEEZNS1_24adjacent_difference_implIS3_Lb1ELb0EPKsPsN6thrust23THRUST_200600_302600_NS4plusIsEEEE10hipError_tPvRmT2_T3_mT4_P12ihipStream_tbEUlT_E_NS1_11comp_targetILNS1_3genE8ELNS1_11target_archE1030ELNS1_3gpuE2ELNS1_3repE0EEENS1_30default_config_static_selectorELNS0_4arch9wavefront6targetE1EEEvT1_,comdat
	.protected	_ZN7rocprim17ROCPRIM_400000_NS6detail17trampoline_kernelINS0_14default_configENS1_35adjacent_difference_config_selectorILb1EsEEZNS1_24adjacent_difference_implIS3_Lb1ELb0EPKsPsN6thrust23THRUST_200600_302600_NS4plusIsEEEE10hipError_tPvRmT2_T3_mT4_P12ihipStream_tbEUlT_E_NS1_11comp_targetILNS1_3genE8ELNS1_11target_archE1030ELNS1_3gpuE2ELNS1_3repE0EEENS1_30default_config_static_selectorELNS0_4arch9wavefront6targetE1EEEvT1_ ; -- Begin function _ZN7rocprim17ROCPRIM_400000_NS6detail17trampoline_kernelINS0_14default_configENS1_35adjacent_difference_config_selectorILb1EsEEZNS1_24adjacent_difference_implIS3_Lb1ELb0EPKsPsN6thrust23THRUST_200600_302600_NS4plusIsEEEE10hipError_tPvRmT2_T3_mT4_P12ihipStream_tbEUlT_E_NS1_11comp_targetILNS1_3genE8ELNS1_11target_archE1030ELNS1_3gpuE2ELNS1_3repE0EEENS1_30default_config_static_selectorELNS0_4arch9wavefront6targetE1EEEvT1_
	.globl	_ZN7rocprim17ROCPRIM_400000_NS6detail17trampoline_kernelINS0_14default_configENS1_35adjacent_difference_config_selectorILb1EsEEZNS1_24adjacent_difference_implIS3_Lb1ELb0EPKsPsN6thrust23THRUST_200600_302600_NS4plusIsEEEE10hipError_tPvRmT2_T3_mT4_P12ihipStream_tbEUlT_E_NS1_11comp_targetILNS1_3genE8ELNS1_11target_archE1030ELNS1_3gpuE2ELNS1_3repE0EEENS1_30default_config_static_selectorELNS0_4arch9wavefront6targetE1EEEvT1_
	.p2align	8
	.type	_ZN7rocprim17ROCPRIM_400000_NS6detail17trampoline_kernelINS0_14default_configENS1_35adjacent_difference_config_selectorILb1EsEEZNS1_24adjacent_difference_implIS3_Lb1ELb0EPKsPsN6thrust23THRUST_200600_302600_NS4plusIsEEEE10hipError_tPvRmT2_T3_mT4_P12ihipStream_tbEUlT_E_NS1_11comp_targetILNS1_3genE8ELNS1_11target_archE1030ELNS1_3gpuE2ELNS1_3repE0EEENS1_30default_config_static_selectorELNS0_4arch9wavefront6targetE1EEEvT1_,@function
_ZN7rocprim17ROCPRIM_400000_NS6detail17trampoline_kernelINS0_14default_configENS1_35adjacent_difference_config_selectorILb1EsEEZNS1_24adjacent_difference_implIS3_Lb1ELb0EPKsPsN6thrust23THRUST_200600_302600_NS4plusIsEEEE10hipError_tPvRmT2_T3_mT4_P12ihipStream_tbEUlT_E_NS1_11comp_targetILNS1_3genE8ELNS1_11target_archE1030ELNS1_3gpuE2ELNS1_3repE0EEENS1_30default_config_static_selectorELNS0_4arch9wavefront6targetE1EEEvT1_: ; @_ZN7rocprim17ROCPRIM_400000_NS6detail17trampoline_kernelINS0_14default_configENS1_35adjacent_difference_config_selectorILb1EsEEZNS1_24adjacent_difference_implIS3_Lb1ELb0EPKsPsN6thrust23THRUST_200600_302600_NS4plusIsEEEE10hipError_tPvRmT2_T3_mT4_P12ihipStream_tbEUlT_E_NS1_11comp_targetILNS1_3genE8ELNS1_11target_archE1030ELNS1_3gpuE2ELNS1_3repE0EEENS1_30default_config_static_selectorELNS0_4arch9wavefront6targetE1EEEvT1_
; %bb.0:
	.section	.rodata,"a",@progbits
	.p2align	6, 0x0
	.amdhsa_kernel _ZN7rocprim17ROCPRIM_400000_NS6detail17trampoline_kernelINS0_14default_configENS1_35adjacent_difference_config_selectorILb1EsEEZNS1_24adjacent_difference_implIS3_Lb1ELb0EPKsPsN6thrust23THRUST_200600_302600_NS4plusIsEEEE10hipError_tPvRmT2_T3_mT4_P12ihipStream_tbEUlT_E_NS1_11comp_targetILNS1_3genE8ELNS1_11target_archE1030ELNS1_3gpuE2ELNS1_3repE0EEENS1_30default_config_static_selectorELNS0_4arch9wavefront6targetE1EEEvT1_
		.amdhsa_group_segment_fixed_size 0
		.amdhsa_private_segment_fixed_size 0
		.amdhsa_kernarg_size 56
		.amdhsa_user_sgpr_count 6
		.amdhsa_user_sgpr_private_segment_buffer 1
		.amdhsa_user_sgpr_dispatch_ptr 0
		.amdhsa_user_sgpr_queue_ptr 0
		.amdhsa_user_sgpr_kernarg_segment_ptr 1
		.amdhsa_user_sgpr_dispatch_id 0
		.amdhsa_user_sgpr_flat_scratch_init 0
		.amdhsa_user_sgpr_kernarg_preload_length 0
		.amdhsa_user_sgpr_kernarg_preload_offset 0
		.amdhsa_user_sgpr_private_segment_size 0
		.amdhsa_uses_dynamic_stack 0
		.amdhsa_system_sgpr_private_segment_wavefront_offset 0
		.amdhsa_system_sgpr_workgroup_id_x 1
		.amdhsa_system_sgpr_workgroup_id_y 0
		.amdhsa_system_sgpr_workgroup_id_z 0
		.amdhsa_system_sgpr_workgroup_info 0
		.amdhsa_system_vgpr_workitem_id 0
		.amdhsa_next_free_vgpr 1
		.amdhsa_next_free_sgpr 0
		.amdhsa_accum_offset 4
		.amdhsa_reserve_vcc 0
		.amdhsa_reserve_flat_scratch 0
		.amdhsa_float_round_mode_32 0
		.amdhsa_float_round_mode_16_64 0
		.amdhsa_float_denorm_mode_32 3
		.amdhsa_float_denorm_mode_16_64 3
		.amdhsa_dx10_clamp 1
		.amdhsa_ieee_mode 1
		.amdhsa_fp16_overflow 0
		.amdhsa_tg_split 0
		.amdhsa_exception_fp_ieee_invalid_op 0
		.amdhsa_exception_fp_denorm_src 0
		.amdhsa_exception_fp_ieee_div_zero 0
		.amdhsa_exception_fp_ieee_overflow 0
		.amdhsa_exception_fp_ieee_underflow 0
		.amdhsa_exception_fp_ieee_inexact 0
		.amdhsa_exception_int_div_zero 0
	.end_amdhsa_kernel
	.section	.text._ZN7rocprim17ROCPRIM_400000_NS6detail17trampoline_kernelINS0_14default_configENS1_35adjacent_difference_config_selectorILb1EsEEZNS1_24adjacent_difference_implIS3_Lb1ELb0EPKsPsN6thrust23THRUST_200600_302600_NS4plusIsEEEE10hipError_tPvRmT2_T3_mT4_P12ihipStream_tbEUlT_E_NS1_11comp_targetILNS1_3genE8ELNS1_11target_archE1030ELNS1_3gpuE2ELNS1_3repE0EEENS1_30default_config_static_selectorELNS0_4arch9wavefront6targetE1EEEvT1_,"axG",@progbits,_ZN7rocprim17ROCPRIM_400000_NS6detail17trampoline_kernelINS0_14default_configENS1_35adjacent_difference_config_selectorILb1EsEEZNS1_24adjacent_difference_implIS3_Lb1ELb0EPKsPsN6thrust23THRUST_200600_302600_NS4plusIsEEEE10hipError_tPvRmT2_T3_mT4_P12ihipStream_tbEUlT_E_NS1_11comp_targetILNS1_3genE8ELNS1_11target_archE1030ELNS1_3gpuE2ELNS1_3repE0EEENS1_30default_config_static_selectorELNS0_4arch9wavefront6targetE1EEEvT1_,comdat
.Lfunc_end540:
	.size	_ZN7rocprim17ROCPRIM_400000_NS6detail17trampoline_kernelINS0_14default_configENS1_35adjacent_difference_config_selectorILb1EsEEZNS1_24adjacent_difference_implIS3_Lb1ELb0EPKsPsN6thrust23THRUST_200600_302600_NS4plusIsEEEE10hipError_tPvRmT2_T3_mT4_P12ihipStream_tbEUlT_E_NS1_11comp_targetILNS1_3genE8ELNS1_11target_archE1030ELNS1_3gpuE2ELNS1_3repE0EEENS1_30default_config_static_selectorELNS0_4arch9wavefront6targetE1EEEvT1_, .Lfunc_end540-_ZN7rocprim17ROCPRIM_400000_NS6detail17trampoline_kernelINS0_14default_configENS1_35adjacent_difference_config_selectorILb1EsEEZNS1_24adjacent_difference_implIS3_Lb1ELb0EPKsPsN6thrust23THRUST_200600_302600_NS4plusIsEEEE10hipError_tPvRmT2_T3_mT4_P12ihipStream_tbEUlT_E_NS1_11comp_targetILNS1_3genE8ELNS1_11target_archE1030ELNS1_3gpuE2ELNS1_3repE0EEENS1_30default_config_static_selectorELNS0_4arch9wavefront6targetE1EEEvT1_
                                        ; -- End function
	.section	.AMDGPU.csdata,"",@progbits
; Kernel info:
; codeLenInByte = 0
; NumSgprs: 4
; NumVgprs: 0
; NumAgprs: 0
; TotalNumVgprs: 0
; ScratchSize: 0
; MemoryBound: 0
; FloatMode: 240
; IeeeMode: 1
; LDSByteSize: 0 bytes/workgroup (compile time only)
; SGPRBlocks: 0
; VGPRBlocks: 0
; NumSGPRsForWavesPerEU: 4
; NumVGPRsForWavesPerEU: 1
; AccumOffset: 4
; Occupancy: 8
; WaveLimiterHint : 0
; COMPUTE_PGM_RSRC2:SCRATCH_EN: 0
; COMPUTE_PGM_RSRC2:USER_SGPR: 6
; COMPUTE_PGM_RSRC2:TRAP_HANDLER: 0
; COMPUTE_PGM_RSRC2:TGID_X_EN: 1
; COMPUTE_PGM_RSRC2:TGID_Y_EN: 0
; COMPUTE_PGM_RSRC2:TGID_Z_EN: 0
; COMPUTE_PGM_RSRC2:TIDIG_COMP_CNT: 0
; COMPUTE_PGM_RSRC3_GFX90A:ACCUM_OFFSET: 0
; COMPUTE_PGM_RSRC3_GFX90A:TG_SPLIT: 0
	.section	.text._ZN7rocprim17ROCPRIM_400000_NS6detail17trampoline_kernelINS0_14default_configENS1_35adjacent_difference_config_selectorILb0EtEEZNS1_24adjacent_difference_implIS3_Lb0ELb0EPKtPtN6thrust23THRUST_200600_302600_NS4plusItEEEE10hipError_tPvRmT2_T3_mT4_P12ihipStream_tbEUlT_E_NS1_11comp_targetILNS1_3genE0ELNS1_11target_archE4294967295ELNS1_3gpuE0ELNS1_3repE0EEENS1_30default_config_static_selectorELNS0_4arch9wavefront6targetE1EEEvT1_,"axG",@progbits,_ZN7rocprim17ROCPRIM_400000_NS6detail17trampoline_kernelINS0_14default_configENS1_35adjacent_difference_config_selectorILb0EtEEZNS1_24adjacent_difference_implIS3_Lb0ELb0EPKtPtN6thrust23THRUST_200600_302600_NS4plusItEEEE10hipError_tPvRmT2_T3_mT4_P12ihipStream_tbEUlT_E_NS1_11comp_targetILNS1_3genE0ELNS1_11target_archE4294967295ELNS1_3gpuE0ELNS1_3repE0EEENS1_30default_config_static_selectorELNS0_4arch9wavefront6targetE1EEEvT1_,comdat
	.protected	_ZN7rocprim17ROCPRIM_400000_NS6detail17trampoline_kernelINS0_14default_configENS1_35adjacent_difference_config_selectorILb0EtEEZNS1_24adjacent_difference_implIS3_Lb0ELb0EPKtPtN6thrust23THRUST_200600_302600_NS4plusItEEEE10hipError_tPvRmT2_T3_mT4_P12ihipStream_tbEUlT_E_NS1_11comp_targetILNS1_3genE0ELNS1_11target_archE4294967295ELNS1_3gpuE0ELNS1_3repE0EEENS1_30default_config_static_selectorELNS0_4arch9wavefront6targetE1EEEvT1_ ; -- Begin function _ZN7rocprim17ROCPRIM_400000_NS6detail17trampoline_kernelINS0_14default_configENS1_35adjacent_difference_config_selectorILb0EtEEZNS1_24adjacent_difference_implIS3_Lb0ELb0EPKtPtN6thrust23THRUST_200600_302600_NS4plusItEEEE10hipError_tPvRmT2_T3_mT4_P12ihipStream_tbEUlT_E_NS1_11comp_targetILNS1_3genE0ELNS1_11target_archE4294967295ELNS1_3gpuE0ELNS1_3repE0EEENS1_30default_config_static_selectorELNS0_4arch9wavefront6targetE1EEEvT1_
	.globl	_ZN7rocprim17ROCPRIM_400000_NS6detail17trampoline_kernelINS0_14default_configENS1_35adjacent_difference_config_selectorILb0EtEEZNS1_24adjacent_difference_implIS3_Lb0ELb0EPKtPtN6thrust23THRUST_200600_302600_NS4plusItEEEE10hipError_tPvRmT2_T3_mT4_P12ihipStream_tbEUlT_E_NS1_11comp_targetILNS1_3genE0ELNS1_11target_archE4294967295ELNS1_3gpuE0ELNS1_3repE0EEENS1_30default_config_static_selectorELNS0_4arch9wavefront6targetE1EEEvT1_
	.p2align	8
	.type	_ZN7rocprim17ROCPRIM_400000_NS6detail17trampoline_kernelINS0_14default_configENS1_35adjacent_difference_config_selectorILb0EtEEZNS1_24adjacent_difference_implIS3_Lb0ELb0EPKtPtN6thrust23THRUST_200600_302600_NS4plusItEEEE10hipError_tPvRmT2_T3_mT4_P12ihipStream_tbEUlT_E_NS1_11comp_targetILNS1_3genE0ELNS1_11target_archE4294967295ELNS1_3gpuE0ELNS1_3repE0EEENS1_30default_config_static_selectorELNS0_4arch9wavefront6targetE1EEEvT1_,@function
_ZN7rocprim17ROCPRIM_400000_NS6detail17trampoline_kernelINS0_14default_configENS1_35adjacent_difference_config_selectorILb0EtEEZNS1_24adjacent_difference_implIS3_Lb0ELb0EPKtPtN6thrust23THRUST_200600_302600_NS4plusItEEEE10hipError_tPvRmT2_T3_mT4_P12ihipStream_tbEUlT_E_NS1_11comp_targetILNS1_3genE0ELNS1_11target_archE4294967295ELNS1_3gpuE0ELNS1_3repE0EEENS1_30default_config_static_selectorELNS0_4arch9wavefront6targetE1EEEvT1_: ; @_ZN7rocprim17ROCPRIM_400000_NS6detail17trampoline_kernelINS0_14default_configENS1_35adjacent_difference_config_selectorILb0EtEEZNS1_24adjacent_difference_implIS3_Lb0ELb0EPKtPtN6thrust23THRUST_200600_302600_NS4plusItEEEE10hipError_tPvRmT2_T3_mT4_P12ihipStream_tbEUlT_E_NS1_11comp_targetILNS1_3genE0ELNS1_11target_archE4294967295ELNS1_3gpuE0ELNS1_3repE0EEENS1_30default_config_static_selectorELNS0_4arch9wavefront6targetE1EEEvT1_
; %bb.0:
	.section	.rodata,"a",@progbits
	.p2align	6, 0x0
	.amdhsa_kernel _ZN7rocprim17ROCPRIM_400000_NS6detail17trampoline_kernelINS0_14default_configENS1_35adjacent_difference_config_selectorILb0EtEEZNS1_24adjacent_difference_implIS3_Lb0ELb0EPKtPtN6thrust23THRUST_200600_302600_NS4plusItEEEE10hipError_tPvRmT2_T3_mT4_P12ihipStream_tbEUlT_E_NS1_11comp_targetILNS1_3genE0ELNS1_11target_archE4294967295ELNS1_3gpuE0ELNS1_3repE0EEENS1_30default_config_static_selectorELNS0_4arch9wavefront6targetE1EEEvT1_
		.amdhsa_group_segment_fixed_size 0
		.amdhsa_private_segment_fixed_size 0
		.amdhsa_kernarg_size 56
		.amdhsa_user_sgpr_count 6
		.amdhsa_user_sgpr_private_segment_buffer 1
		.amdhsa_user_sgpr_dispatch_ptr 0
		.amdhsa_user_sgpr_queue_ptr 0
		.amdhsa_user_sgpr_kernarg_segment_ptr 1
		.amdhsa_user_sgpr_dispatch_id 0
		.amdhsa_user_sgpr_flat_scratch_init 0
		.amdhsa_user_sgpr_kernarg_preload_length 0
		.amdhsa_user_sgpr_kernarg_preload_offset 0
		.amdhsa_user_sgpr_private_segment_size 0
		.amdhsa_uses_dynamic_stack 0
		.amdhsa_system_sgpr_private_segment_wavefront_offset 0
		.amdhsa_system_sgpr_workgroup_id_x 1
		.amdhsa_system_sgpr_workgroup_id_y 0
		.amdhsa_system_sgpr_workgroup_id_z 0
		.amdhsa_system_sgpr_workgroup_info 0
		.amdhsa_system_vgpr_workitem_id 0
		.amdhsa_next_free_vgpr 1
		.amdhsa_next_free_sgpr 0
		.amdhsa_accum_offset 4
		.amdhsa_reserve_vcc 0
		.amdhsa_reserve_flat_scratch 0
		.amdhsa_float_round_mode_32 0
		.amdhsa_float_round_mode_16_64 0
		.amdhsa_float_denorm_mode_32 3
		.amdhsa_float_denorm_mode_16_64 3
		.amdhsa_dx10_clamp 1
		.amdhsa_ieee_mode 1
		.amdhsa_fp16_overflow 0
		.amdhsa_tg_split 0
		.amdhsa_exception_fp_ieee_invalid_op 0
		.amdhsa_exception_fp_denorm_src 0
		.amdhsa_exception_fp_ieee_div_zero 0
		.amdhsa_exception_fp_ieee_overflow 0
		.amdhsa_exception_fp_ieee_underflow 0
		.amdhsa_exception_fp_ieee_inexact 0
		.amdhsa_exception_int_div_zero 0
	.end_amdhsa_kernel
	.section	.text._ZN7rocprim17ROCPRIM_400000_NS6detail17trampoline_kernelINS0_14default_configENS1_35adjacent_difference_config_selectorILb0EtEEZNS1_24adjacent_difference_implIS3_Lb0ELb0EPKtPtN6thrust23THRUST_200600_302600_NS4plusItEEEE10hipError_tPvRmT2_T3_mT4_P12ihipStream_tbEUlT_E_NS1_11comp_targetILNS1_3genE0ELNS1_11target_archE4294967295ELNS1_3gpuE0ELNS1_3repE0EEENS1_30default_config_static_selectorELNS0_4arch9wavefront6targetE1EEEvT1_,"axG",@progbits,_ZN7rocprim17ROCPRIM_400000_NS6detail17trampoline_kernelINS0_14default_configENS1_35adjacent_difference_config_selectorILb0EtEEZNS1_24adjacent_difference_implIS3_Lb0ELb0EPKtPtN6thrust23THRUST_200600_302600_NS4plusItEEEE10hipError_tPvRmT2_T3_mT4_P12ihipStream_tbEUlT_E_NS1_11comp_targetILNS1_3genE0ELNS1_11target_archE4294967295ELNS1_3gpuE0ELNS1_3repE0EEENS1_30default_config_static_selectorELNS0_4arch9wavefront6targetE1EEEvT1_,comdat
.Lfunc_end541:
	.size	_ZN7rocprim17ROCPRIM_400000_NS6detail17trampoline_kernelINS0_14default_configENS1_35adjacent_difference_config_selectorILb0EtEEZNS1_24adjacent_difference_implIS3_Lb0ELb0EPKtPtN6thrust23THRUST_200600_302600_NS4plusItEEEE10hipError_tPvRmT2_T3_mT4_P12ihipStream_tbEUlT_E_NS1_11comp_targetILNS1_3genE0ELNS1_11target_archE4294967295ELNS1_3gpuE0ELNS1_3repE0EEENS1_30default_config_static_selectorELNS0_4arch9wavefront6targetE1EEEvT1_, .Lfunc_end541-_ZN7rocprim17ROCPRIM_400000_NS6detail17trampoline_kernelINS0_14default_configENS1_35adjacent_difference_config_selectorILb0EtEEZNS1_24adjacent_difference_implIS3_Lb0ELb0EPKtPtN6thrust23THRUST_200600_302600_NS4plusItEEEE10hipError_tPvRmT2_T3_mT4_P12ihipStream_tbEUlT_E_NS1_11comp_targetILNS1_3genE0ELNS1_11target_archE4294967295ELNS1_3gpuE0ELNS1_3repE0EEENS1_30default_config_static_selectorELNS0_4arch9wavefront6targetE1EEEvT1_
                                        ; -- End function
	.section	.AMDGPU.csdata,"",@progbits
; Kernel info:
; codeLenInByte = 0
; NumSgprs: 4
; NumVgprs: 0
; NumAgprs: 0
; TotalNumVgprs: 0
; ScratchSize: 0
; MemoryBound: 0
; FloatMode: 240
; IeeeMode: 1
; LDSByteSize: 0 bytes/workgroup (compile time only)
; SGPRBlocks: 0
; VGPRBlocks: 0
; NumSGPRsForWavesPerEU: 4
; NumVGPRsForWavesPerEU: 1
; AccumOffset: 4
; Occupancy: 8
; WaveLimiterHint : 0
; COMPUTE_PGM_RSRC2:SCRATCH_EN: 0
; COMPUTE_PGM_RSRC2:USER_SGPR: 6
; COMPUTE_PGM_RSRC2:TRAP_HANDLER: 0
; COMPUTE_PGM_RSRC2:TGID_X_EN: 1
; COMPUTE_PGM_RSRC2:TGID_Y_EN: 0
; COMPUTE_PGM_RSRC2:TGID_Z_EN: 0
; COMPUTE_PGM_RSRC2:TIDIG_COMP_CNT: 0
; COMPUTE_PGM_RSRC3_GFX90A:ACCUM_OFFSET: 0
; COMPUTE_PGM_RSRC3_GFX90A:TG_SPLIT: 0
	.section	.text._ZN7rocprim17ROCPRIM_400000_NS6detail17trampoline_kernelINS0_14default_configENS1_35adjacent_difference_config_selectorILb0EtEEZNS1_24adjacent_difference_implIS3_Lb0ELb0EPKtPtN6thrust23THRUST_200600_302600_NS4plusItEEEE10hipError_tPvRmT2_T3_mT4_P12ihipStream_tbEUlT_E_NS1_11comp_targetILNS1_3genE10ELNS1_11target_archE1201ELNS1_3gpuE5ELNS1_3repE0EEENS1_30default_config_static_selectorELNS0_4arch9wavefront6targetE1EEEvT1_,"axG",@progbits,_ZN7rocprim17ROCPRIM_400000_NS6detail17trampoline_kernelINS0_14default_configENS1_35adjacent_difference_config_selectorILb0EtEEZNS1_24adjacent_difference_implIS3_Lb0ELb0EPKtPtN6thrust23THRUST_200600_302600_NS4plusItEEEE10hipError_tPvRmT2_T3_mT4_P12ihipStream_tbEUlT_E_NS1_11comp_targetILNS1_3genE10ELNS1_11target_archE1201ELNS1_3gpuE5ELNS1_3repE0EEENS1_30default_config_static_selectorELNS0_4arch9wavefront6targetE1EEEvT1_,comdat
	.protected	_ZN7rocprim17ROCPRIM_400000_NS6detail17trampoline_kernelINS0_14default_configENS1_35adjacent_difference_config_selectorILb0EtEEZNS1_24adjacent_difference_implIS3_Lb0ELb0EPKtPtN6thrust23THRUST_200600_302600_NS4plusItEEEE10hipError_tPvRmT2_T3_mT4_P12ihipStream_tbEUlT_E_NS1_11comp_targetILNS1_3genE10ELNS1_11target_archE1201ELNS1_3gpuE5ELNS1_3repE0EEENS1_30default_config_static_selectorELNS0_4arch9wavefront6targetE1EEEvT1_ ; -- Begin function _ZN7rocprim17ROCPRIM_400000_NS6detail17trampoline_kernelINS0_14default_configENS1_35adjacent_difference_config_selectorILb0EtEEZNS1_24adjacent_difference_implIS3_Lb0ELb0EPKtPtN6thrust23THRUST_200600_302600_NS4plusItEEEE10hipError_tPvRmT2_T3_mT4_P12ihipStream_tbEUlT_E_NS1_11comp_targetILNS1_3genE10ELNS1_11target_archE1201ELNS1_3gpuE5ELNS1_3repE0EEENS1_30default_config_static_selectorELNS0_4arch9wavefront6targetE1EEEvT1_
	.globl	_ZN7rocprim17ROCPRIM_400000_NS6detail17trampoline_kernelINS0_14default_configENS1_35adjacent_difference_config_selectorILb0EtEEZNS1_24adjacent_difference_implIS3_Lb0ELb0EPKtPtN6thrust23THRUST_200600_302600_NS4plusItEEEE10hipError_tPvRmT2_T3_mT4_P12ihipStream_tbEUlT_E_NS1_11comp_targetILNS1_3genE10ELNS1_11target_archE1201ELNS1_3gpuE5ELNS1_3repE0EEENS1_30default_config_static_selectorELNS0_4arch9wavefront6targetE1EEEvT1_
	.p2align	8
	.type	_ZN7rocprim17ROCPRIM_400000_NS6detail17trampoline_kernelINS0_14default_configENS1_35adjacent_difference_config_selectorILb0EtEEZNS1_24adjacent_difference_implIS3_Lb0ELb0EPKtPtN6thrust23THRUST_200600_302600_NS4plusItEEEE10hipError_tPvRmT2_T3_mT4_P12ihipStream_tbEUlT_E_NS1_11comp_targetILNS1_3genE10ELNS1_11target_archE1201ELNS1_3gpuE5ELNS1_3repE0EEENS1_30default_config_static_selectorELNS0_4arch9wavefront6targetE1EEEvT1_,@function
_ZN7rocprim17ROCPRIM_400000_NS6detail17trampoline_kernelINS0_14default_configENS1_35adjacent_difference_config_selectorILb0EtEEZNS1_24adjacent_difference_implIS3_Lb0ELb0EPKtPtN6thrust23THRUST_200600_302600_NS4plusItEEEE10hipError_tPvRmT2_T3_mT4_P12ihipStream_tbEUlT_E_NS1_11comp_targetILNS1_3genE10ELNS1_11target_archE1201ELNS1_3gpuE5ELNS1_3repE0EEENS1_30default_config_static_selectorELNS0_4arch9wavefront6targetE1EEEvT1_: ; @_ZN7rocprim17ROCPRIM_400000_NS6detail17trampoline_kernelINS0_14default_configENS1_35adjacent_difference_config_selectorILb0EtEEZNS1_24adjacent_difference_implIS3_Lb0ELb0EPKtPtN6thrust23THRUST_200600_302600_NS4plusItEEEE10hipError_tPvRmT2_T3_mT4_P12ihipStream_tbEUlT_E_NS1_11comp_targetILNS1_3genE10ELNS1_11target_archE1201ELNS1_3gpuE5ELNS1_3repE0EEENS1_30default_config_static_selectorELNS0_4arch9wavefront6targetE1EEEvT1_
; %bb.0:
	.section	.rodata,"a",@progbits
	.p2align	6, 0x0
	.amdhsa_kernel _ZN7rocprim17ROCPRIM_400000_NS6detail17trampoline_kernelINS0_14default_configENS1_35adjacent_difference_config_selectorILb0EtEEZNS1_24adjacent_difference_implIS3_Lb0ELb0EPKtPtN6thrust23THRUST_200600_302600_NS4plusItEEEE10hipError_tPvRmT2_T3_mT4_P12ihipStream_tbEUlT_E_NS1_11comp_targetILNS1_3genE10ELNS1_11target_archE1201ELNS1_3gpuE5ELNS1_3repE0EEENS1_30default_config_static_selectorELNS0_4arch9wavefront6targetE1EEEvT1_
		.amdhsa_group_segment_fixed_size 0
		.amdhsa_private_segment_fixed_size 0
		.amdhsa_kernarg_size 56
		.amdhsa_user_sgpr_count 6
		.amdhsa_user_sgpr_private_segment_buffer 1
		.amdhsa_user_sgpr_dispatch_ptr 0
		.amdhsa_user_sgpr_queue_ptr 0
		.amdhsa_user_sgpr_kernarg_segment_ptr 1
		.amdhsa_user_sgpr_dispatch_id 0
		.amdhsa_user_sgpr_flat_scratch_init 0
		.amdhsa_user_sgpr_kernarg_preload_length 0
		.amdhsa_user_sgpr_kernarg_preload_offset 0
		.amdhsa_user_sgpr_private_segment_size 0
		.amdhsa_uses_dynamic_stack 0
		.amdhsa_system_sgpr_private_segment_wavefront_offset 0
		.amdhsa_system_sgpr_workgroup_id_x 1
		.amdhsa_system_sgpr_workgroup_id_y 0
		.amdhsa_system_sgpr_workgroup_id_z 0
		.amdhsa_system_sgpr_workgroup_info 0
		.amdhsa_system_vgpr_workitem_id 0
		.amdhsa_next_free_vgpr 1
		.amdhsa_next_free_sgpr 0
		.amdhsa_accum_offset 4
		.amdhsa_reserve_vcc 0
		.amdhsa_reserve_flat_scratch 0
		.amdhsa_float_round_mode_32 0
		.amdhsa_float_round_mode_16_64 0
		.amdhsa_float_denorm_mode_32 3
		.amdhsa_float_denorm_mode_16_64 3
		.amdhsa_dx10_clamp 1
		.amdhsa_ieee_mode 1
		.amdhsa_fp16_overflow 0
		.amdhsa_tg_split 0
		.amdhsa_exception_fp_ieee_invalid_op 0
		.amdhsa_exception_fp_denorm_src 0
		.amdhsa_exception_fp_ieee_div_zero 0
		.amdhsa_exception_fp_ieee_overflow 0
		.amdhsa_exception_fp_ieee_underflow 0
		.amdhsa_exception_fp_ieee_inexact 0
		.amdhsa_exception_int_div_zero 0
	.end_amdhsa_kernel
	.section	.text._ZN7rocprim17ROCPRIM_400000_NS6detail17trampoline_kernelINS0_14default_configENS1_35adjacent_difference_config_selectorILb0EtEEZNS1_24adjacent_difference_implIS3_Lb0ELb0EPKtPtN6thrust23THRUST_200600_302600_NS4plusItEEEE10hipError_tPvRmT2_T3_mT4_P12ihipStream_tbEUlT_E_NS1_11comp_targetILNS1_3genE10ELNS1_11target_archE1201ELNS1_3gpuE5ELNS1_3repE0EEENS1_30default_config_static_selectorELNS0_4arch9wavefront6targetE1EEEvT1_,"axG",@progbits,_ZN7rocprim17ROCPRIM_400000_NS6detail17trampoline_kernelINS0_14default_configENS1_35adjacent_difference_config_selectorILb0EtEEZNS1_24adjacent_difference_implIS3_Lb0ELb0EPKtPtN6thrust23THRUST_200600_302600_NS4plusItEEEE10hipError_tPvRmT2_T3_mT4_P12ihipStream_tbEUlT_E_NS1_11comp_targetILNS1_3genE10ELNS1_11target_archE1201ELNS1_3gpuE5ELNS1_3repE0EEENS1_30default_config_static_selectorELNS0_4arch9wavefront6targetE1EEEvT1_,comdat
.Lfunc_end542:
	.size	_ZN7rocprim17ROCPRIM_400000_NS6detail17trampoline_kernelINS0_14default_configENS1_35adjacent_difference_config_selectorILb0EtEEZNS1_24adjacent_difference_implIS3_Lb0ELb0EPKtPtN6thrust23THRUST_200600_302600_NS4plusItEEEE10hipError_tPvRmT2_T3_mT4_P12ihipStream_tbEUlT_E_NS1_11comp_targetILNS1_3genE10ELNS1_11target_archE1201ELNS1_3gpuE5ELNS1_3repE0EEENS1_30default_config_static_selectorELNS0_4arch9wavefront6targetE1EEEvT1_, .Lfunc_end542-_ZN7rocprim17ROCPRIM_400000_NS6detail17trampoline_kernelINS0_14default_configENS1_35adjacent_difference_config_selectorILb0EtEEZNS1_24adjacent_difference_implIS3_Lb0ELb0EPKtPtN6thrust23THRUST_200600_302600_NS4plusItEEEE10hipError_tPvRmT2_T3_mT4_P12ihipStream_tbEUlT_E_NS1_11comp_targetILNS1_3genE10ELNS1_11target_archE1201ELNS1_3gpuE5ELNS1_3repE0EEENS1_30default_config_static_selectorELNS0_4arch9wavefront6targetE1EEEvT1_
                                        ; -- End function
	.section	.AMDGPU.csdata,"",@progbits
; Kernel info:
; codeLenInByte = 0
; NumSgprs: 4
; NumVgprs: 0
; NumAgprs: 0
; TotalNumVgprs: 0
; ScratchSize: 0
; MemoryBound: 0
; FloatMode: 240
; IeeeMode: 1
; LDSByteSize: 0 bytes/workgroup (compile time only)
; SGPRBlocks: 0
; VGPRBlocks: 0
; NumSGPRsForWavesPerEU: 4
; NumVGPRsForWavesPerEU: 1
; AccumOffset: 4
; Occupancy: 8
; WaveLimiterHint : 0
; COMPUTE_PGM_RSRC2:SCRATCH_EN: 0
; COMPUTE_PGM_RSRC2:USER_SGPR: 6
; COMPUTE_PGM_RSRC2:TRAP_HANDLER: 0
; COMPUTE_PGM_RSRC2:TGID_X_EN: 1
; COMPUTE_PGM_RSRC2:TGID_Y_EN: 0
; COMPUTE_PGM_RSRC2:TGID_Z_EN: 0
; COMPUTE_PGM_RSRC2:TIDIG_COMP_CNT: 0
; COMPUTE_PGM_RSRC3_GFX90A:ACCUM_OFFSET: 0
; COMPUTE_PGM_RSRC3_GFX90A:TG_SPLIT: 0
	.section	.text._ZN7rocprim17ROCPRIM_400000_NS6detail17trampoline_kernelINS0_14default_configENS1_35adjacent_difference_config_selectorILb0EtEEZNS1_24adjacent_difference_implIS3_Lb0ELb0EPKtPtN6thrust23THRUST_200600_302600_NS4plusItEEEE10hipError_tPvRmT2_T3_mT4_P12ihipStream_tbEUlT_E_NS1_11comp_targetILNS1_3genE5ELNS1_11target_archE942ELNS1_3gpuE9ELNS1_3repE0EEENS1_30default_config_static_selectorELNS0_4arch9wavefront6targetE1EEEvT1_,"axG",@progbits,_ZN7rocprim17ROCPRIM_400000_NS6detail17trampoline_kernelINS0_14default_configENS1_35adjacent_difference_config_selectorILb0EtEEZNS1_24adjacent_difference_implIS3_Lb0ELb0EPKtPtN6thrust23THRUST_200600_302600_NS4plusItEEEE10hipError_tPvRmT2_T3_mT4_P12ihipStream_tbEUlT_E_NS1_11comp_targetILNS1_3genE5ELNS1_11target_archE942ELNS1_3gpuE9ELNS1_3repE0EEENS1_30default_config_static_selectorELNS0_4arch9wavefront6targetE1EEEvT1_,comdat
	.protected	_ZN7rocprim17ROCPRIM_400000_NS6detail17trampoline_kernelINS0_14default_configENS1_35adjacent_difference_config_selectorILb0EtEEZNS1_24adjacent_difference_implIS3_Lb0ELb0EPKtPtN6thrust23THRUST_200600_302600_NS4plusItEEEE10hipError_tPvRmT2_T3_mT4_P12ihipStream_tbEUlT_E_NS1_11comp_targetILNS1_3genE5ELNS1_11target_archE942ELNS1_3gpuE9ELNS1_3repE0EEENS1_30default_config_static_selectorELNS0_4arch9wavefront6targetE1EEEvT1_ ; -- Begin function _ZN7rocprim17ROCPRIM_400000_NS6detail17trampoline_kernelINS0_14default_configENS1_35adjacent_difference_config_selectorILb0EtEEZNS1_24adjacent_difference_implIS3_Lb0ELb0EPKtPtN6thrust23THRUST_200600_302600_NS4plusItEEEE10hipError_tPvRmT2_T3_mT4_P12ihipStream_tbEUlT_E_NS1_11comp_targetILNS1_3genE5ELNS1_11target_archE942ELNS1_3gpuE9ELNS1_3repE0EEENS1_30default_config_static_selectorELNS0_4arch9wavefront6targetE1EEEvT1_
	.globl	_ZN7rocprim17ROCPRIM_400000_NS6detail17trampoline_kernelINS0_14default_configENS1_35adjacent_difference_config_selectorILb0EtEEZNS1_24adjacent_difference_implIS3_Lb0ELb0EPKtPtN6thrust23THRUST_200600_302600_NS4plusItEEEE10hipError_tPvRmT2_T3_mT4_P12ihipStream_tbEUlT_E_NS1_11comp_targetILNS1_3genE5ELNS1_11target_archE942ELNS1_3gpuE9ELNS1_3repE0EEENS1_30default_config_static_selectorELNS0_4arch9wavefront6targetE1EEEvT1_
	.p2align	8
	.type	_ZN7rocprim17ROCPRIM_400000_NS6detail17trampoline_kernelINS0_14default_configENS1_35adjacent_difference_config_selectorILb0EtEEZNS1_24adjacent_difference_implIS3_Lb0ELb0EPKtPtN6thrust23THRUST_200600_302600_NS4plusItEEEE10hipError_tPvRmT2_T3_mT4_P12ihipStream_tbEUlT_E_NS1_11comp_targetILNS1_3genE5ELNS1_11target_archE942ELNS1_3gpuE9ELNS1_3repE0EEENS1_30default_config_static_selectorELNS0_4arch9wavefront6targetE1EEEvT1_,@function
_ZN7rocprim17ROCPRIM_400000_NS6detail17trampoline_kernelINS0_14default_configENS1_35adjacent_difference_config_selectorILb0EtEEZNS1_24adjacent_difference_implIS3_Lb0ELb0EPKtPtN6thrust23THRUST_200600_302600_NS4plusItEEEE10hipError_tPvRmT2_T3_mT4_P12ihipStream_tbEUlT_E_NS1_11comp_targetILNS1_3genE5ELNS1_11target_archE942ELNS1_3gpuE9ELNS1_3repE0EEENS1_30default_config_static_selectorELNS0_4arch9wavefront6targetE1EEEvT1_: ; @_ZN7rocprim17ROCPRIM_400000_NS6detail17trampoline_kernelINS0_14default_configENS1_35adjacent_difference_config_selectorILb0EtEEZNS1_24adjacent_difference_implIS3_Lb0ELb0EPKtPtN6thrust23THRUST_200600_302600_NS4plusItEEEE10hipError_tPvRmT2_T3_mT4_P12ihipStream_tbEUlT_E_NS1_11comp_targetILNS1_3genE5ELNS1_11target_archE942ELNS1_3gpuE9ELNS1_3repE0EEENS1_30default_config_static_selectorELNS0_4arch9wavefront6targetE1EEEvT1_
; %bb.0:
	.section	.rodata,"a",@progbits
	.p2align	6, 0x0
	.amdhsa_kernel _ZN7rocprim17ROCPRIM_400000_NS6detail17trampoline_kernelINS0_14default_configENS1_35adjacent_difference_config_selectorILb0EtEEZNS1_24adjacent_difference_implIS3_Lb0ELb0EPKtPtN6thrust23THRUST_200600_302600_NS4plusItEEEE10hipError_tPvRmT2_T3_mT4_P12ihipStream_tbEUlT_E_NS1_11comp_targetILNS1_3genE5ELNS1_11target_archE942ELNS1_3gpuE9ELNS1_3repE0EEENS1_30default_config_static_selectorELNS0_4arch9wavefront6targetE1EEEvT1_
		.amdhsa_group_segment_fixed_size 0
		.amdhsa_private_segment_fixed_size 0
		.amdhsa_kernarg_size 56
		.amdhsa_user_sgpr_count 6
		.amdhsa_user_sgpr_private_segment_buffer 1
		.amdhsa_user_sgpr_dispatch_ptr 0
		.amdhsa_user_sgpr_queue_ptr 0
		.amdhsa_user_sgpr_kernarg_segment_ptr 1
		.amdhsa_user_sgpr_dispatch_id 0
		.amdhsa_user_sgpr_flat_scratch_init 0
		.amdhsa_user_sgpr_kernarg_preload_length 0
		.amdhsa_user_sgpr_kernarg_preload_offset 0
		.amdhsa_user_sgpr_private_segment_size 0
		.amdhsa_uses_dynamic_stack 0
		.amdhsa_system_sgpr_private_segment_wavefront_offset 0
		.amdhsa_system_sgpr_workgroup_id_x 1
		.amdhsa_system_sgpr_workgroup_id_y 0
		.amdhsa_system_sgpr_workgroup_id_z 0
		.amdhsa_system_sgpr_workgroup_info 0
		.amdhsa_system_vgpr_workitem_id 0
		.amdhsa_next_free_vgpr 1
		.amdhsa_next_free_sgpr 0
		.amdhsa_accum_offset 4
		.amdhsa_reserve_vcc 0
		.amdhsa_reserve_flat_scratch 0
		.amdhsa_float_round_mode_32 0
		.amdhsa_float_round_mode_16_64 0
		.amdhsa_float_denorm_mode_32 3
		.amdhsa_float_denorm_mode_16_64 3
		.amdhsa_dx10_clamp 1
		.amdhsa_ieee_mode 1
		.amdhsa_fp16_overflow 0
		.amdhsa_tg_split 0
		.amdhsa_exception_fp_ieee_invalid_op 0
		.amdhsa_exception_fp_denorm_src 0
		.amdhsa_exception_fp_ieee_div_zero 0
		.amdhsa_exception_fp_ieee_overflow 0
		.amdhsa_exception_fp_ieee_underflow 0
		.amdhsa_exception_fp_ieee_inexact 0
		.amdhsa_exception_int_div_zero 0
	.end_amdhsa_kernel
	.section	.text._ZN7rocprim17ROCPRIM_400000_NS6detail17trampoline_kernelINS0_14default_configENS1_35adjacent_difference_config_selectorILb0EtEEZNS1_24adjacent_difference_implIS3_Lb0ELb0EPKtPtN6thrust23THRUST_200600_302600_NS4plusItEEEE10hipError_tPvRmT2_T3_mT4_P12ihipStream_tbEUlT_E_NS1_11comp_targetILNS1_3genE5ELNS1_11target_archE942ELNS1_3gpuE9ELNS1_3repE0EEENS1_30default_config_static_selectorELNS0_4arch9wavefront6targetE1EEEvT1_,"axG",@progbits,_ZN7rocprim17ROCPRIM_400000_NS6detail17trampoline_kernelINS0_14default_configENS1_35adjacent_difference_config_selectorILb0EtEEZNS1_24adjacent_difference_implIS3_Lb0ELb0EPKtPtN6thrust23THRUST_200600_302600_NS4plusItEEEE10hipError_tPvRmT2_T3_mT4_P12ihipStream_tbEUlT_E_NS1_11comp_targetILNS1_3genE5ELNS1_11target_archE942ELNS1_3gpuE9ELNS1_3repE0EEENS1_30default_config_static_selectorELNS0_4arch9wavefront6targetE1EEEvT1_,comdat
.Lfunc_end543:
	.size	_ZN7rocprim17ROCPRIM_400000_NS6detail17trampoline_kernelINS0_14default_configENS1_35adjacent_difference_config_selectorILb0EtEEZNS1_24adjacent_difference_implIS3_Lb0ELb0EPKtPtN6thrust23THRUST_200600_302600_NS4plusItEEEE10hipError_tPvRmT2_T3_mT4_P12ihipStream_tbEUlT_E_NS1_11comp_targetILNS1_3genE5ELNS1_11target_archE942ELNS1_3gpuE9ELNS1_3repE0EEENS1_30default_config_static_selectorELNS0_4arch9wavefront6targetE1EEEvT1_, .Lfunc_end543-_ZN7rocprim17ROCPRIM_400000_NS6detail17trampoline_kernelINS0_14default_configENS1_35adjacent_difference_config_selectorILb0EtEEZNS1_24adjacent_difference_implIS3_Lb0ELb0EPKtPtN6thrust23THRUST_200600_302600_NS4plusItEEEE10hipError_tPvRmT2_T3_mT4_P12ihipStream_tbEUlT_E_NS1_11comp_targetILNS1_3genE5ELNS1_11target_archE942ELNS1_3gpuE9ELNS1_3repE0EEENS1_30default_config_static_selectorELNS0_4arch9wavefront6targetE1EEEvT1_
                                        ; -- End function
	.section	.AMDGPU.csdata,"",@progbits
; Kernel info:
; codeLenInByte = 0
; NumSgprs: 4
; NumVgprs: 0
; NumAgprs: 0
; TotalNumVgprs: 0
; ScratchSize: 0
; MemoryBound: 0
; FloatMode: 240
; IeeeMode: 1
; LDSByteSize: 0 bytes/workgroup (compile time only)
; SGPRBlocks: 0
; VGPRBlocks: 0
; NumSGPRsForWavesPerEU: 4
; NumVGPRsForWavesPerEU: 1
; AccumOffset: 4
; Occupancy: 8
; WaveLimiterHint : 0
; COMPUTE_PGM_RSRC2:SCRATCH_EN: 0
; COMPUTE_PGM_RSRC2:USER_SGPR: 6
; COMPUTE_PGM_RSRC2:TRAP_HANDLER: 0
; COMPUTE_PGM_RSRC2:TGID_X_EN: 1
; COMPUTE_PGM_RSRC2:TGID_Y_EN: 0
; COMPUTE_PGM_RSRC2:TGID_Z_EN: 0
; COMPUTE_PGM_RSRC2:TIDIG_COMP_CNT: 0
; COMPUTE_PGM_RSRC3_GFX90A:ACCUM_OFFSET: 0
; COMPUTE_PGM_RSRC3_GFX90A:TG_SPLIT: 0
	.section	.text._ZN7rocprim17ROCPRIM_400000_NS6detail17trampoline_kernelINS0_14default_configENS1_35adjacent_difference_config_selectorILb0EtEEZNS1_24adjacent_difference_implIS3_Lb0ELb0EPKtPtN6thrust23THRUST_200600_302600_NS4plusItEEEE10hipError_tPvRmT2_T3_mT4_P12ihipStream_tbEUlT_E_NS1_11comp_targetILNS1_3genE4ELNS1_11target_archE910ELNS1_3gpuE8ELNS1_3repE0EEENS1_30default_config_static_selectorELNS0_4arch9wavefront6targetE1EEEvT1_,"axG",@progbits,_ZN7rocprim17ROCPRIM_400000_NS6detail17trampoline_kernelINS0_14default_configENS1_35adjacent_difference_config_selectorILb0EtEEZNS1_24adjacent_difference_implIS3_Lb0ELb0EPKtPtN6thrust23THRUST_200600_302600_NS4plusItEEEE10hipError_tPvRmT2_T3_mT4_P12ihipStream_tbEUlT_E_NS1_11comp_targetILNS1_3genE4ELNS1_11target_archE910ELNS1_3gpuE8ELNS1_3repE0EEENS1_30default_config_static_selectorELNS0_4arch9wavefront6targetE1EEEvT1_,comdat
	.protected	_ZN7rocprim17ROCPRIM_400000_NS6detail17trampoline_kernelINS0_14default_configENS1_35adjacent_difference_config_selectorILb0EtEEZNS1_24adjacent_difference_implIS3_Lb0ELb0EPKtPtN6thrust23THRUST_200600_302600_NS4plusItEEEE10hipError_tPvRmT2_T3_mT4_P12ihipStream_tbEUlT_E_NS1_11comp_targetILNS1_3genE4ELNS1_11target_archE910ELNS1_3gpuE8ELNS1_3repE0EEENS1_30default_config_static_selectorELNS0_4arch9wavefront6targetE1EEEvT1_ ; -- Begin function _ZN7rocprim17ROCPRIM_400000_NS6detail17trampoline_kernelINS0_14default_configENS1_35adjacent_difference_config_selectorILb0EtEEZNS1_24adjacent_difference_implIS3_Lb0ELb0EPKtPtN6thrust23THRUST_200600_302600_NS4plusItEEEE10hipError_tPvRmT2_T3_mT4_P12ihipStream_tbEUlT_E_NS1_11comp_targetILNS1_3genE4ELNS1_11target_archE910ELNS1_3gpuE8ELNS1_3repE0EEENS1_30default_config_static_selectorELNS0_4arch9wavefront6targetE1EEEvT1_
	.globl	_ZN7rocprim17ROCPRIM_400000_NS6detail17trampoline_kernelINS0_14default_configENS1_35adjacent_difference_config_selectorILb0EtEEZNS1_24adjacent_difference_implIS3_Lb0ELb0EPKtPtN6thrust23THRUST_200600_302600_NS4plusItEEEE10hipError_tPvRmT2_T3_mT4_P12ihipStream_tbEUlT_E_NS1_11comp_targetILNS1_3genE4ELNS1_11target_archE910ELNS1_3gpuE8ELNS1_3repE0EEENS1_30default_config_static_selectorELNS0_4arch9wavefront6targetE1EEEvT1_
	.p2align	8
	.type	_ZN7rocprim17ROCPRIM_400000_NS6detail17trampoline_kernelINS0_14default_configENS1_35adjacent_difference_config_selectorILb0EtEEZNS1_24adjacent_difference_implIS3_Lb0ELb0EPKtPtN6thrust23THRUST_200600_302600_NS4plusItEEEE10hipError_tPvRmT2_T3_mT4_P12ihipStream_tbEUlT_E_NS1_11comp_targetILNS1_3genE4ELNS1_11target_archE910ELNS1_3gpuE8ELNS1_3repE0EEENS1_30default_config_static_selectorELNS0_4arch9wavefront6targetE1EEEvT1_,@function
_ZN7rocprim17ROCPRIM_400000_NS6detail17trampoline_kernelINS0_14default_configENS1_35adjacent_difference_config_selectorILb0EtEEZNS1_24adjacent_difference_implIS3_Lb0ELb0EPKtPtN6thrust23THRUST_200600_302600_NS4plusItEEEE10hipError_tPvRmT2_T3_mT4_P12ihipStream_tbEUlT_E_NS1_11comp_targetILNS1_3genE4ELNS1_11target_archE910ELNS1_3gpuE8ELNS1_3repE0EEENS1_30default_config_static_selectorELNS0_4arch9wavefront6targetE1EEEvT1_: ; @_ZN7rocprim17ROCPRIM_400000_NS6detail17trampoline_kernelINS0_14default_configENS1_35adjacent_difference_config_selectorILb0EtEEZNS1_24adjacent_difference_implIS3_Lb0ELb0EPKtPtN6thrust23THRUST_200600_302600_NS4plusItEEEE10hipError_tPvRmT2_T3_mT4_P12ihipStream_tbEUlT_E_NS1_11comp_targetILNS1_3genE4ELNS1_11target_archE910ELNS1_3gpuE8ELNS1_3repE0EEENS1_30default_config_static_selectorELNS0_4arch9wavefront6targetE1EEEvT1_
; %bb.0:
	s_load_dwordx8 s[8:15], s[4:5], 0x0
	s_mov_b32 s2, 0xfc3c3710
	s_movk_i32 s7, 0x440
	s_load_dwordx2 s[0:1], s[4:5], 0x30
	s_mul_i32 s4, s6, 0x440
	s_waitcnt lgkmcnt(0)
	s_lshl_b64 s[10:11], s[10:11], 1
	s_add_u32 s20, s8, s10
	s_addc_u32 s21, s9, s11
	s_add_u32 s2, 0x10c, s2
	s_addc_u32 s8, 0, 0
	v_add_co_u32_e64 v1, s[2:3], s2, 2.0
	s_cmp_lg_u64 s[2:3], 0
	s_addc_u32 s2, s8, 0x3c3c3b
	v_readfirstlane_b32 s8, v1
	s_mul_hi_u32 s9, s8, 0xfffffbc0
	s_mul_i32 s3, s2, 0xfffffbc0
	s_sub_i32 s9, s9, s8
	s_add_i32 s9, s9, s3
	s_mul_i32 s17, s8, 0xfffffbc0
	s_mul_hi_u32 s3, s8, s9
	s_mul_i32 s16, s8, s9
	s_mul_hi_u32 s8, s8, s17
	s_add_u32 s8, s8, s16
	s_addc_u32 s3, 0, s3
	s_mul_hi_u32 s18, s2, s17
	s_mul_i32 s17, s2, s17
	s_add_u32 s8, s8, s17
	s_mul_hi_u32 s16, s2, s9
	s_addc_u32 s3, s3, s18
	s_addc_u32 s8, s16, 0
	s_mul_i32 s9, s2, s9
	s_add_u32 s3, s3, s9
	s_addc_u32 s8, 0, s8
	v_add_co_u32_e32 v1, vcc, s3, v1
	s_cmp_lg_u64 vcc, 0
	s_addc_u32 s2, s2, s8
	v_readfirstlane_b32 s9, v1
	s_mul_i32 s8, s14, s2
	s_mul_hi_u32 s16, s14, s9
	s_mul_hi_u32 s3, s14, s2
	s_add_u32 s8, s16, s8
	s_addc_u32 s3, 0, s3
	s_mul_hi_u32 s17, s15, s9
	s_mul_i32 s9, s15, s9
	s_add_u32 s8, s8, s9
	s_mul_hi_u32 s16, s15, s2
	s_addc_u32 s3, s3, s17
	s_addc_u32 s8, s16, 0
	s_mul_i32 s2, s15, s2
	s_add_u32 s2, s3, s2
	s_addc_u32 s3, 0, s8
	s_add_u32 s8, s2, 1
	s_addc_u32 s9, s3, 0
	s_add_u32 s16, s2, 2
	s_mul_i32 s18, s3, 0x440
	s_mul_hi_u32 s19, s2, 0x440
	s_addc_u32 s17, s3, 0
	s_add_i32 s19, s19, s18
	s_mul_i32 s18, s2, 0x440
	v_mov_b32_e32 v1, s18
	v_sub_co_u32_e32 v1, vcc, s14, v1
	s_cmp_lg_u64 vcc, 0
	s_subb_u32 s18, s15, s19
	v_subrev_co_u32_e32 v2, vcc, s7, v1
	s_cmp_lg_u64 vcc, 0
	s_subb_u32 s7, s18, 0
	v_readfirstlane_b32 s19, v2
	s_cmpk_gt_u32 s19, 0x43f
	s_cselect_b32 s19, -1, 0
	s_cmp_eq_u32 s7, 0
	s_cselect_b32 s7, s19, -1
	s_cmp_lg_u32 s7, 0
	s_cselect_b32 s7, s16, s8
	s_cselect_b32 s8, s17, s9
	v_readfirstlane_b32 s9, v1
	s_cmpk_gt_u32 s9, 0x43f
	s_cselect_b32 s9, -1, 0
	s_cmp_eq_u32 s18, 0
	s_cselect_b32 s9, s9, -1
	s_cmp_lg_u32 s9, 0
	s_cselect_b32 s8, s8, s3
	s_cselect_b32 s7, s7, s2
	s_mul_i32 s2, s8, 0x440
	s_mul_hi_u32 s3, s7, 0x440
	s_add_i32 s3, s3, s2
	s_mul_i32 s2, s7, 0x440
	s_sub_u32 s2, s14, s2
	s_subb_u32 s3, s15, s3
	s_cmp_lg_u64 s[2:3], 0
	s_cselect_b64 s[2:3], -1, 0
	v_cndmask_b32_e64 v1, 0, 1, s[2:3]
	v_readfirstlane_b32 s2, v1
	s_add_u32 s2, s7, s2
	s_addc_u32 s3, s8, 0
	s_add_u32 s6, s0, s6
	s_addc_u32 s7, s1, 0
	s_add_u32 s8, s2, -1
	s_addc_u32 s9, s3, -1
	v_pk_mov_b32 v[2:3], s[8:9], s[8:9] op_sel:[0,1]
	v_cmp_ge_u64_e64 s[0:1], s[6:7], v[2:3]
	s_mov_b32 s5, 0
	s_mov_b64 s[16:17], -1
	s_and_b64 vcc, exec, s[0:1]
	s_mul_i32 s15, s8, 0xfffffbc0
	s_cbranch_vccz .LBB544_36
; %bb.1:
	s_add_i32 s22, s15, s14
	s_lshl_b64 s[16:17], s[4:5], 1
	s_add_u32 s16, s20, s16
	s_addc_u32 s17, s21, s17
	v_cmp_gt_u32_e32 vcc, s22, v0
                                        ; implicit-def: $vgpr1
	s_and_saveexec_b64 s[18:19], vcc
	s_cbranch_execz .LBB544_3
; %bb.2:
	v_lshlrev_b32_e32 v1, 1, v0
	global_load_ushort v1, v1, s[16:17]
.LBB544_3:
	s_or_b64 exec, exec, s[18:19]
	v_or_b32_e32 v2, 64, v0
	v_cmp_gt_u32_e32 vcc, s22, v2
                                        ; implicit-def: $vgpr2
	s_and_saveexec_b64 s[18:19], vcc
	s_cbranch_execz .LBB544_5
; %bb.4:
	v_lshlrev_b32_e32 v2, 1, v0
	global_load_ushort v2, v2, s[16:17] offset:128
.LBB544_5:
	s_or_b64 exec, exec, s[18:19]
	v_or_b32_e32 v3, 0x80, v0
	v_cmp_gt_u32_e32 vcc, s22, v3
                                        ; implicit-def: $vgpr3
	s_and_saveexec_b64 s[18:19], vcc
	s_cbranch_execz .LBB544_7
; %bb.6:
	v_lshlrev_b32_e32 v3, 1, v0
	global_load_ushort v3, v3, s[16:17] offset:256
.LBB544_7:
	s_or_b64 exec, exec, s[18:19]
	v_or_b32_e32 v4, 0xc0, v0
	v_cmp_gt_u32_e32 vcc, s22, v4
                                        ; implicit-def: $vgpr4
	s_and_saveexec_b64 s[18:19], vcc
	s_cbranch_execz .LBB544_9
; %bb.8:
	v_lshlrev_b32_e32 v4, 1, v0
	global_load_ushort v4, v4, s[16:17] offset:384
.LBB544_9:
	s_or_b64 exec, exec, s[18:19]
	v_or_b32_e32 v5, 0x100, v0
	v_cmp_gt_u32_e32 vcc, s22, v5
                                        ; implicit-def: $vgpr5
	s_and_saveexec_b64 s[18:19], vcc
	s_cbranch_execz .LBB544_11
; %bb.10:
	v_lshlrev_b32_e32 v5, 1, v0
	global_load_ushort v5, v5, s[16:17] offset:512
.LBB544_11:
	s_or_b64 exec, exec, s[18:19]
	v_or_b32_e32 v6, 0x140, v0
	v_cmp_gt_u32_e32 vcc, s22, v6
                                        ; implicit-def: $vgpr6
	s_and_saveexec_b64 s[18:19], vcc
	s_cbranch_execz .LBB544_13
; %bb.12:
	v_lshlrev_b32_e32 v6, 1, v0
	global_load_ushort v6, v6, s[16:17] offset:640
.LBB544_13:
	s_or_b64 exec, exec, s[18:19]
	v_or_b32_e32 v7, 0x180, v0
	v_cmp_gt_u32_e32 vcc, s22, v7
                                        ; implicit-def: $vgpr7
	s_and_saveexec_b64 s[18:19], vcc
	s_cbranch_execz .LBB544_15
; %bb.14:
	v_lshlrev_b32_e32 v7, 1, v0
	global_load_ushort v7, v7, s[16:17] offset:768
.LBB544_15:
	s_or_b64 exec, exec, s[18:19]
	v_or_b32_e32 v8, 0x1c0, v0
	v_cmp_gt_u32_e32 vcc, s22, v8
                                        ; implicit-def: $vgpr8
	s_and_saveexec_b64 s[18:19], vcc
	s_cbranch_execz .LBB544_17
; %bb.16:
	v_lshlrev_b32_e32 v8, 1, v0
	global_load_ushort v8, v8, s[16:17] offset:896
.LBB544_17:
	s_or_b64 exec, exec, s[18:19]
	v_or_b32_e32 v9, 0x200, v0
	v_cmp_gt_u32_e32 vcc, s22, v9
                                        ; implicit-def: $vgpr9
	s_and_saveexec_b64 s[18:19], vcc
	s_cbranch_execz .LBB544_19
; %bb.18:
	v_lshlrev_b32_e32 v9, 1, v0
	global_load_ushort v9, v9, s[16:17] offset:1024
.LBB544_19:
	s_or_b64 exec, exec, s[18:19]
	v_or_b32_e32 v10, 0x240, v0
	v_cmp_gt_u32_e32 vcc, s22, v10
                                        ; implicit-def: $vgpr10
	s_and_saveexec_b64 s[18:19], vcc
	s_cbranch_execz .LBB544_21
; %bb.20:
	v_lshlrev_b32_e32 v10, 1, v0
	global_load_ushort v10, v10, s[16:17] offset:1152
.LBB544_21:
	s_or_b64 exec, exec, s[18:19]
	v_or_b32_e32 v11, 0x280, v0
	v_cmp_gt_u32_e32 vcc, s22, v11
                                        ; implicit-def: $vgpr11
	s_and_saveexec_b64 s[18:19], vcc
	s_cbranch_execz .LBB544_23
; %bb.22:
	v_lshlrev_b32_e32 v11, 1, v0
	global_load_ushort v11, v11, s[16:17] offset:1280
.LBB544_23:
	s_or_b64 exec, exec, s[18:19]
	v_or_b32_e32 v12, 0x2c0, v0
	v_cmp_gt_u32_e32 vcc, s22, v12
                                        ; implicit-def: $vgpr12
	s_and_saveexec_b64 s[18:19], vcc
	s_cbranch_execz .LBB544_25
; %bb.24:
	v_lshlrev_b32_e32 v12, 1, v0
	global_load_ushort v12, v12, s[16:17] offset:1408
.LBB544_25:
	s_or_b64 exec, exec, s[18:19]
	v_or_b32_e32 v13, 0x300, v0
	v_cmp_gt_u32_e32 vcc, s22, v13
                                        ; implicit-def: $vgpr13
	s_and_saveexec_b64 s[18:19], vcc
	s_cbranch_execz .LBB544_27
; %bb.26:
	v_lshlrev_b32_e32 v13, 1, v0
	global_load_ushort v13, v13, s[16:17] offset:1536
.LBB544_27:
	s_or_b64 exec, exec, s[18:19]
	v_or_b32_e32 v14, 0x340, v0
	v_cmp_gt_u32_e32 vcc, s22, v14
                                        ; implicit-def: $vgpr14
	s_and_saveexec_b64 s[18:19], vcc
	s_cbranch_execz .LBB544_29
; %bb.28:
	v_lshlrev_b32_e32 v14, 1, v0
	global_load_ushort v14, v14, s[16:17] offset:1664
.LBB544_29:
	s_or_b64 exec, exec, s[18:19]
	v_or_b32_e32 v15, 0x380, v0
	v_cmp_gt_u32_e32 vcc, s22, v15
                                        ; implicit-def: $vgpr15
	s_and_saveexec_b64 s[18:19], vcc
	s_cbranch_execz .LBB544_31
; %bb.30:
	v_lshlrev_b32_e32 v15, 1, v0
	global_load_ushort v15, v15, s[16:17] offset:1792
.LBB544_31:
	s_or_b64 exec, exec, s[18:19]
	v_or_b32_e32 v16, 0x3c0, v0
	v_cmp_gt_u32_e32 vcc, s22, v16
                                        ; implicit-def: $vgpr16
	s_and_saveexec_b64 s[18:19], vcc
	s_cbranch_execz .LBB544_33
; %bb.32:
	v_lshlrev_b32_e32 v16, 1, v0
	global_load_ushort v16, v16, s[16:17] offset:1920
.LBB544_33:
	s_or_b64 exec, exec, s[18:19]
	v_or_b32_e32 v17, 0x400, v0
	v_cmp_gt_u32_e32 vcc, s22, v17
                                        ; implicit-def: $vgpr17
	s_and_saveexec_b64 s[18:19], vcc
	s_cbranch_execz .LBB544_35
; %bb.34:
	v_lshlrev_b32_e32 v17, 1, v0
	global_load_ushort v17, v17, s[16:17] offset:2048
.LBB544_35:
	s_or_b64 exec, exec, s[18:19]
	v_lshlrev_b32_e32 v18, 1, v0
	s_mov_b64 s[16:17], 0
	s_waitcnt vmcnt(0)
	ds_write_b16 v18, v1
	ds_write_b16 v18, v2 offset:128
	ds_write_b16 v18, v3 offset:256
	ds_write_b16 v18, v4 offset:384
	ds_write_b16 v18, v5 offset:512
	ds_write_b16 v18, v6 offset:640
	ds_write_b16 v18, v7 offset:768
	ds_write_b16 v18, v8 offset:896
	ds_write_b16 v18, v9 offset:1024
	ds_write_b16 v18, v10 offset:1152
	ds_write_b16 v18, v11 offset:1280
	ds_write_b16 v18, v12 offset:1408
	ds_write_b16 v18, v13 offset:1536
	ds_write_b16 v18, v14 offset:1664
	ds_write_b16 v18, v15 offset:1792
	ds_write_b16 v18, v16 offset:1920
	ds_write_b16 v18, v17 offset:2048
	s_waitcnt lgkmcnt(0)
	; wave barrier
.LBB544_36:
	s_and_b64 vcc, exec, s[16:17]
	v_lshlrev_b32_e32 v1, 1, v0
	s_cbranch_vccz .LBB544_38
; %bb.37:
	s_lshl_b64 s[16:17], s[4:5], 1
	s_add_u32 s16, s20, s16
	s_addc_u32 s17, s21, s17
	global_load_ushort v2, v1, s[16:17]
	global_load_ushort v3, v1, s[16:17] offset:128
	global_load_ushort v4, v1, s[16:17] offset:256
	;; [unrolled: 1-line block ×16, first 2 shown]
	s_waitcnt vmcnt(16)
	ds_write_b16 v1, v2
	s_waitcnt vmcnt(15)
	ds_write_b16 v1, v3 offset:128
	s_waitcnt vmcnt(14)
	ds_write_b16 v1, v4 offset:256
	;; [unrolled: 2-line block ×16, first 2 shown]
	s_waitcnt lgkmcnt(0)
	; wave barrier
.LBB544_38:
	v_mul_u32_u24_e32 v2, 17, v0
	v_lshlrev_b32_e32 v10, 1, v2
	s_waitcnt lgkmcnt(0)
	ds_read_b128 v[6:9], v10
	ds_read_b128 v[2:5], v10 offset:16
	ds_read_u16 v18, v10 offset:32
	s_cmp_eq_u64 s[6:7], 0
	s_waitcnt lgkmcnt(0)
	; wave barrier
	s_waitcnt lgkmcnt(0)
	s_cbranch_scc1 .LBB544_43
; %bb.39:
	s_lshl_b64 s[16:17], s[4:5], 1
	s_add_u32 s16, s20, s16
	s_addc_u32 s17, s21, s17
	v_mov_b32_e32 v10, 0
	global_load_ushort v20, v10, s[16:17] offset:-2
	s_cmp_eq_u64 s[6:7], s[8:9]
	s_cbranch_scc1 .LBB544_44
; %bb.40:
	v_cmp_ne_u32_e32 vcc, 0, v0
	s_waitcnt vmcnt(0)
	v_mov_b32_e32 v10, v20
	ds_write_b16 v1, v18
	s_waitcnt lgkmcnt(0)
	; wave barrier
	s_waitcnt lgkmcnt(0)
	s_and_saveexec_b64 s[8:9], vcc
	s_cbranch_execz .LBB544_42
; %bb.41:
	v_add_u32_e32 v10, -2, v1
	ds_read_u16 v10, v10
.LBB544_42:
	s_or_b64 exec, exec, s[8:9]
	s_waitcnt lgkmcnt(0)
	v_add_u16_e32 v19, v10, v6
	s_mov_b64 s[8:9], 0
	s_branch .LBB544_45
.LBB544_43:
                                        ; implicit-def: $vgpr10_vgpr11
                                        ; implicit-def: $vgpr12_vgpr13
                                        ; implicit-def: $vgpr14_vgpr15
                                        ; implicit-def: $vgpr16_vgpr17
                                        ; implicit-def: $vgpr19
	s_branch .LBB544_50
.LBB544_44:
	s_mov_b64 s[8:9], -1
                                        ; implicit-def: $vgpr19
.LBB544_45:
	s_and_b64 vcc, exec, s[8:9]
	v_pk_mov_b32 v[10:11], v[4:5], v[4:5] op_sel:[0,1]
	v_pk_mov_b32 v[12:13], v[2:3], v[2:3] op_sel:[0,1]
	;; [unrolled: 1-line block ×4, first 2 shown]
	s_cbranch_vccz .LBB544_49
; %bb.46:
	v_mul_u32_u24_e32 v19, 17, v0
	v_cmp_ne_u32_e32 vcc, 0, v0
	ds_write_b16 v1, v18
	s_waitcnt lgkmcnt(0)
	; wave barrier
	s_waitcnt lgkmcnt(0)
	s_and_saveexec_b64 s[8:9], vcc
	s_cbranch_execz .LBB544_48
; %bb.47:
	v_add_u32_e32 v10, -2, v1
	s_waitcnt vmcnt(0)
	ds_read_u16 v20, v10
.LBB544_48:
	s_or_b64 exec, exec, s[8:9]
	s_mul_i32 s5, s6, 0xfffffbc0
	s_add_i32 s5, s5, s14
	v_add_u32_e32 v10, 15, v19
	v_add_u32_e32 v11, 16, v19
	v_cmp_gt_u32_e32 vcc, s5, v10
	v_add_u32_e32 v12, 13, v19
	v_cndmask_b32_e32 v10, 0, v5, vcc
	v_lshrrev_b32_e32 v14, 16, v5
	v_cmp_gt_u32_e32 vcc, s5, v11
	v_add_u32_e32 v13, 14, v19
	v_cndmask_b32_e32 v11, 0, v14, vcc
	s_mov_b32 s6, 0x5040100
	v_cmp_gt_u32_e32 vcc, s5, v12
	v_perm_b32 v11, v11, v10, s6
	v_cndmask_b32_e32 v10, 0, v4, vcc
	v_lshrrev_b32_e32 v12, 16, v4
	v_cmp_gt_u32_e32 vcc, s5, v13
	v_cndmask_b32_e32 v12, 0, v12, vcc
	v_perm_b32 v10, v12, v10, s6
	v_add_u32_e32 v12, 11, v19
	v_add_u32_e32 v13, 12, v19
	v_cmp_gt_u32_e32 vcc, s5, v12
	v_add_u32_e32 v14, 9, v19
	v_cndmask_b32_e32 v12, 0, v3, vcc
	v_lshrrev_b32_e32 v16, 16, v3
	v_cmp_gt_u32_e32 vcc, s5, v13
	v_add_u32_e32 v15, 10, v19
	v_cndmask_b32_e32 v13, 0, v16, vcc
	v_cmp_gt_u32_e32 vcc, s5, v14
	v_perm_b32 v13, v13, v12, s6
	v_cndmask_b32_e32 v12, 0, v2, vcc
	v_lshrrev_b32_e32 v14, 16, v2
	v_cmp_gt_u32_e32 vcc, s5, v15
	v_cndmask_b32_e32 v14, 0, v14, vcc
	v_perm_b32 v12, v14, v12, s6
	v_add_u32_e32 v14, 7, v19
	v_add_u32_e32 v15, 8, v19
	v_cmp_gt_u32_e32 vcc, s5, v14
	v_add_u32_e32 v16, 5, v19
	v_cndmask_b32_e32 v14, 0, v9, vcc
	v_lshrrev_b32_e32 v21, 16, v9
	v_cmp_gt_u32_e32 vcc, s5, v15
	v_add_u32_e32 v17, 6, v19
	v_cndmask_b32_e32 v15, 0, v21, vcc
	;; [unrolled: 16-line block ×3, first 2 shown]
	v_cmp_gt_u32_e32 vcc, s5, v21
	v_perm_b32 v17, v17, v16, s6
	v_cndmask_b32_e32 v16, 0, v6, vcc
	v_lshrrev_b32_e32 v21, 16, v6
	v_cmp_gt_u32_e32 vcc, s5, v22
	v_cndmask_b32_e32 v21, 0, v21, vcc
	v_cmp_gt_u32_e32 vcc, s5, v19
	s_waitcnt vmcnt(0) lgkmcnt(0)
	v_cndmask_b32_e32 v19, 0, v20, vcc
	v_perm_b32 v16, v21, v16, s6
	v_add_u16_e32 v19, v19, v6
.LBB544_49:
	s_cbranch_execnz .LBB544_59
.LBB544_50:
	s_cmp_eq_u64 s[2:3], 1
	v_cmp_ne_u32_e32 vcc, 0, v0
	s_cbranch_scc1 .LBB544_54
; %bb.51:
	v_mov_b32_e32 v19, v6
	ds_write_b16 v1, v18
	s_waitcnt lgkmcnt(0)
	; wave barrier
	s_waitcnt lgkmcnt(0)
	s_and_saveexec_b64 s[2:3], vcc
	s_cbranch_execz .LBB544_53
; %bb.52:
	v_add_u32_e32 v10, -2, v1
	ds_read_u16 v10, v10
	s_waitcnt lgkmcnt(0)
	v_add_u16_e32 v19, v10, v6
.LBB544_53:
	s_or_b64 exec, exec, s[2:3]
	s_mov_b64 s[2:3], 0
	s_branch .LBB544_55
.LBB544_54:
	s_mov_b64 s[2:3], -1
                                        ; implicit-def: $vgpr19
.LBB544_55:
	s_andn2_b64 vcc, exec, s[2:3]
	v_pk_mov_b32 v[10:11], v[4:5], v[4:5] op_sel:[0,1]
	v_pk_mov_b32 v[12:13], v[2:3], v[2:3] op_sel:[0,1]
	;; [unrolled: 1-line block ×4, first 2 shown]
	s_cbranch_vccnz .LBB544_59
; %bb.56:
	v_mad_u32_u24 v10, v0, 17, 15
	v_mad_u32_u24 v11, v0, 17, 16
	v_cmp_gt_u32_e32 vcc, s14, v10
	v_mad_u32_u24 v12, v0, 17, 13
	v_cndmask_b32_e32 v10, 0, v5, vcc
	v_lshrrev_b32_e32 v14, 16, v5
	v_cmp_gt_u32_e32 vcc, s14, v11
	v_mad_u32_u24 v13, v0, 17, 14
	v_cndmask_b32_e32 v11, 0, v14, vcc
	s_mov_b32 s2, 0x5040100
	v_cmp_gt_u32_e32 vcc, s14, v12
	v_perm_b32 v11, v11, v10, s2
	v_cndmask_b32_e32 v10, 0, v4, vcc
	v_lshrrev_b32_e32 v12, 16, v4
	v_cmp_gt_u32_e32 vcc, s14, v13
	v_cndmask_b32_e32 v12, 0, v12, vcc
	v_perm_b32 v10, v12, v10, s2
	v_mad_u32_u24 v12, v0, 17, 11
	v_mad_u32_u24 v13, v0, 17, 12
	v_cmp_gt_u32_e32 vcc, s14, v12
	v_mad_u32_u24 v14, v0, 17, 9
	v_cndmask_b32_e32 v12, 0, v3, vcc
	v_lshrrev_b32_e32 v16, 16, v3
	v_cmp_gt_u32_e32 vcc, s14, v13
	v_mad_u32_u24 v15, v0, 17, 10
	v_cndmask_b32_e32 v13, 0, v16, vcc
	v_cmp_gt_u32_e32 vcc, s14, v14
	v_perm_b32 v13, v13, v12, s2
	v_cndmask_b32_e32 v12, 0, v2, vcc
	v_lshrrev_b32_e32 v14, 16, v2
	v_cmp_gt_u32_e32 vcc, s14, v15
	v_cndmask_b32_e32 v14, 0, v14, vcc
	v_perm_b32 v12, v14, v12, s2
	v_mad_u32_u24 v14, v0, 17, 7
	v_mad_u32_u24 v15, v0, 17, 8
	v_cmp_gt_u32_e32 vcc, s14, v14
	v_mad_u32_u24 v16, v0, 17, 5
	v_cndmask_b32_e32 v14, 0, v9, vcc
	s_waitcnt vmcnt(0)
	v_lshrrev_b32_e32 v20, 16, v9
	v_cmp_gt_u32_e32 vcc, s14, v15
	v_mad_u32_u24 v17, v0, 17, 6
	v_cndmask_b32_e32 v15, 0, v20, vcc
	v_cmp_gt_u32_e32 vcc, s14, v16
	v_perm_b32 v15, v15, v14, s2
	v_cndmask_b32_e32 v14, 0, v8, vcc
	v_lshrrev_b32_e32 v16, 16, v8
	v_cmp_gt_u32_e32 vcc, s14, v17
	v_cndmask_b32_e32 v16, 0, v16, vcc
	v_perm_b32 v14, v16, v14, s2
	v_mad_u32_u24 v16, v0, 17, 3
	v_mad_u32_u24 v17, v0, 17, 4
	v_cmp_gt_u32_e32 vcc, s14, v16
	v_mad_u32_u24 v20, v0, 17, 1
	v_cndmask_b32_e32 v16, 0, v7, vcc
	v_lshrrev_b32_e32 v22, 16, v7
	v_cmp_gt_u32_e32 vcc, s14, v17
	v_mad_u32_u24 v21, v0, 17, 2
	v_cndmask_b32_e32 v17, 0, v22, vcc
	v_cmp_gt_u32_e32 vcc, s14, v20
	v_perm_b32 v17, v17, v16, s2
	v_cndmask_b32_e32 v16, 0, v6, vcc
	v_lshrrev_b32_e32 v20, 16, v6
	v_cmp_gt_u32_e32 vcc, s14, v21
	v_mul_u32_u24_e32 v19, 17, v0
	v_cndmask_b32_e32 v20, 0, v20, vcc
	v_perm_b32 v16, v20, v16, s2
	v_cmp_ne_u32_e32 vcc, 0, v0
	v_cmp_gt_u32_e64 s[2:3], s14, v19
	s_and_b64 s[6:7], vcc, s[2:3]
	v_mov_b32_e32 v19, v6
	ds_write_b16 v1, v18
	s_waitcnt lgkmcnt(0)
	; wave barrier
	s_waitcnt lgkmcnt(0)
	s_and_saveexec_b64 s[2:3], s[6:7]
	s_cbranch_execz .LBB544_58
; %bb.57:
	v_add_u32_e32 v19, -2, v1
	ds_read_u16 v19, v19
	s_waitcnt lgkmcnt(0)
	v_add_u16_e32 v19, v19, v6
.LBB544_58:
	s_or_b64 exec, exec, s[2:3]
.LBB544_59:
	s_add_u32 s6, s12, s10
	v_alignbit_b32 v6, v7, v6, 16
	v_alignbit_b32 v7, v8, v7, 16
	;; [unrolled: 1-line block ×8, first 2 shown]
	s_addc_u32 s7, s13, s11
	v_pk_add_u16 v7, v17, v7
	v_pk_add_u16 v6, v16, v6
	;; [unrolled: 1-line block ×8, first 2 shown]
	s_and_b64 vcc, exec, s[0:1]
	v_mul_u32_u24_e32 v12, 34, v0
	v_lshlrev_b32_e32 v13, 5, v0
	s_waitcnt lgkmcnt(0)
	; wave barrier
	s_cbranch_vccz .LBB544_93
; %bb.60:
	v_sub_u32_e32 v10, v12, v13
	ds_write_b16 v12, v19
	ds_write_b128 v12, v[6:9] offset:2
	ds_write_b128 v12, v[2:5] offset:18
	s_waitcnt lgkmcnt(0)
	; wave barrier
	s_waitcnt lgkmcnt(0)
	ds_read_u16 v30, v10 offset:128
	ds_read_u16 v29, v10 offset:256
	;; [unrolled: 1-line block ×10, first 2 shown]
	s_waitcnt vmcnt(0)
	ds_read_u16 v20, v10 offset:1408
	ds_read_u16 v18, v10 offset:1536
	;; [unrolled: 1-line block ×6, first 2 shown]
	s_mov_b32 s5, 0
	s_add_i32 s15, s15, s14
	s_lshl_b64 s[0:1], s[4:5], 1
	s_add_u32 s0, s6, s0
	s_addc_u32 s1, s7, s1
	v_mov_b32_e32 v11, s1
	v_add_co_u32_e32 v10, vcc, s0, v1
	v_addc_co_u32_e32 v11, vcc, 0, v11, vcc
	v_cmp_gt_u32_e32 vcc, s15, v0
	s_and_saveexec_b64 s[0:1], vcc
	s_cbranch_execz .LBB544_62
; %bb.61:
	v_sub_u32_e32 v31, 0, v13
	v_add_u32_e32 v31, v12, v31
	ds_read_u16 v31, v31
	s_waitcnt lgkmcnt(0)
	global_store_short v[10:11], v31, off
.LBB544_62:
	s_or_b64 exec, exec, s[0:1]
	v_or_b32_e32 v31, 64, v0
	v_cmp_gt_u32_e32 vcc, s15, v31
	s_and_saveexec_b64 s[0:1], vcc
	s_cbranch_execz .LBB544_64
; %bb.63:
	s_waitcnt lgkmcnt(14)
	global_store_short v[10:11], v30, off offset:128
.LBB544_64:
	s_or_b64 exec, exec, s[0:1]
	s_waitcnt lgkmcnt(14)
	v_or_b32_e32 v30, 0x80, v0
	v_cmp_gt_u32_e32 vcc, s15, v30
	s_and_saveexec_b64 s[0:1], vcc
	s_cbranch_execz .LBB544_66
; %bb.65:
	global_store_short v[10:11], v29, off offset:256
.LBB544_66:
	s_or_b64 exec, exec, s[0:1]
	v_or_b32_e32 v29, 0xc0, v0
	v_cmp_gt_u32_e32 vcc, s15, v29
	s_and_saveexec_b64 s[0:1], vcc
	s_cbranch_execz .LBB544_68
; %bb.67:
	s_waitcnt lgkmcnt(13)
	global_store_short v[10:11], v28, off offset:384
.LBB544_68:
	s_or_b64 exec, exec, s[0:1]
	s_waitcnt lgkmcnt(13)
	v_or_b32_e32 v28, 0x100, v0
	v_cmp_gt_u32_e32 vcc, s15, v28
	s_and_saveexec_b64 s[0:1], vcc
	s_cbranch_execz .LBB544_70
; %bb.69:
	s_waitcnt lgkmcnt(12)
	global_store_short v[10:11], v27, off offset:512
.LBB544_70:
	s_or_b64 exec, exec, s[0:1]
	s_waitcnt lgkmcnt(12)
	;; [unrolled: 10-line block ×12, first 2 shown]
	v_or_b32_e32 v16, 0x3c0, v0
	v_cmp_gt_u32_e32 vcc, s15, v16
	s_and_saveexec_b64 s[0:1], vcc
	s_cbranch_execz .LBB544_92
; %bb.91:
	s_waitcnt lgkmcnt(1)
	global_store_short v[10:11], v15, off offset:1920
.LBB544_92:
	s_or_b64 exec, exec, s[0:1]
	v_or_b32_e32 v0, 0x400, v0
	v_cmp_gt_u32_e64 s[0:1], s15, v0
	s_branch .LBB544_95
.LBB544_93:
	s_mov_b64 s[0:1], 0
                                        ; implicit-def: $vgpr14
                                        ; implicit-def: $vgpr10_vgpr11
	s_cbranch_execz .LBB544_95
; %bb.94:
	s_mov_b32 s5, 0
	s_lshl_b64 s[2:3], s[4:5], 1
	v_sub_u32_e32 v0, v12, v13
	s_add_u32 s2, s6, s2
	ds_write_b16 v12, v19
	ds_write_b128 v12, v[6:9] offset:2
	ds_write_b128 v12, v[2:5] offset:18
	s_waitcnt lgkmcnt(0)
	; wave barrier
	s_waitcnt lgkmcnt(0)
	ds_read_u16 v2, v0
	ds_read_u16 v3, v0 offset:128
	ds_read_u16 v4, v0 offset:256
	;; [unrolled: 1-line block ×14, first 2 shown]
	s_waitcnt vmcnt(0)
	ds_read_u16 v20, v0 offset:1920
	ds_read_u16 v14, v0 offset:2048
	s_addc_u32 s3, s7, s3
	v_mov_b32_e32 v0, s3
	v_add_co_u32_e32 v10, vcc, s2, v1
	v_addc_co_u32_e32 v11, vcc, 0, v0, vcc
	s_or_b64 s[0:1], s[0:1], exec
	s_waitcnt lgkmcnt(14)
	global_store_short v1, v2, s[2:3]
	global_store_short v1, v3, s[2:3] offset:128
	global_store_short v1, v4, s[2:3] offset:256
	s_waitcnt lgkmcnt(13)
	global_store_short v1, v5, s[2:3] offset:384
	s_waitcnt lgkmcnt(12)
	;; [unrolled: 2-line block ×13, first 2 shown]
	global_store_short v1, v20, s[2:3] offset:1920
.LBB544_95:
	s_and_saveexec_b64 s[2:3], s[0:1]
	s_cbranch_execnz .LBB544_97
; %bb.96:
	s_endpgm
.LBB544_97:
	s_waitcnt lgkmcnt(0)
	global_store_short v[10:11], v14, off offset:2048
	s_endpgm
	.section	.rodata,"a",@progbits
	.p2align	6, 0x0
	.amdhsa_kernel _ZN7rocprim17ROCPRIM_400000_NS6detail17trampoline_kernelINS0_14default_configENS1_35adjacent_difference_config_selectorILb0EtEEZNS1_24adjacent_difference_implIS3_Lb0ELb0EPKtPtN6thrust23THRUST_200600_302600_NS4plusItEEEE10hipError_tPvRmT2_T3_mT4_P12ihipStream_tbEUlT_E_NS1_11comp_targetILNS1_3genE4ELNS1_11target_archE910ELNS1_3gpuE8ELNS1_3repE0EEENS1_30default_config_static_selectorELNS0_4arch9wavefront6targetE1EEEvT1_
		.amdhsa_group_segment_fixed_size 2176
		.amdhsa_private_segment_fixed_size 0
		.amdhsa_kernarg_size 56
		.amdhsa_user_sgpr_count 6
		.amdhsa_user_sgpr_private_segment_buffer 1
		.amdhsa_user_sgpr_dispatch_ptr 0
		.amdhsa_user_sgpr_queue_ptr 0
		.amdhsa_user_sgpr_kernarg_segment_ptr 1
		.amdhsa_user_sgpr_dispatch_id 0
		.amdhsa_user_sgpr_flat_scratch_init 0
		.amdhsa_user_sgpr_kernarg_preload_length 0
		.amdhsa_user_sgpr_kernarg_preload_offset 0
		.amdhsa_user_sgpr_private_segment_size 0
		.amdhsa_uses_dynamic_stack 0
		.amdhsa_system_sgpr_private_segment_wavefront_offset 0
		.amdhsa_system_sgpr_workgroup_id_x 1
		.amdhsa_system_sgpr_workgroup_id_y 0
		.amdhsa_system_sgpr_workgroup_id_z 0
		.amdhsa_system_sgpr_workgroup_info 0
		.amdhsa_system_vgpr_workitem_id 0
		.amdhsa_next_free_vgpr 32
		.amdhsa_next_free_sgpr 23
		.amdhsa_accum_offset 32
		.amdhsa_reserve_vcc 1
		.amdhsa_reserve_flat_scratch 0
		.amdhsa_float_round_mode_32 0
		.amdhsa_float_round_mode_16_64 0
		.amdhsa_float_denorm_mode_32 3
		.amdhsa_float_denorm_mode_16_64 3
		.amdhsa_dx10_clamp 1
		.amdhsa_ieee_mode 1
		.amdhsa_fp16_overflow 0
		.amdhsa_tg_split 0
		.amdhsa_exception_fp_ieee_invalid_op 0
		.amdhsa_exception_fp_denorm_src 0
		.amdhsa_exception_fp_ieee_div_zero 0
		.amdhsa_exception_fp_ieee_overflow 0
		.amdhsa_exception_fp_ieee_underflow 0
		.amdhsa_exception_fp_ieee_inexact 0
		.amdhsa_exception_int_div_zero 0
	.end_amdhsa_kernel
	.section	.text._ZN7rocprim17ROCPRIM_400000_NS6detail17trampoline_kernelINS0_14default_configENS1_35adjacent_difference_config_selectorILb0EtEEZNS1_24adjacent_difference_implIS3_Lb0ELb0EPKtPtN6thrust23THRUST_200600_302600_NS4plusItEEEE10hipError_tPvRmT2_T3_mT4_P12ihipStream_tbEUlT_E_NS1_11comp_targetILNS1_3genE4ELNS1_11target_archE910ELNS1_3gpuE8ELNS1_3repE0EEENS1_30default_config_static_selectorELNS0_4arch9wavefront6targetE1EEEvT1_,"axG",@progbits,_ZN7rocprim17ROCPRIM_400000_NS6detail17trampoline_kernelINS0_14default_configENS1_35adjacent_difference_config_selectorILb0EtEEZNS1_24adjacent_difference_implIS3_Lb0ELb0EPKtPtN6thrust23THRUST_200600_302600_NS4plusItEEEE10hipError_tPvRmT2_T3_mT4_P12ihipStream_tbEUlT_E_NS1_11comp_targetILNS1_3genE4ELNS1_11target_archE910ELNS1_3gpuE8ELNS1_3repE0EEENS1_30default_config_static_selectorELNS0_4arch9wavefront6targetE1EEEvT1_,comdat
.Lfunc_end544:
	.size	_ZN7rocprim17ROCPRIM_400000_NS6detail17trampoline_kernelINS0_14default_configENS1_35adjacent_difference_config_selectorILb0EtEEZNS1_24adjacent_difference_implIS3_Lb0ELb0EPKtPtN6thrust23THRUST_200600_302600_NS4plusItEEEE10hipError_tPvRmT2_T3_mT4_P12ihipStream_tbEUlT_E_NS1_11comp_targetILNS1_3genE4ELNS1_11target_archE910ELNS1_3gpuE8ELNS1_3repE0EEENS1_30default_config_static_selectorELNS0_4arch9wavefront6targetE1EEEvT1_, .Lfunc_end544-_ZN7rocprim17ROCPRIM_400000_NS6detail17trampoline_kernelINS0_14default_configENS1_35adjacent_difference_config_selectorILb0EtEEZNS1_24adjacent_difference_implIS3_Lb0ELb0EPKtPtN6thrust23THRUST_200600_302600_NS4plusItEEEE10hipError_tPvRmT2_T3_mT4_P12ihipStream_tbEUlT_E_NS1_11comp_targetILNS1_3genE4ELNS1_11target_archE910ELNS1_3gpuE8ELNS1_3repE0EEENS1_30default_config_static_selectorELNS0_4arch9wavefront6targetE1EEEvT1_
                                        ; -- End function
	.section	.AMDGPU.csdata,"",@progbits
; Kernel info:
; codeLenInByte = 4204
; NumSgprs: 27
; NumVgprs: 32
; NumAgprs: 0
; TotalNumVgprs: 32
; ScratchSize: 0
; MemoryBound: 0
; FloatMode: 240
; IeeeMode: 1
; LDSByteSize: 2176 bytes/workgroup (compile time only)
; SGPRBlocks: 3
; VGPRBlocks: 3
; NumSGPRsForWavesPerEU: 27
; NumVGPRsForWavesPerEU: 32
; AccumOffset: 32
; Occupancy: 8
; WaveLimiterHint : 1
; COMPUTE_PGM_RSRC2:SCRATCH_EN: 0
; COMPUTE_PGM_RSRC2:USER_SGPR: 6
; COMPUTE_PGM_RSRC2:TRAP_HANDLER: 0
; COMPUTE_PGM_RSRC2:TGID_X_EN: 1
; COMPUTE_PGM_RSRC2:TGID_Y_EN: 0
; COMPUTE_PGM_RSRC2:TGID_Z_EN: 0
; COMPUTE_PGM_RSRC2:TIDIG_COMP_CNT: 0
; COMPUTE_PGM_RSRC3_GFX90A:ACCUM_OFFSET: 7
; COMPUTE_PGM_RSRC3_GFX90A:TG_SPLIT: 0
	.section	.text._ZN7rocprim17ROCPRIM_400000_NS6detail17trampoline_kernelINS0_14default_configENS1_35adjacent_difference_config_selectorILb0EtEEZNS1_24adjacent_difference_implIS3_Lb0ELb0EPKtPtN6thrust23THRUST_200600_302600_NS4plusItEEEE10hipError_tPvRmT2_T3_mT4_P12ihipStream_tbEUlT_E_NS1_11comp_targetILNS1_3genE3ELNS1_11target_archE908ELNS1_3gpuE7ELNS1_3repE0EEENS1_30default_config_static_selectorELNS0_4arch9wavefront6targetE1EEEvT1_,"axG",@progbits,_ZN7rocprim17ROCPRIM_400000_NS6detail17trampoline_kernelINS0_14default_configENS1_35adjacent_difference_config_selectorILb0EtEEZNS1_24adjacent_difference_implIS3_Lb0ELb0EPKtPtN6thrust23THRUST_200600_302600_NS4plusItEEEE10hipError_tPvRmT2_T3_mT4_P12ihipStream_tbEUlT_E_NS1_11comp_targetILNS1_3genE3ELNS1_11target_archE908ELNS1_3gpuE7ELNS1_3repE0EEENS1_30default_config_static_selectorELNS0_4arch9wavefront6targetE1EEEvT1_,comdat
	.protected	_ZN7rocprim17ROCPRIM_400000_NS6detail17trampoline_kernelINS0_14default_configENS1_35adjacent_difference_config_selectorILb0EtEEZNS1_24adjacent_difference_implIS3_Lb0ELb0EPKtPtN6thrust23THRUST_200600_302600_NS4plusItEEEE10hipError_tPvRmT2_T3_mT4_P12ihipStream_tbEUlT_E_NS1_11comp_targetILNS1_3genE3ELNS1_11target_archE908ELNS1_3gpuE7ELNS1_3repE0EEENS1_30default_config_static_selectorELNS0_4arch9wavefront6targetE1EEEvT1_ ; -- Begin function _ZN7rocprim17ROCPRIM_400000_NS6detail17trampoline_kernelINS0_14default_configENS1_35adjacent_difference_config_selectorILb0EtEEZNS1_24adjacent_difference_implIS3_Lb0ELb0EPKtPtN6thrust23THRUST_200600_302600_NS4plusItEEEE10hipError_tPvRmT2_T3_mT4_P12ihipStream_tbEUlT_E_NS1_11comp_targetILNS1_3genE3ELNS1_11target_archE908ELNS1_3gpuE7ELNS1_3repE0EEENS1_30default_config_static_selectorELNS0_4arch9wavefront6targetE1EEEvT1_
	.globl	_ZN7rocprim17ROCPRIM_400000_NS6detail17trampoline_kernelINS0_14default_configENS1_35adjacent_difference_config_selectorILb0EtEEZNS1_24adjacent_difference_implIS3_Lb0ELb0EPKtPtN6thrust23THRUST_200600_302600_NS4plusItEEEE10hipError_tPvRmT2_T3_mT4_P12ihipStream_tbEUlT_E_NS1_11comp_targetILNS1_3genE3ELNS1_11target_archE908ELNS1_3gpuE7ELNS1_3repE0EEENS1_30default_config_static_selectorELNS0_4arch9wavefront6targetE1EEEvT1_
	.p2align	8
	.type	_ZN7rocprim17ROCPRIM_400000_NS6detail17trampoline_kernelINS0_14default_configENS1_35adjacent_difference_config_selectorILb0EtEEZNS1_24adjacent_difference_implIS3_Lb0ELb0EPKtPtN6thrust23THRUST_200600_302600_NS4plusItEEEE10hipError_tPvRmT2_T3_mT4_P12ihipStream_tbEUlT_E_NS1_11comp_targetILNS1_3genE3ELNS1_11target_archE908ELNS1_3gpuE7ELNS1_3repE0EEENS1_30default_config_static_selectorELNS0_4arch9wavefront6targetE1EEEvT1_,@function
_ZN7rocprim17ROCPRIM_400000_NS6detail17trampoline_kernelINS0_14default_configENS1_35adjacent_difference_config_selectorILb0EtEEZNS1_24adjacent_difference_implIS3_Lb0ELb0EPKtPtN6thrust23THRUST_200600_302600_NS4plusItEEEE10hipError_tPvRmT2_T3_mT4_P12ihipStream_tbEUlT_E_NS1_11comp_targetILNS1_3genE3ELNS1_11target_archE908ELNS1_3gpuE7ELNS1_3repE0EEENS1_30default_config_static_selectorELNS0_4arch9wavefront6targetE1EEEvT1_: ; @_ZN7rocprim17ROCPRIM_400000_NS6detail17trampoline_kernelINS0_14default_configENS1_35adjacent_difference_config_selectorILb0EtEEZNS1_24adjacent_difference_implIS3_Lb0ELb0EPKtPtN6thrust23THRUST_200600_302600_NS4plusItEEEE10hipError_tPvRmT2_T3_mT4_P12ihipStream_tbEUlT_E_NS1_11comp_targetILNS1_3genE3ELNS1_11target_archE908ELNS1_3gpuE7ELNS1_3repE0EEENS1_30default_config_static_selectorELNS0_4arch9wavefront6targetE1EEEvT1_
; %bb.0:
	.section	.rodata,"a",@progbits
	.p2align	6, 0x0
	.amdhsa_kernel _ZN7rocprim17ROCPRIM_400000_NS6detail17trampoline_kernelINS0_14default_configENS1_35adjacent_difference_config_selectorILb0EtEEZNS1_24adjacent_difference_implIS3_Lb0ELb0EPKtPtN6thrust23THRUST_200600_302600_NS4plusItEEEE10hipError_tPvRmT2_T3_mT4_P12ihipStream_tbEUlT_E_NS1_11comp_targetILNS1_3genE3ELNS1_11target_archE908ELNS1_3gpuE7ELNS1_3repE0EEENS1_30default_config_static_selectorELNS0_4arch9wavefront6targetE1EEEvT1_
		.amdhsa_group_segment_fixed_size 0
		.amdhsa_private_segment_fixed_size 0
		.amdhsa_kernarg_size 56
		.amdhsa_user_sgpr_count 6
		.amdhsa_user_sgpr_private_segment_buffer 1
		.amdhsa_user_sgpr_dispatch_ptr 0
		.amdhsa_user_sgpr_queue_ptr 0
		.amdhsa_user_sgpr_kernarg_segment_ptr 1
		.amdhsa_user_sgpr_dispatch_id 0
		.amdhsa_user_sgpr_flat_scratch_init 0
		.amdhsa_user_sgpr_kernarg_preload_length 0
		.amdhsa_user_sgpr_kernarg_preload_offset 0
		.amdhsa_user_sgpr_private_segment_size 0
		.amdhsa_uses_dynamic_stack 0
		.amdhsa_system_sgpr_private_segment_wavefront_offset 0
		.amdhsa_system_sgpr_workgroup_id_x 1
		.amdhsa_system_sgpr_workgroup_id_y 0
		.amdhsa_system_sgpr_workgroup_id_z 0
		.amdhsa_system_sgpr_workgroup_info 0
		.amdhsa_system_vgpr_workitem_id 0
		.amdhsa_next_free_vgpr 1
		.amdhsa_next_free_sgpr 0
		.amdhsa_accum_offset 4
		.amdhsa_reserve_vcc 0
		.amdhsa_reserve_flat_scratch 0
		.amdhsa_float_round_mode_32 0
		.amdhsa_float_round_mode_16_64 0
		.amdhsa_float_denorm_mode_32 3
		.amdhsa_float_denorm_mode_16_64 3
		.amdhsa_dx10_clamp 1
		.amdhsa_ieee_mode 1
		.amdhsa_fp16_overflow 0
		.amdhsa_tg_split 0
		.amdhsa_exception_fp_ieee_invalid_op 0
		.amdhsa_exception_fp_denorm_src 0
		.amdhsa_exception_fp_ieee_div_zero 0
		.amdhsa_exception_fp_ieee_overflow 0
		.amdhsa_exception_fp_ieee_underflow 0
		.amdhsa_exception_fp_ieee_inexact 0
		.amdhsa_exception_int_div_zero 0
	.end_amdhsa_kernel
	.section	.text._ZN7rocprim17ROCPRIM_400000_NS6detail17trampoline_kernelINS0_14default_configENS1_35adjacent_difference_config_selectorILb0EtEEZNS1_24adjacent_difference_implIS3_Lb0ELb0EPKtPtN6thrust23THRUST_200600_302600_NS4plusItEEEE10hipError_tPvRmT2_T3_mT4_P12ihipStream_tbEUlT_E_NS1_11comp_targetILNS1_3genE3ELNS1_11target_archE908ELNS1_3gpuE7ELNS1_3repE0EEENS1_30default_config_static_selectorELNS0_4arch9wavefront6targetE1EEEvT1_,"axG",@progbits,_ZN7rocprim17ROCPRIM_400000_NS6detail17trampoline_kernelINS0_14default_configENS1_35adjacent_difference_config_selectorILb0EtEEZNS1_24adjacent_difference_implIS3_Lb0ELb0EPKtPtN6thrust23THRUST_200600_302600_NS4plusItEEEE10hipError_tPvRmT2_T3_mT4_P12ihipStream_tbEUlT_E_NS1_11comp_targetILNS1_3genE3ELNS1_11target_archE908ELNS1_3gpuE7ELNS1_3repE0EEENS1_30default_config_static_selectorELNS0_4arch9wavefront6targetE1EEEvT1_,comdat
.Lfunc_end545:
	.size	_ZN7rocprim17ROCPRIM_400000_NS6detail17trampoline_kernelINS0_14default_configENS1_35adjacent_difference_config_selectorILb0EtEEZNS1_24adjacent_difference_implIS3_Lb0ELb0EPKtPtN6thrust23THRUST_200600_302600_NS4plusItEEEE10hipError_tPvRmT2_T3_mT4_P12ihipStream_tbEUlT_E_NS1_11comp_targetILNS1_3genE3ELNS1_11target_archE908ELNS1_3gpuE7ELNS1_3repE0EEENS1_30default_config_static_selectorELNS0_4arch9wavefront6targetE1EEEvT1_, .Lfunc_end545-_ZN7rocprim17ROCPRIM_400000_NS6detail17trampoline_kernelINS0_14default_configENS1_35adjacent_difference_config_selectorILb0EtEEZNS1_24adjacent_difference_implIS3_Lb0ELb0EPKtPtN6thrust23THRUST_200600_302600_NS4plusItEEEE10hipError_tPvRmT2_T3_mT4_P12ihipStream_tbEUlT_E_NS1_11comp_targetILNS1_3genE3ELNS1_11target_archE908ELNS1_3gpuE7ELNS1_3repE0EEENS1_30default_config_static_selectorELNS0_4arch9wavefront6targetE1EEEvT1_
                                        ; -- End function
	.section	.AMDGPU.csdata,"",@progbits
; Kernel info:
; codeLenInByte = 0
; NumSgprs: 4
; NumVgprs: 0
; NumAgprs: 0
; TotalNumVgprs: 0
; ScratchSize: 0
; MemoryBound: 0
; FloatMode: 240
; IeeeMode: 1
; LDSByteSize: 0 bytes/workgroup (compile time only)
; SGPRBlocks: 0
; VGPRBlocks: 0
; NumSGPRsForWavesPerEU: 4
; NumVGPRsForWavesPerEU: 1
; AccumOffset: 4
; Occupancy: 8
; WaveLimiterHint : 0
; COMPUTE_PGM_RSRC2:SCRATCH_EN: 0
; COMPUTE_PGM_RSRC2:USER_SGPR: 6
; COMPUTE_PGM_RSRC2:TRAP_HANDLER: 0
; COMPUTE_PGM_RSRC2:TGID_X_EN: 1
; COMPUTE_PGM_RSRC2:TGID_Y_EN: 0
; COMPUTE_PGM_RSRC2:TGID_Z_EN: 0
; COMPUTE_PGM_RSRC2:TIDIG_COMP_CNT: 0
; COMPUTE_PGM_RSRC3_GFX90A:ACCUM_OFFSET: 0
; COMPUTE_PGM_RSRC3_GFX90A:TG_SPLIT: 0
	.section	.text._ZN7rocprim17ROCPRIM_400000_NS6detail17trampoline_kernelINS0_14default_configENS1_35adjacent_difference_config_selectorILb0EtEEZNS1_24adjacent_difference_implIS3_Lb0ELb0EPKtPtN6thrust23THRUST_200600_302600_NS4plusItEEEE10hipError_tPvRmT2_T3_mT4_P12ihipStream_tbEUlT_E_NS1_11comp_targetILNS1_3genE2ELNS1_11target_archE906ELNS1_3gpuE6ELNS1_3repE0EEENS1_30default_config_static_selectorELNS0_4arch9wavefront6targetE1EEEvT1_,"axG",@progbits,_ZN7rocprim17ROCPRIM_400000_NS6detail17trampoline_kernelINS0_14default_configENS1_35adjacent_difference_config_selectorILb0EtEEZNS1_24adjacent_difference_implIS3_Lb0ELb0EPKtPtN6thrust23THRUST_200600_302600_NS4plusItEEEE10hipError_tPvRmT2_T3_mT4_P12ihipStream_tbEUlT_E_NS1_11comp_targetILNS1_3genE2ELNS1_11target_archE906ELNS1_3gpuE6ELNS1_3repE0EEENS1_30default_config_static_selectorELNS0_4arch9wavefront6targetE1EEEvT1_,comdat
	.protected	_ZN7rocprim17ROCPRIM_400000_NS6detail17trampoline_kernelINS0_14default_configENS1_35adjacent_difference_config_selectorILb0EtEEZNS1_24adjacent_difference_implIS3_Lb0ELb0EPKtPtN6thrust23THRUST_200600_302600_NS4plusItEEEE10hipError_tPvRmT2_T3_mT4_P12ihipStream_tbEUlT_E_NS1_11comp_targetILNS1_3genE2ELNS1_11target_archE906ELNS1_3gpuE6ELNS1_3repE0EEENS1_30default_config_static_selectorELNS0_4arch9wavefront6targetE1EEEvT1_ ; -- Begin function _ZN7rocprim17ROCPRIM_400000_NS6detail17trampoline_kernelINS0_14default_configENS1_35adjacent_difference_config_selectorILb0EtEEZNS1_24adjacent_difference_implIS3_Lb0ELb0EPKtPtN6thrust23THRUST_200600_302600_NS4plusItEEEE10hipError_tPvRmT2_T3_mT4_P12ihipStream_tbEUlT_E_NS1_11comp_targetILNS1_3genE2ELNS1_11target_archE906ELNS1_3gpuE6ELNS1_3repE0EEENS1_30default_config_static_selectorELNS0_4arch9wavefront6targetE1EEEvT1_
	.globl	_ZN7rocprim17ROCPRIM_400000_NS6detail17trampoline_kernelINS0_14default_configENS1_35adjacent_difference_config_selectorILb0EtEEZNS1_24adjacent_difference_implIS3_Lb0ELb0EPKtPtN6thrust23THRUST_200600_302600_NS4plusItEEEE10hipError_tPvRmT2_T3_mT4_P12ihipStream_tbEUlT_E_NS1_11comp_targetILNS1_3genE2ELNS1_11target_archE906ELNS1_3gpuE6ELNS1_3repE0EEENS1_30default_config_static_selectorELNS0_4arch9wavefront6targetE1EEEvT1_
	.p2align	8
	.type	_ZN7rocprim17ROCPRIM_400000_NS6detail17trampoline_kernelINS0_14default_configENS1_35adjacent_difference_config_selectorILb0EtEEZNS1_24adjacent_difference_implIS3_Lb0ELb0EPKtPtN6thrust23THRUST_200600_302600_NS4plusItEEEE10hipError_tPvRmT2_T3_mT4_P12ihipStream_tbEUlT_E_NS1_11comp_targetILNS1_3genE2ELNS1_11target_archE906ELNS1_3gpuE6ELNS1_3repE0EEENS1_30default_config_static_selectorELNS0_4arch9wavefront6targetE1EEEvT1_,@function
_ZN7rocprim17ROCPRIM_400000_NS6detail17trampoline_kernelINS0_14default_configENS1_35adjacent_difference_config_selectorILb0EtEEZNS1_24adjacent_difference_implIS3_Lb0ELb0EPKtPtN6thrust23THRUST_200600_302600_NS4plusItEEEE10hipError_tPvRmT2_T3_mT4_P12ihipStream_tbEUlT_E_NS1_11comp_targetILNS1_3genE2ELNS1_11target_archE906ELNS1_3gpuE6ELNS1_3repE0EEENS1_30default_config_static_selectorELNS0_4arch9wavefront6targetE1EEEvT1_: ; @_ZN7rocprim17ROCPRIM_400000_NS6detail17trampoline_kernelINS0_14default_configENS1_35adjacent_difference_config_selectorILb0EtEEZNS1_24adjacent_difference_implIS3_Lb0ELb0EPKtPtN6thrust23THRUST_200600_302600_NS4plusItEEEE10hipError_tPvRmT2_T3_mT4_P12ihipStream_tbEUlT_E_NS1_11comp_targetILNS1_3genE2ELNS1_11target_archE906ELNS1_3gpuE6ELNS1_3repE0EEENS1_30default_config_static_selectorELNS0_4arch9wavefront6targetE1EEEvT1_
; %bb.0:
	.section	.rodata,"a",@progbits
	.p2align	6, 0x0
	.amdhsa_kernel _ZN7rocprim17ROCPRIM_400000_NS6detail17trampoline_kernelINS0_14default_configENS1_35adjacent_difference_config_selectorILb0EtEEZNS1_24adjacent_difference_implIS3_Lb0ELb0EPKtPtN6thrust23THRUST_200600_302600_NS4plusItEEEE10hipError_tPvRmT2_T3_mT4_P12ihipStream_tbEUlT_E_NS1_11comp_targetILNS1_3genE2ELNS1_11target_archE906ELNS1_3gpuE6ELNS1_3repE0EEENS1_30default_config_static_selectorELNS0_4arch9wavefront6targetE1EEEvT1_
		.amdhsa_group_segment_fixed_size 0
		.amdhsa_private_segment_fixed_size 0
		.amdhsa_kernarg_size 56
		.amdhsa_user_sgpr_count 6
		.amdhsa_user_sgpr_private_segment_buffer 1
		.amdhsa_user_sgpr_dispatch_ptr 0
		.amdhsa_user_sgpr_queue_ptr 0
		.amdhsa_user_sgpr_kernarg_segment_ptr 1
		.amdhsa_user_sgpr_dispatch_id 0
		.amdhsa_user_sgpr_flat_scratch_init 0
		.amdhsa_user_sgpr_kernarg_preload_length 0
		.amdhsa_user_sgpr_kernarg_preload_offset 0
		.amdhsa_user_sgpr_private_segment_size 0
		.amdhsa_uses_dynamic_stack 0
		.amdhsa_system_sgpr_private_segment_wavefront_offset 0
		.amdhsa_system_sgpr_workgroup_id_x 1
		.amdhsa_system_sgpr_workgroup_id_y 0
		.amdhsa_system_sgpr_workgroup_id_z 0
		.amdhsa_system_sgpr_workgroup_info 0
		.amdhsa_system_vgpr_workitem_id 0
		.amdhsa_next_free_vgpr 1
		.amdhsa_next_free_sgpr 0
		.amdhsa_accum_offset 4
		.amdhsa_reserve_vcc 0
		.amdhsa_reserve_flat_scratch 0
		.amdhsa_float_round_mode_32 0
		.amdhsa_float_round_mode_16_64 0
		.amdhsa_float_denorm_mode_32 3
		.amdhsa_float_denorm_mode_16_64 3
		.amdhsa_dx10_clamp 1
		.amdhsa_ieee_mode 1
		.amdhsa_fp16_overflow 0
		.amdhsa_tg_split 0
		.amdhsa_exception_fp_ieee_invalid_op 0
		.amdhsa_exception_fp_denorm_src 0
		.amdhsa_exception_fp_ieee_div_zero 0
		.amdhsa_exception_fp_ieee_overflow 0
		.amdhsa_exception_fp_ieee_underflow 0
		.amdhsa_exception_fp_ieee_inexact 0
		.amdhsa_exception_int_div_zero 0
	.end_amdhsa_kernel
	.section	.text._ZN7rocprim17ROCPRIM_400000_NS6detail17trampoline_kernelINS0_14default_configENS1_35adjacent_difference_config_selectorILb0EtEEZNS1_24adjacent_difference_implIS3_Lb0ELb0EPKtPtN6thrust23THRUST_200600_302600_NS4plusItEEEE10hipError_tPvRmT2_T3_mT4_P12ihipStream_tbEUlT_E_NS1_11comp_targetILNS1_3genE2ELNS1_11target_archE906ELNS1_3gpuE6ELNS1_3repE0EEENS1_30default_config_static_selectorELNS0_4arch9wavefront6targetE1EEEvT1_,"axG",@progbits,_ZN7rocprim17ROCPRIM_400000_NS6detail17trampoline_kernelINS0_14default_configENS1_35adjacent_difference_config_selectorILb0EtEEZNS1_24adjacent_difference_implIS3_Lb0ELb0EPKtPtN6thrust23THRUST_200600_302600_NS4plusItEEEE10hipError_tPvRmT2_T3_mT4_P12ihipStream_tbEUlT_E_NS1_11comp_targetILNS1_3genE2ELNS1_11target_archE906ELNS1_3gpuE6ELNS1_3repE0EEENS1_30default_config_static_selectorELNS0_4arch9wavefront6targetE1EEEvT1_,comdat
.Lfunc_end546:
	.size	_ZN7rocprim17ROCPRIM_400000_NS6detail17trampoline_kernelINS0_14default_configENS1_35adjacent_difference_config_selectorILb0EtEEZNS1_24adjacent_difference_implIS3_Lb0ELb0EPKtPtN6thrust23THRUST_200600_302600_NS4plusItEEEE10hipError_tPvRmT2_T3_mT4_P12ihipStream_tbEUlT_E_NS1_11comp_targetILNS1_3genE2ELNS1_11target_archE906ELNS1_3gpuE6ELNS1_3repE0EEENS1_30default_config_static_selectorELNS0_4arch9wavefront6targetE1EEEvT1_, .Lfunc_end546-_ZN7rocprim17ROCPRIM_400000_NS6detail17trampoline_kernelINS0_14default_configENS1_35adjacent_difference_config_selectorILb0EtEEZNS1_24adjacent_difference_implIS3_Lb0ELb0EPKtPtN6thrust23THRUST_200600_302600_NS4plusItEEEE10hipError_tPvRmT2_T3_mT4_P12ihipStream_tbEUlT_E_NS1_11comp_targetILNS1_3genE2ELNS1_11target_archE906ELNS1_3gpuE6ELNS1_3repE0EEENS1_30default_config_static_selectorELNS0_4arch9wavefront6targetE1EEEvT1_
                                        ; -- End function
	.section	.AMDGPU.csdata,"",@progbits
; Kernel info:
; codeLenInByte = 0
; NumSgprs: 4
; NumVgprs: 0
; NumAgprs: 0
; TotalNumVgprs: 0
; ScratchSize: 0
; MemoryBound: 0
; FloatMode: 240
; IeeeMode: 1
; LDSByteSize: 0 bytes/workgroup (compile time only)
; SGPRBlocks: 0
; VGPRBlocks: 0
; NumSGPRsForWavesPerEU: 4
; NumVGPRsForWavesPerEU: 1
; AccumOffset: 4
; Occupancy: 8
; WaveLimiterHint : 0
; COMPUTE_PGM_RSRC2:SCRATCH_EN: 0
; COMPUTE_PGM_RSRC2:USER_SGPR: 6
; COMPUTE_PGM_RSRC2:TRAP_HANDLER: 0
; COMPUTE_PGM_RSRC2:TGID_X_EN: 1
; COMPUTE_PGM_RSRC2:TGID_Y_EN: 0
; COMPUTE_PGM_RSRC2:TGID_Z_EN: 0
; COMPUTE_PGM_RSRC2:TIDIG_COMP_CNT: 0
; COMPUTE_PGM_RSRC3_GFX90A:ACCUM_OFFSET: 0
; COMPUTE_PGM_RSRC3_GFX90A:TG_SPLIT: 0
	.section	.text._ZN7rocprim17ROCPRIM_400000_NS6detail17trampoline_kernelINS0_14default_configENS1_35adjacent_difference_config_selectorILb0EtEEZNS1_24adjacent_difference_implIS3_Lb0ELb0EPKtPtN6thrust23THRUST_200600_302600_NS4plusItEEEE10hipError_tPvRmT2_T3_mT4_P12ihipStream_tbEUlT_E_NS1_11comp_targetILNS1_3genE9ELNS1_11target_archE1100ELNS1_3gpuE3ELNS1_3repE0EEENS1_30default_config_static_selectorELNS0_4arch9wavefront6targetE1EEEvT1_,"axG",@progbits,_ZN7rocprim17ROCPRIM_400000_NS6detail17trampoline_kernelINS0_14default_configENS1_35adjacent_difference_config_selectorILb0EtEEZNS1_24adjacent_difference_implIS3_Lb0ELb0EPKtPtN6thrust23THRUST_200600_302600_NS4plusItEEEE10hipError_tPvRmT2_T3_mT4_P12ihipStream_tbEUlT_E_NS1_11comp_targetILNS1_3genE9ELNS1_11target_archE1100ELNS1_3gpuE3ELNS1_3repE0EEENS1_30default_config_static_selectorELNS0_4arch9wavefront6targetE1EEEvT1_,comdat
	.protected	_ZN7rocprim17ROCPRIM_400000_NS6detail17trampoline_kernelINS0_14default_configENS1_35adjacent_difference_config_selectorILb0EtEEZNS1_24adjacent_difference_implIS3_Lb0ELb0EPKtPtN6thrust23THRUST_200600_302600_NS4plusItEEEE10hipError_tPvRmT2_T3_mT4_P12ihipStream_tbEUlT_E_NS1_11comp_targetILNS1_3genE9ELNS1_11target_archE1100ELNS1_3gpuE3ELNS1_3repE0EEENS1_30default_config_static_selectorELNS0_4arch9wavefront6targetE1EEEvT1_ ; -- Begin function _ZN7rocprim17ROCPRIM_400000_NS6detail17trampoline_kernelINS0_14default_configENS1_35adjacent_difference_config_selectorILb0EtEEZNS1_24adjacent_difference_implIS3_Lb0ELb0EPKtPtN6thrust23THRUST_200600_302600_NS4plusItEEEE10hipError_tPvRmT2_T3_mT4_P12ihipStream_tbEUlT_E_NS1_11comp_targetILNS1_3genE9ELNS1_11target_archE1100ELNS1_3gpuE3ELNS1_3repE0EEENS1_30default_config_static_selectorELNS0_4arch9wavefront6targetE1EEEvT1_
	.globl	_ZN7rocprim17ROCPRIM_400000_NS6detail17trampoline_kernelINS0_14default_configENS1_35adjacent_difference_config_selectorILb0EtEEZNS1_24adjacent_difference_implIS3_Lb0ELb0EPKtPtN6thrust23THRUST_200600_302600_NS4plusItEEEE10hipError_tPvRmT2_T3_mT4_P12ihipStream_tbEUlT_E_NS1_11comp_targetILNS1_3genE9ELNS1_11target_archE1100ELNS1_3gpuE3ELNS1_3repE0EEENS1_30default_config_static_selectorELNS0_4arch9wavefront6targetE1EEEvT1_
	.p2align	8
	.type	_ZN7rocprim17ROCPRIM_400000_NS6detail17trampoline_kernelINS0_14default_configENS1_35adjacent_difference_config_selectorILb0EtEEZNS1_24adjacent_difference_implIS3_Lb0ELb0EPKtPtN6thrust23THRUST_200600_302600_NS4plusItEEEE10hipError_tPvRmT2_T3_mT4_P12ihipStream_tbEUlT_E_NS1_11comp_targetILNS1_3genE9ELNS1_11target_archE1100ELNS1_3gpuE3ELNS1_3repE0EEENS1_30default_config_static_selectorELNS0_4arch9wavefront6targetE1EEEvT1_,@function
_ZN7rocprim17ROCPRIM_400000_NS6detail17trampoline_kernelINS0_14default_configENS1_35adjacent_difference_config_selectorILb0EtEEZNS1_24adjacent_difference_implIS3_Lb0ELb0EPKtPtN6thrust23THRUST_200600_302600_NS4plusItEEEE10hipError_tPvRmT2_T3_mT4_P12ihipStream_tbEUlT_E_NS1_11comp_targetILNS1_3genE9ELNS1_11target_archE1100ELNS1_3gpuE3ELNS1_3repE0EEENS1_30default_config_static_selectorELNS0_4arch9wavefront6targetE1EEEvT1_: ; @_ZN7rocprim17ROCPRIM_400000_NS6detail17trampoline_kernelINS0_14default_configENS1_35adjacent_difference_config_selectorILb0EtEEZNS1_24adjacent_difference_implIS3_Lb0ELb0EPKtPtN6thrust23THRUST_200600_302600_NS4plusItEEEE10hipError_tPvRmT2_T3_mT4_P12ihipStream_tbEUlT_E_NS1_11comp_targetILNS1_3genE9ELNS1_11target_archE1100ELNS1_3gpuE3ELNS1_3repE0EEENS1_30default_config_static_selectorELNS0_4arch9wavefront6targetE1EEEvT1_
; %bb.0:
	.section	.rodata,"a",@progbits
	.p2align	6, 0x0
	.amdhsa_kernel _ZN7rocprim17ROCPRIM_400000_NS6detail17trampoline_kernelINS0_14default_configENS1_35adjacent_difference_config_selectorILb0EtEEZNS1_24adjacent_difference_implIS3_Lb0ELb0EPKtPtN6thrust23THRUST_200600_302600_NS4plusItEEEE10hipError_tPvRmT2_T3_mT4_P12ihipStream_tbEUlT_E_NS1_11comp_targetILNS1_3genE9ELNS1_11target_archE1100ELNS1_3gpuE3ELNS1_3repE0EEENS1_30default_config_static_selectorELNS0_4arch9wavefront6targetE1EEEvT1_
		.amdhsa_group_segment_fixed_size 0
		.amdhsa_private_segment_fixed_size 0
		.amdhsa_kernarg_size 56
		.amdhsa_user_sgpr_count 6
		.amdhsa_user_sgpr_private_segment_buffer 1
		.amdhsa_user_sgpr_dispatch_ptr 0
		.amdhsa_user_sgpr_queue_ptr 0
		.amdhsa_user_sgpr_kernarg_segment_ptr 1
		.amdhsa_user_sgpr_dispatch_id 0
		.amdhsa_user_sgpr_flat_scratch_init 0
		.amdhsa_user_sgpr_kernarg_preload_length 0
		.amdhsa_user_sgpr_kernarg_preload_offset 0
		.amdhsa_user_sgpr_private_segment_size 0
		.amdhsa_uses_dynamic_stack 0
		.amdhsa_system_sgpr_private_segment_wavefront_offset 0
		.amdhsa_system_sgpr_workgroup_id_x 1
		.amdhsa_system_sgpr_workgroup_id_y 0
		.amdhsa_system_sgpr_workgroup_id_z 0
		.amdhsa_system_sgpr_workgroup_info 0
		.amdhsa_system_vgpr_workitem_id 0
		.amdhsa_next_free_vgpr 1
		.amdhsa_next_free_sgpr 0
		.amdhsa_accum_offset 4
		.amdhsa_reserve_vcc 0
		.amdhsa_reserve_flat_scratch 0
		.amdhsa_float_round_mode_32 0
		.amdhsa_float_round_mode_16_64 0
		.amdhsa_float_denorm_mode_32 3
		.amdhsa_float_denorm_mode_16_64 3
		.amdhsa_dx10_clamp 1
		.amdhsa_ieee_mode 1
		.amdhsa_fp16_overflow 0
		.amdhsa_tg_split 0
		.amdhsa_exception_fp_ieee_invalid_op 0
		.amdhsa_exception_fp_denorm_src 0
		.amdhsa_exception_fp_ieee_div_zero 0
		.amdhsa_exception_fp_ieee_overflow 0
		.amdhsa_exception_fp_ieee_underflow 0
		.amdhsa_exception_fp_ieee_inexact 0
		.amdhsa_exception_int_div_zero 0
	.end_amdhsa_kernel
	.section	.text._ZN7rocprim17ROCPRIM_400000_NS6detail17trampoline_kernelINS0_14default_configENS1_35adjacent_difference_config_selectorILb0EtEEZNS1_24adjacent_difference_implIS3_Lb0ELb0EPKtPtN6thrust23THRUST_200600_302600_NS4plusItEEEE10hipError_tPvRmT2_T3_mT4_P12ihipStream_tbEUlT_E_NS1_11comp_targetILNS1_3genE9ELNS1_11target_archE1100ELNS1_3gpuE3ELNS1_3repE0EEENS1_30default_config_static_selectorELNS0_4arch9wavefront6targetE1EEEvT1_,"axG",@progbits,_ZN7rocprim17ROCPRIM_400000_NS6detail17trampoline_kernelINS0_14default_configENS1_35adjacent_difference_config_selectorILb0EtEEZNS1_24adjacent_difference_implIS3_Lb0ELb0EPKtPtN6thrust23THRUST_200600_302600_NS4plusItEEEE10hipError_tPvRmT2_T3_mT4_P12ihipStream_tbEUlT_E_NS1_11comp_targetILNS1_3genE9ELNS1_11target_archE1100ELNS1_3gpuE3ELNS1_3repE0EEENS1_30default_config_static_selectorELNS0_4arch9wavefront6targetE1EEEvT1_,comdat
.Lfunc_end547:
	.size	_ZN7rocprim17ROCPRIM_400000_NS6detail17trampoline_kernelINS0_14default_configENS1_35adjacent_difference_config_selectorILb0EtEEZNS1_24adjacent_difference_implIS3_Lb0ELb0EPKtPtN6thrust23THRUST_200600_302600_NS4plusItEEEE10hipError_tPvRmT2_T3_mT4_P12ihipStream_tbEUlT_E_NS1_11comp_targetILNS1_3genE9ELNS1_11target_archE1100ELNS1_3gpuE3ELNS1_3repE0EEENS1_30default_config_static_selectorELNS0_4arch9wavefront6targetE1EEEvT1_, .Lfunc_end547-_ZN7rocprim17ROCPRIM_400000_NS6detail17trampoline_kernelINS0_14default_configENS1_35adjacent_difference_config_selectorILb0EtEEZNS1_24adjacent_difference_implIS3_Lb0ELb0EPKtPtN6thrust23THRUST_200600_302600_NS4plusItEEEE10hipError_tPvRmT2_T3_mT4_P12ihipStream_tbEUlT_E_NS1_11comp_targetILNS1_3genE9ELNS1_11target_archE1100ELNS1_3gpuE3ELNS1_3repE0EEENS1_30default_config_static_selectorELNS0_4arch9wavefront6targetE1EEEvT1_
                                        ; -- End function
	.section	.AMDGPU.csdata,"",@progbits
; Kernel info:
; codeLenInByte = 0
; NumSgprs: 4
; NumVgprs: 0
; NumAgprs: 0
; TotalNumVgprs: 0
; ScratchSize: 0
; MemoryBound: 0
; FloatMode: 240
; IeeeMode: 1
; LDSByteSize: 0 bytes/workgroup (compile time only)
; SGPRBlocks: 0
; VGPRBlocks: 0
; NumSGPRsForWavesPerEU: 4
; NumVGPRsForWavesPerEU: 1
; AccumOffset: 4
; Occupancy: 8
; WaveLimiterHint : 0
; COMPUTE_PGM_RSRC2:SCRATCH_EN: 0
; COMPUTE_PGM_RSRC2:USER_SGPR: 6
; COMPUTE_PGM_RSRC2:TRAP_HANDLER: 0
; COMPUTE_PGM_RSRC2:TGID_X_EN: 1
; COMPUTE_PGM_RSRC2:TGID_Y_EN: 0
; COMPUTE_PGM_RSRC2:TGID_Z_EN: 0
; COMPUTE_PGM_RSRC2:TIDIG_COMP_CNT: 0
; COMPUTE_PGM_RSRC3_GFX90A:ACCUM_OFFSET: 0
; COMPUTE_PGM_RSRC3_GFX90A:TG_SPLIT: 0
	.section	.text._ZN7rocprim17ROCPRIM_400000_NS6detail17trampoline_kernelINS0_14default_configENS1_35adjacent_difference_config_selectorILb0EtEEZNS1_24adjacent_difference_implIS3_Lb0ELb0EPKtPtN6thrust23THRUST_200600_302600_NS4plusItEEEE10hipError_tPvRmT2_T3_mT4_P12ihipStream_tbEUlT_E_NS1_11comp_targetILNS1_3genE8ELNS1_11target_archE1030ELNS1_3gpuE2ELNS1_3repE0EEENS1_30default_config_static_selectorELNS0_4arch9wavefront6targetE1EEEvT1_,"axG",@progbits,_ZN7rocprim17ROCPRIM_400000_NS6detail17trampoline_kernelINS0_14default_configENS1_35adjacent_difference_config_selectorILb0EtEEZNS1_24adjacent_difference_implIS3_Lb0ELb0EPKtPtN6thrust23THRUST_200600_302600_NS4plusItEEEE10hipError_tPvRmT2_T3_mT4_P12ihipStream_tbEUlT_E_NS1_11comp_targetILNS1_3genE8ELNS1_11target_archE1030ELNS1_3gpuE2ELNS1_3repE0EEENS1_30default_config_static_selectorELNS0_4arch9wavefront6targetE1EEEvT1_,comdat
	.protected	_ZN7rocprim17ROCPRIM_400000_NS6detail17trampoline_kernelINS0_14default_configENS1_35adjacent_difference_config_selectorILb0EtEEZNS1_24adjacent_difference_implIS3_Lb0ELb0EPKtPtN6thrust23THRUST_200600_302600_NS4plusItEEEE10hipError_tPvRmT2_T3_mT4_P12ihipStream_tbEUlT_E_NS1_11comp_targetILNS1_3genE8ELNS1_11target_archE1030ELNS1_3gpuE2ELNS1_3repE0EEENS1_30default_config_static_selectorELNS0_4arch9wavefront6targetE1EEEvT1_ ; -- Begin function _ZN7rocprim17ROCPRIM_400000_NS6detail17trampoline_kernelINS0_14default_configENS1_35adjacent_difference_config_selectorILb0EtEEZNS1_24adjacent_difference_implIS3_Lb0ELb0EPKtPtN6thrust23THRUST_200600_302600_NS4plusItEEEE10hipError_tPvRmT2_T3_mT4_P12ihipStream_tbEUlT_E_NS1_11comp_targetILNS1_3genE8ELNS1_11target_archE1030ELNS1_3gpuE2ELNS1_3repE0EEENS1_30default_config_static_selectorELNS0_4arch9wavefront6targetE1EEEvT1_
	.globl	_ZN7rocprim17ROCPRIM_400000_NS6detail17trampoline_kernelINS0_14default_configENS1_35adjacent_difference_config_selectorILb0EtEEZNS1_24adjacent_difference_implIS3_Lb0ELb0EPKtPtN6thrust23THRUST_200600_302600_NS4plusItEEEE10hipError_tPvRmT2_T3_mT4_P12ihipStream_tbEUlT_E_NS1_11comp_targetILNS1_3genE8ELNS1_11target_archE1030ELNS1_3gpuE2ELNS1_3repE0EEENS1_30default_config_static_selectorELNS0_4arch9wavefront6targetE1EEEvT1_
	.p2align	8
	.type	_ZN7rocprim17ROCPRIM_400000_NS6detail17trampoline_kernelINS0_14default_configENS1_35adjacent_difference_config_selectorILb0EtEEZNS1_24adjacent_difference_implIS3_Lb0ELb0EPKtPtN6thrust23THRUST_200600_302600_NS4plusItEEEE10hipError_tPvRmT2_T3_mT4_P12ihipStream_tbEUlT_E_NS1_11comp_targetILNS1_3genE8ELNS1_11target_archE1030ELNS1_3gpuE2ELNS1_3repE0EEENS1_30default_config_static_selectorELNS0_4arch9wavefront6targetE1EEEvT1_,@function
_ZN7rocprim17ROCPRIM_400000_NS6detail17trampoline_kernelINS0_14default_configENS1_35adjacent_difference_config_selectorILb0EtEEZNS1_24adjacent_difference_implIS3_Lb0ELb0EPKtPtN6thrust23THRUST_200600_302600_NS4plusItEEEE10hipError_tPvRmT2_T3_mT4_P12ihipStream_tbEUlT_E_NS1_11comp_targetILNS1_3genE8ELNS1_11target_archE1030ELNS1_3gpuE2ELNS1_3repE0EEENS1_30default_config_static_selectorELNS0_4arch9wavefront6targetE1EEEvT1_: ; @_ZN7rocprim17ROCPRIM_400000_NS6detail17trampoline_kernelINS0_14default_configENS1_35adjacent_difference_config_selectorILb0EtEEZNS1_24adjacent_difference_implIS3_Lb0ELb0EPKtPtN6thrust23THRUST_200600_302600_NS4plusItEEEE10hipError_tPvRmT2_T3_mT4_P12ihipStream_tbEUlT_E_NS1_11comp_targetILNS1_3genE8ELNS1_11target_archE1030ELNS1_3gpuE2ELNS1_3repE0EEENS1_30default_config_static_selectorELNS0_4arch9wavefront6targetE1EEEvT1_
; %bb.0:
	.section	.rodata,"a",@progbits
	.p2align	6, 0x0
	.amdhsa_kernel _ZN7rocprim17ROCPRIM_400000_NS6detail17trampoline_kernelINS0_14default_configENS1_35adjacent_difference_config_selectorILb0EtEEZNS1_24adjacent_difference_implIS3_Lb0ELb0EPKtPtN6thrust23THRUST_200600_302600_NS4plusItEEEE10hipError_tPvRmT2_T3_mT4_P12ihipStream_tbEUlT_E_NS1_11comp_targetILNS1_3genE8ELNS1_11target_archE1030ELNS1_3gpuE2ELNS1_3repE0EEENS1_30default_config_static_selectorELNS0_4arch9wavefront6targetE1EEEvT1_
		.amdhsa_group_segment_fixed_size 0
		.amdhsa_private_segment_fixed_size 0
		.amdhsa_kernarg_size 56
		.amdhsa_user_sgpr_count 6
		.amdhsa_user_sgpr_private_segment_buffer 1
		.amdhsa_user_sgpr_dispatch_ptr 0
		.amdhsa_user_sgpr_queue_ptr 0
		.amdhsa_user_sgpr_kernarg_segment_ptr 1
		.amdhsa_user_sgpr_dispatch_id 0
		.amdhsa_user_sgpr_flat_scratch_init 0
		.amdhsa_user_sgpr_kernarg_preload_length 0
		.amdhsa_user_sgpr_kernarg_preload_offset 0
		.amdhsa_user_sgpr_private_segment_size 0
		.amdhsa_uses_dynamic_stack 0
		.amdhsa_system_sgpr_private_segment_wavefront_offset 0
		.amdhsa_system_sgpr_workgroup_id_x 1
		.amdhsa_system_sgpr_workgroup_id_y 0
		.amdhsa_system_sgpr_workgroup_id_z 0
		.amdhsa_system_sgpr_workgroup_info 0
		.amdhsa_system_vgpr_workitem_id 0
		.amdhsa_next_free_vgpr 1
		.amdhsa_next_free_sgpr 0
		.amdhsa_accum_offset 4
		.amdhsa_reserve_vcc 0
		.amdhsa_reserve_flat_scratch 0
		.amdhsa_float_round_mode_32 0
		.amdhsa_float_round_mode_16_64 0
		.amdhsa_float_denorm_mode_32 3
		.amdhsa_float_denorm_mode_16_64 3
		.amdhsa_dx10_clamp 1
		.amdhsa_ieee_mode 1
		.amdhsa_fp16_overflow 0
		.amdhsa_tg_split 0
		.amdhsa_exception_fp_ieee_invalid_op 0
		.amdhsa_exception_fp_denorm_src 0
		.amdhsa_exception_fp_ieee_div_zero 0
		.amdhsa_exception_fp_ieee_overflow 0
		.amdhsa_exception_fp_ieee_underflow 0
		.amdhsa_exception_fp_ieee_inexact 0
		.amdhsa_exception_int_div_zero 0
	.end_amdhsa_kernel
	.section	.text._ZN7rocprim17ROCPRIM_400000_NS6detail17trampoline_kernelINS0_14default_configENS1_35adjacent_difference_config_selectorILb0EtEEZNS1_24adjacent_difference_implIS3_Lb0ELb0EPKtPtN6thrust23THRUST_200600_302600_NS4plusItEEEE10hipError_tPvRmT2_T3_mT4_P12ihipStream_tbEUlT_E_NS1_11comp_targetILNS1_3genE8ELNS1_11target_archE1030ELNS1_3gpuE2ELNS1_3repE0EEENS1_30default_config_static_selectorELNS0_4arch9wavefront6targetE1EEEvT1_,"axG",@progbits,_ZN7rocprim17ROCPRIM_400000_NS6detail17trampoline_kernelINS0_14default_configENS1_35adjacent_difference_config_selectorILb0EtEEZNS1_24adjacent_difference_implIS3_Lb0ELb0EPKtPtN6thrust23THRUST_200600_302600_NS4plusItEEEE10hipError_tPvRmT2_T3_mT4_P12ihipStream_tbEUlT_E_NS1_11comp_targetILNS1_3genE8ELNS1_11target_archE1030ELNS1_3gpuE2ELNS1_3repE0EEENS1_30default_config_static_selectorELNS0_4arch9wavefront6targetE1EEEvT1_,comdat
.Lfunc_end548:
	.size	_ZN7rocprim17ROCPRIM_400000_NS6detail17trampoline_kernelINS0_14default_configENS1_35adjacent_difference_config_selectorILb0EtEEZNS1_24adjacent_difference_implIS3_Lb0ELb0EPKtPtN6thrust23THRUST_200600_302600_NS4plusItEEEE10hipError_tPvRmT2_T3_mT4_P12ihipStream_tbEUlT_E_NS1_11comp_targetILNS1_3genE8ELNS1_11target_archE1030ELNS1_3gpuE2ELNS1_3repE0EEENS1_30default_config_static_selectorELNS0_4arch9wavefront6targetE1EEEvT1_, .Lfunc_end548-_ZN7rocprim17ROCPRIM_400000_NS6detail17trampoline_kernelINS0_14default_configENS1_35adjacent_difference_config_selectorILb0EtEEZNS1_24adjacent_difference_implIS3_Lb0ELb0EPKtPtN6thrust23THRUST_200600_302600_NS4plusItEEEE10hipError_tPvRmT2_T3_mT4_P12ihipStream_tbEUlT_E_NS1_11comp_targetILNS1_3genE8ELNS1_11target_archE1030ELNS1_3gpuE2ELNS1_3repE0EEENS1_30default_config_static_selectorELNS0_4arch9wavefront6targetE1EEEvT1_
                                        ; -- End function
	.section	.AMDGPU.csdata,"",@progbits
; Kernel info:
; codeLenInByte = 0
; NumSgprs: 4
; NumVgprs: 0
; NumAgprs: 0
; TotalNumVgprs: 0
; ScratchSize: 0
; MemoryBound: 0
; FloatMode: 240
; IeeeMode: 1
; LDSByteSize: 0 bytes/workgroup (compile time only)
; SGPRBlocks: 0
; VGPRBlocks: 0
; NumSGPRsForWavesPerEU: 4
; NumVGPRsForWavesPerEU: 1
; AccumOffset: 4
; Occupancy: 8
; WaveLimiterHint : 0
; COMPUTE_PGM_RSRC2:SCRATCH_EN: 0
; COMPUTE_PGM_RSRC2:USER_SGPR: 6
; COMPUTE_PGM_RSRC2:TRAP_HANDLER: 0
; COMPUTE_PGM_RSRC2:TGID_X_EN: 1
; COMPUTE_PGM_RSRC2:TGID_Y_EN: 0
; COMPUTE_PGM_RSRC2:TGID_Z_EN: 0
; COMPUTE_PGM_RSRC2:TIDIG_COMP_CNT: 0
; COMPUTE_PGM_RSRC3_GFX90A:ACCUM_OFFSET: 0
; COMPUTE_PGM_RSRC3_GFX90A:TG_SPLIT: 0
	.section	.text._ZN7rocprim17ROCPRIM_400000_NS6detail17trampoline_kernelINS0_14default_configENS1_25transform_config_selectorItLb0EEEZNS1_14transform_implILb0ES3_S5_NS0_18transform_iteratorINS0_17counting_iteratorImlEEZNS1_24adjacent_difference_implIS3_Lb1ELb0EPKtPtN6thrust23THRUST_200600_302600_NS4plusItEEEE10hipError_tPvRmT2_T3_mT4_P12ihipStream_tbEUlmE_tEESD_NS0_8identityIvEEEESI_SL_SM_mSN_SP_bEUlT_E_NS1_11comp_targetILNS1_3genE0ELNS1_11target_archE4294967295ELNS1_3gpuE0ELNS1_3repE0EEENS1_30default_config_static_selectorELNS0_4arch9wavefront6targetE1EEEvT1_,"axG",@progbits,_ZN7rocprim17ROCPRIM_400000_NS6detail17trampoline_kernelINS0_14default_configENS1_25transform_config_selectorItLb0EEEZNS1_14transform_implILb0ES3_S5_NS0_18transform_iteratorINS0_17counting_iteratorImlEEZNS1_24adjacent_difference_implIS3_Lb1ELb0EPKtPtN6thrust23THRUST_200600_302600_NS4plusItEEEE10hipError_tPvRmT2_T3_mT4_P12ihipStream_tbEUlmE_tEESD_NS0_8identityIvEEEESI_SL_SM_mSN_SP_bEUlT_E_NS1_11comp_targetILNS1_3genE0ELNS1_11target_archE4294967295ELNS1_3gpuE0ELNS1_3repE0EEENS1_30default_config_static_selectorELNS0_4arch9wavefront6targetE1EEEvT1_,comdat
	.protected	_ZN7rocprim17ROCPRIM_400000_NS6detail17trampoline_kernelINS0_14default_configENS1_25transform_config_selectorItLb0EEEZNS1_14transform_implILb0ES3_S5_NS0_18transform_iteratorINS0_17counting_iteratorImlEEZNS1_24adjacent_difference_implIS3_Lb1ELb0EPKtPtN6thrust23THRUST_200600_302600_NS4plusItEEEE10hipError_tPvRmT2_T3_mT4_P12ihipStream_tbEUlmE_tEESD_NS0_8identityIvEEEESI_SL_SM_mSN_SP_bEUlT_E_NS1_11comp_targetILNS1_3genE0ELNS1_11target_archE4294967295ELNS1_3gpuE0ELNS1_3repE0EEENS1_30default_config_static_selectorELNS0_4arch9wavefront6targetE1EEEvT1_ ; -- Begin function _ZN7rocprim17ROCPRIM_400000_NS6detail17trampoline_kernelINS0_14default_configENS1_25transform_config_selectorItLb0EEEZNS1_14transform_implILb0ES3_S5_NS0_18transform_iteratorINS0_17counting_iteratorImlEEZNS1_24adjacent_difference_implIS3_Lb1ELb0EPKtPtN6thrust23THRUST_200600_302600_NS4plusItEEEE10hipError_tPvRmT2_T3_mT4_P12ihipStream_tbEUlmE_tEESD_NS0_8identityIvEEEESI_SL_SM_mSN_SP_bEUlT_E_NS1_11comp_targetILNS1_3genE0ELNS1_11target_archE4294967295ELNS1_3gpuE0ELNS1_3repE0EEENS1_30default_config_static_selectorELNS0_4arch9wavefront6targetE1EEEvT1_
	.globl	_ZN7rocprim17ROCPRIM_400000_NS6detail17trampoline_kernelINS0_14default_configENS1_25transform_config_selectorItLb0EEEZNS1_14transform_implILb0ES3_S5_NS0_18transform_iteratorINS0_17counting_iteratorImlEEZNS1_24adjacent_difference_implIS3_Lb1ELb0EPKtPtN6thrust23THRUST_200600_302600_NS4plusItEEEE10hipError_tPvRmT2_T3_mT4_P12ihipStream_tbEUlmE_tEESD_NS0_8identityIvEEEESI_SL_SM_mSN_SP_bEUlT_E_NS1_11comp_targetILNS1_3genE0ELNS1_11target_archE4294967295ELNS1_3gpuE0ELNS1_3repE0EEENS1_30default_config_static_selectorELNS0_4arch9wavefront6targetE1EEEvT1_
	.p2align	8
	.type	_ZN7rocprim17ROCPRIM_400000_NS6detail17trampoline_kernelINS0_14default_configENS1_25transform_config_selectorItLb0EEEZNS1_14transform_implILb0ES3_S5_NS0_18transform_iteratorINS0_17counting_iteratorImlEEZNS1_24adjacent_difference_implIS3_Lb1ELb0EPKtPtN6thrust23THRUST_200600_302600_NS4plusItEEEE10hipError_tPvRmT2_T3_mT4_P12ihipStream_tbEUlmE_tEESD_NS0_8identityIvEEEESI_SL_SM_mSN_SP_bEUlT_E_NS1_11comp_targetILNS1_3genE0ELNS1_11target_archE4294967295ELNS1_3gpuE0ELNS1_3repE0EEENS1_30default_config_static_selectorELNS0_4arch9wavefront6targetE1EEEvT1_,@function
_ZN7rocprim17ROCPRIM_400000_NS6detail17trampoline_kernelINS0_14default_configENS1_25transform_config_selectorItLb0EEEZNS1_14transform_implILb0ES3_S5_NS0_18transform_iteratorINS0_17counting_iteratorImlEEZNS1_24adjacent_difference_implIS3_Lb1ELb0EPKtPtN6thrust23THRUST_200600_302600_NS4plusItEEEE10hipError_tPvRmT2_T3_mT4_P12ihipStream_tbEUlmE_tEESD_NS0_8identityIvEEEESI_SL_SM_mSN_SP_bEUlT_E_NS1_11comp_targetILNS1_3genE0ELNS1_11target_archE4294967295ELNS1_3gpuE0ELNS1_3repE0EEENS1_30default_config_static_selectorELNS0_4arch9wavefront6targetE1EEEvT1_: ; @_ZN7rocprim17ROCPRIM_400000_NS6detail17trampoline_kernelINS0_14default_configENS1_25transform_config_selectorItLb0EEEZNS1_14transform_implILb0ES3_S5_NS0_18transform_iteratorINS0_17counting_iteratorImlEEZNS1_24adjacent_difference_implIS3_Lb1ELb0EPKtPtN6thrust23THRUST_200600_302600_NS4plusItEEEE10hipError_tPvRmT2_T3_mT4_P12ihipStream_tbEUlmE_tEESD_NS0_8identityIvEEEESI_SL_SM_mSN_SP_bEUlT_E_NS1_11comp_targetILNS1_3genE0ELNS1_11target_archE4294967295ELNS1_3gpuE0ELNS1_3repE0EEENS1_30default_config_static_selectorELNS0_4arch9wavefront6targetE1EEEvT1_
; %bb.0:
	.section	.rodata,"a",@progbits
	.p2align	6, 0x0
	.amdhsa_kernel _ZN7rocprim17ROCPRIM_400000_NS6detail17trampoline_kernelINS0_14default_configENS1_25transform_config_selectorItLb0EEEZNS1_14transform_implILb0ES3_S5_NS0_18transform_iteratorINS0_17counting_iteratorImlEEZNS1_24adjacent_difference_implIS3_Lb1ELb0EPKtPtN6thrust23THRUST_200600_302600_NS4plusItEEEE10hipError_tPvRmT2_T3_mT4_P12ihipStream_tbEUlmE_tEESD_NS0_8identityIvEEEESI_SL_SM_mSN_SP_bEUlT_E_NS1_11comp_targetILNS1_3genE0ELNS1_11target_archE4294967295ELNS1_3gpuE0ELNS1_3repE0EEENS1_30default_config_static_selectorELNS0_4arch9wavefront6targetE1EEEvT1_
		.amdhsa_group_segment_fixed_size 0
		.amdhsa_private_segment_fixed_size 0
		.amdhsa_kernarg_size 56
		.amdhsa_user_sgpr_count 6
		.amdhsa_user_sgpr_private_segment_buffer 1
		.amdhsa_user_sgpr_dispatch_ptr 0
		.amdhsa_user_sgpr_queue_ptr 0
		.amdhsa_user_sgpr_kernarg_segment_ptr 1
		.amdhsa_user_sgpr_dispatch_id 0
		.amdhsa_user_sgpr_flat_scratch_init 0
		.amdhsa_user_sgpr_kernarg_preload_length 0
		.amdhsa_user_sgpr_kernarg_preload_offset 0
		.amdhsa_user_sgpr_private_segment_size 0
		.amdhsa_uses_dynamic_stack 0
		.amdhsa_system_sgpr_private_segment_wavefront_offset 0
		.amdhsa_system_sgpr_workgroup_id_x 1
		.amdhsa_system_sgpr_workgroup_id_y 0
		.amdhsa_system_sgpr_workgroup_id_z 0
		.amdhsa_system_sgpr_workgroup_info 0
		.amdhsa_system_vgpr_workitem_id 0
		.amdhsa_next_free_vgpr 1
		.amdhsa_next_free_sgpr 0
		.amdhsa_accum_offset 4
		.amdhsa_reserve_vcc 0
		.amdhsa_reserve_flat_scratch 0
		.amdhsa_float_round_mode_32 0
		.amdhsa_float_round_mode_16_64 0
		.amdhsa_float_denorm_mode_32 3
		.amdhsa_float_denorm_mode_16_64 3
		.amdhsa_dx10_clamp 1
		.amdhsa_ieee_mode 1
		.amdhsa_fp16_overflow 0
		.amdhsa_tg_split 0
		.amdhsa_exception_fp_ieee_invalid_op 0
		.amdhsa_exception_fp_denorm_src 0
		.amdhsa_exception_fp_ieee_div_zero 0
		.amdhsa_exception_fp_ieee_overflow 0
		.amdhsa_exception_fp_ieee_underflow 0
		.amdhsa_exception_fp_ieee_inexact 0
		.amdhsa_exception_int_div_zero 0
	.end_amdhsa_kernel
	.section	.text._ZN7rocprim17ROCPRIM_400000_NS6detail17trampoline_kernelINS0_14default_configENS1_25transform_config_selectorItLb0EEEZNS1_14transform_implILb0ES3_S5_NS0_18transform_iteratorINS0_17counting_iteratorImlEEZNS1_24adjacent_difference_implIS3_Lb1ELb0EPKtPtN6thrust23THRUST_200600_302600_NS4plusItEEEE10hipError_tPvRmT2_T3_mT4_P12ihipStream_tbEUlmE_tEESD_NS0_8identityIvEEEESI_SL_SM_mSN_SP_bEUlT_E_NS1_11comp_targetILNS1_3genE0ELNS1_11target_archE4294967295ELNS1_3gpuE0ELNS1_3repE0EEENS1_30default_config_static_selectorELNS0_4arch9wavefront6targetE1EEEvT1_,"axG",@progbits,_ZN7rocprim17ROCPRIM_400000_NS6detail17trampoline_kernelINS0_14default_configENS1_25transform_config_selectorItLb0EEEZNS1_14transform_implILb0ES3_S5_NS0_18transform_iteratorINS0_17counting_iteratorImlEEZNS1_24adjacent_difference_implIS3_Lb1ELb0EPKtPtN6thrust23THRUST_200600_302600_NS4plusItEEEE10hipError_tPvRmT2_T3_mT4_P12ihipStream_tbEUlmE_tEESD_NS0_8identityIvEEEESI_SL_SM_mSN_SP_bEUlT_E_NS1_11comp_targetILNS1_3genE0ELNS1_11target_archE4294967295ELNS1_3gpuE0ELNS1_3repE0EEENS1_30default_config_static_selectorELNS0_4arch9wavefront6targetE1EEEvT1_,comdat
.Lfunc_end549:
	.size	_ZN7rocprim17ROCPRIM_400000_NS6detail17trampoline_kernelINS0_14default_configENS1_25transform_config_selectorItLb0EEEZNS1_14transform_implILb0ES3_S5_NS0_18transform_iteratorINS0_17counting_iteratorImlEEZNS1_24adjacent_difference_implIS3_Lb1ELb0EPKtPtN6thrust23THRUST_200600_302600_NS4plusItEEEE10hipError_tPvRmT2_T3_mT4_P12ihipStream_tbEUlmE_tEESD_NS0_8identityIvEEEESI_SL_SM_mSN_SP_bEUlT_E_NS1_11comp_targetILNS1_3genE0ELNS1_11target_archE4294967295ELNS1_3gpuE0ELNS1_3repE0EEENS1_30default_config_static_selectorELNS0_4arch9wavefront6targetE1EEEvT1_, .Lfunc_end549-_ZN7rocprim17ROCPRIM_400000_NS6detail17trampoline_kernelINS0_14default_configENS1_25transform_config_selectorItLb0EEEZNS1_14transform_implILb0ES3_S5_NS0_18transform_iteratorINS0_17counting_iteratorImlEEZNS1_24adjacent_difference_implIS3_Lb1ELb0EPKtPtN6thrust23THRUST_200600_302600_NS4plusItEEEE10hipError_tPvRmT2_T3_mT4_P12ihipStream_tbEUlmE_tEESD_NS0_8identityIvEEEESI_SL_SM_mSN_SP_bEUlT_E_NS1_11comp_targetILNS1_3genE0ELNS1_11target_archE4294967295ELNS1_3gpuE0ELNS1_3repE0EEENS1_30default_config_static_selectorELNS0_4arch9wavefront6targetE1EEEvT1_
                                        ; -- End function
	.section	.AMDGPU.csdata,"",@progbits
; Kernel info:
; codeLenInByte = 0
; NumSgprs: 4
; NumVgprs: 0
; NumAgprs: 0
; TotalNumVgprs: 0
; ScratchSize: 0
; MemoryBound: 0
; FloatMode: 240
; IeeeMode: 1
; LDSByteSize: 0 bytes/workgroup (compile time only)
; SGPRBlocks: 0
; VGPRBlocks: 0
; NumSGPRsForWavesPerEU: 4
; NumVGPRsForWavesPerEU: 1
; AccumOffset: 4
; Occupancy: 8
; WaveLimiterHint : 0
; COMPUTE_PGM_RSRC2:SCRATCH_EN: 0
; COMPUTE_PGM_RSRC2:USER_SGPR: 6
; COMPUTE_PGM_RSRC2:TRAP_HANDLER: 0
; COMPUTE_PGM_RSRC2:TGID_X_EN: 1
; COMPUTE_PGM_RSRC2:TGID_Y_EN: 0
; COMPUTE_PGM_RSRC2:TGID_Z_EN: 0
; COMPUTE_PGM_RSRC2:TIDIG_COMP_CNT: 0
; COMPUTE_PGM_RSRC3_GFX90A:ACCUM_OFFSET: 0
; COMPUTE_PGM_RSRC3_GFX90A:TG_SPLIT: 0
	.section	.text._ZN7rocprim17ROCPRIM_400000_NS6detail17trampoline_kernelINS0_14default_configENS1_25transform_config_selectorItLb0EEEZNS1_14transform_implILb0ES3_S5_NS0_18transform_iteratorINS0_17counting_iteratorImlEEZNS1_24adjacent_difference_implIS3_Lb1ELb0EPKtPtN6thrust23THRUST_200600_302600_NS4plusItEEEE10hipError_tPvRmT2_T3_mT4_P12ihipStream_tbEUlmE_tEESD_NS0_8identityIvEEEESI_SL_SM_mSN_SP_bEUlT_E_NS1_11comp_targetILNS1_3genE5ELNS1_11target_archE942ELNS1_3gpuE9ELNS1_3repE0EEENS1_30default_config_static_selectorELNS0_4arch9wavefront6targetE1EEEvT1_,"axG",@progbits,_ZN7rocprim17ROCPRIM_400000_NS6detail17trampoline_kernelINS0_14default_configENS1_25transform_config_selectorItLb0EEEZNS1_14transform_implILb0ES3_S5_NS0_18transform_iteratorINS0_17counting_iteratorImlEEZNS1_24adjacent_difference_implIS3_Lb1ELb0EPKtPtN6thrust23THRUST_200600_302600_NS4plusItEEEE10hipError_tPvRmT2_T3_mT4_P12ihipStream_tbEUlmE_tEESD_NS0_8identityIvEEEESI_SL_SM_mSN_SP_bEUlT_E_NS1_11comp_targetILNS1_3genE5ELNS1_11target_archE942ELNS1_3gpuE9ELNS1_3repE0EEENS1_30default_config_static_selectorELNS0_4arch9wavefront6targetE1EEEvT1_,comdat
	.protected	_ZN7rocprim17ROCPRIM_400000_NS6detail17trampoline_kernelINS0_14default_configENS1_25transform_config_selectorItLb0EEEZNS1_14transform_implILb0ES3_S5_NS0_18transform_iteratorINS0_17counting_iteratorImlEEZNS1_24adjacent_difference_implIS3_Lb1ELb0EPKtPtN6thrust23THRUST_200600_302600_NS4plusItEEEE10hipError_tPvRmT2_T3_mT4_P12ihipStream_tbEUlmE_tEESD_NS0_8identityIvEEEESI_SL_SM_mSN_SP_bEUlT_E_NS1_11comp_targetILNS1_3genE5ELNS1_11target_archE942ELNS1_3gpuE9ELNS1_3repE0EEENS1_30default_config_static_selectorELNS0_4arch9wavefront6targetE1EEEvT1_ ; -- Begin function _ZN7rocprim17ROCPRIM_400000_NS6detail17trampoline_kernelINS0_14default_configENS1_25transform_config_selectorItLb0EEEZNS1_14transform_implILb0ES3_S5_NS0_18transform_iteratorINS0_17counting_iteratorImlEEZNS1_24adjacent_difference_implIS3_Lb1ELb0EPKtPtN6thrust23THRUST_200600_302600_NS4plusItEEEE10hipError_tPvRmT2_T3_mT4_P12ihipStream_tbEUlmE_tEESD_NS0_8identityIvEEEESI_SL_SM_mSN_SP_bEUlT_E_NS1_11comp_targetILNS1_3genE5ELNS1_11target_archE942ELNS1_3gpuE9ELNS1_3repE0EEENS1_30default_config_static_selectorELNS0_4arch9wavefront6targetE1EEEvT1_
	.globl	_ZN7rocprim17ROCPRIM_400000_NS6detail17trampoline_kernelINS0_14default_configENS1_25transform_config_selectorItLb0EEEZNS1_14transform_implILb0ES3_S5_NS0_18transform_iteratorINS0_17counting_iteratorImlEEZNS1_24adjacent_difference_implIS3_Lb1ELb0EPKtPtN6thrust23THRUST_200600_302600_NS4plusItEEEE10hipError_tPvRmT2_T3_mT4_P12ihipStream_tbEUlmE_tEESD_NS0_8identityIvEEEESI_SL_SM_mSN_SP_bEUlT_E_NS1_11comp_targetILNS1_3genE5ELNS1_11target_archE942ELNS1_3gpuE9ELNS1_3repE0EEENS1_30default_config_static_selectorELNS0_4arch9wavefront6targetE1EEEvT1_
	.p2align	8
	.type	_ZN7rocprim17ROCPRIM_400000_NS6detail17trampoline_kernelINS0_14default_configENS1_25transform_config_selectorItLb0EEEZNS1_14transform_implILb0ES3_S5_NS0_18transform_iteratorINS0_17counting_iteratorImlEEZNS1_24adjacent_difference_implIS3_Lb1ELb0EPKtPtN6thrust23THRUST_200600_302600_NS4plusItEEEE10hipError_tPvRmT2_T3_mT4_P12ihipStream_tbEUlmE_tEESD_NS0_8identityIvEEEESI_SL_SM_mSN_SP_bEUlT_E_NS1_11comp_targetILNS1_3genE5ELNS1_11target_archE942ELNS1_3gpuE9ELNS1_3repE0EEENS1_30default_config_static_selectorELNS0_4arch9wavefront6targetE1EEEvT1_,@function
_ZN7rocprim17ROCPRIM_400000_NS6detail17trampoline_kernelINS0_14default_configENS1_25transform_config_selectorItLb0EEEZNS1_14transform_implILb0ES3_S5_NS0_18transform_iteratorINS0_17counting_iteratorImlEEZNS1_24adjacent_difference_implIS3_Lb1ELb0EPKtPtN6thrust23THRUST_200600_302600_NS4plusItEEEE10hipError_tPvRmT2_T3_mT4_P12ihipStream_tbEUlmE_tEESD_NS0_8identityIvEEEESI_SL_SM_mSN_SP_bEUlT_E_NS1_11comp_targetILNS1_3genE5ELNS1_11target_archE942ELNS1_3gpuE9ELNS1_3repE0EEENS1_30default_config_static_selectorELNS0_4arch9wavefront6targetE1EEEvT1_: ; @_ZN7rocprim17ROCPRIM_400000_NS6detail17trampoline_kernelINS0_14default_configENS1_25transform_config_selectorItLb0EEEZNS1_14transform_implILb0ES3_S5_NS0_18transform_iteratorINS0_17counting_iteratorImlEEZNS1_24adjacent_difference_implIS3_Lb1ELb0EPKtPtN6thrust23THRUST_200600_302600_NS4plusItEEEE10hipError_tPvRmT2_T3_mT4_P12ihipStream_tbEUlmE_tEESD_NS0_8identityIvEEEESI_SL_SM_mSN_SP_bEUlT_E_NS1_11comp_targetILNS1_3genE5ELNS1_11target_archE942ELNS1_3gpuE9ELNS1_3repE0EEENS1_30default_config_static_selectorELNS0_4arch9wavefront6targetE1EEEvT1_
; %bb.0:
	.section	.rodata,"a",@progbits
	.p2align	6, 0x0
	.amdhsa_kernel _ZN7rocprim17ROCPRIM_400000_NS6detail17trampoline_kernelINS0_14default_configENS1_25transform_config_selectorItLb0EEEZNS1_14transform_implILb0ES3_S5_NS0_18transform_iteratorINS0_17counting_iteratorImlEEZNS1_24adjacent_difference_implIS3_Lb1ELb0EPKtPtN6thrust23THRUST_200600_302600_NS4plusItEEEE10hipError_tPvRmT2_T3_mT4_P12ihipStream_tbEUlmE_tEESD_NS0_8identityIvEEEESI_SL_SM_mSN_SP_bEUlT_E_NS1_11comp_targetILNS1_3genE5ELNS1_11target_archE942ELNS1_3gpuE9ELNS1_3repE0EEENS1_30default_config_static_selectorELNS0_4arch9wavefront6targetE1EEEvT1_
		.amdhsa_group_segment_fixed_size 0
		.amdhsa_private_segment_fixed_size 0
		.amdhsa_kernarg_size 56
		.amdhsa_user_sgpr_count 6
		.amdhsa_user_sgpr_private_segment_buffer 1
		.amdhsa_user_sgpr_dispatch_ptr 0
		.amdhsa_user_sgpr_queue_ptr 0
		.amdhsa_user_sgpr_kernarg_segment_ptr 1
		.amdhsa_user_sgpr_dispatch_id 0
		.amdhsa_user_sgpr_flat_scratch_init 0
		.amdhsa_user_sgpr_kernarg_preload_length 0
		.amdhsa_user_sgpr_kernarg_preload_offset 0
		.amdhsa_user_sgpr_private_segment_size 0
		.amdhsa_uses_dynamic_stack 0
		.amdhsa_system_sgpr_private_segment_wavefront_offset 0
		.amdhsa_system_sgpr_workgroup_id_x 1
		.amdhsa_system_sgpr_workgroup_id_y 0
		.amdhsa_system_sgpr_workgroup_id_z 0
		.amdhsa_system_sgpr_workgroup_info 0
		.amdhsa_system_vgpr_workitem_id 0
		.amdhsa_next_free_vgpr 1
		.amdhsa_next_free_sgpr 0
		.amdhsa_accum_offset 4
		.amdhsa_reserve_vcc 0
		.amdhsa_reserve_flat_scratch 0
		.amdhsa_float_round_mode_32 0
		.amdhsa_float_round_mode_16_64 0
		.amdhsa_float_denorm_mode_32 3
		.amdhsa_float_denorm_mode_16_64 3
		.amdhsa_dx10_clamp 1
		.amdhsa_ieee_mode 1
		.amdhsa_fp16_overflow 0
		.amdhsa_tg_split 0
		.amdhsa_exception_fp_ieee_invalid_op 0
		.amdhsa_exception_fp_denorm_src 0
		.amdhsa_exception_fp_ieee_div_zero 0
		.amdhsa_exception_fp_ieee_overflow 0
		.amdhsa_exception_fp_ieee_underflow 0
		.amdhsa_exception_fp_ieee_inexact 0
		.amdhsa_exception_int_div_zero 0
	.end_amdhsa_kernel
	.section	.text._ZN7rocprim17ROCPRIM_400000_NS6detail17trampoline_kernelINS0_14default_configENS1_25transform_config_selectorItLb0EEEZNS1_14transform_implILb0ES3_S5_NS0_18transform_iteratorINS0_17counting_iteratorImlEEZNS1_24adjacent_difference_implIS3_Lb1ELb0EPKtPtN6thrust23THRUST_200600_302600_NS4plusItEEEE10hipError_tPvRmT2_T3_mT4_P12ihipStream_tbEUlmE_tEESD_NS0_8identityIvEEEESI_SL_SM_mSN_SP_bEUlT_E_NS1_11comp_targetILNS1_3genE5ELNS1_11target_archE942ELNS1_3gpuE9ELNS1_3repE0EEENS1_30default_config_static_selectorELNS0_4arch9wavefront6targetE1EEEvT1_,"axG",@progbits,_ZN7rocprim17ROCPRIM_400000_NS6detail17trampoline_kernelINS0_14default_configENS1_25transform_config_selectorItLb0EEEZNS1_14transform_implILb0ES3_S5_NS0_18transform_iteratorINS0_17counting_iteratorImlEEZNS1_24adjacent_difference_implIS3_Lb1ELb0EPKtPtN6thrust23THRUST_200600_302600_NS4plusItEEEE10hipError_tPvRmT2_T3_mT4_P12ihipStream_tbEUlmE_tEESD_NS0_8identityIvEEEESI_SL_SM_mSN_SP_bEUlT_E_NS1_11comp_targetILNS1_3genE5ELNS1_11target_archE942ELNS1_3gpuE9ELNS1_3repE0EEENS1_30default_config_static_selectorELNS0_4arch9wavefront6targetE1EEEvT1_,comdat
.Lfunc_end550:
	.size	_ZN7rocprim17ROCPRIM_400000_NS6detail17trampoline_kernelINS0_14default_configENS1_25transform_config_selectorItLb0EEEZNS1_14transform_implILb0ES3_S5_NS0_18transform_iteratorINS0_17counting_iteratorImlEEZNS1_24adjacent_difference_implIS3_Lb1ELb0EPKtPtN6thrust23THRUST_200600_302600_NS4plusItEEEE10hipError_tPvRmT2_T3_mT4_P12ihipStream_tbEUlmE_tEESD_NS0_8identityIvEEEESI_SL_SM_mSN_SP_bEUlT_E_NS1_11comp_targetILNS1_3genE5ELNS1_11target_archE942ELNS1_3gpuE9ELNS1_3repE0EEENS1_30default_config_static_selectorELNS0_4arch9wavefront6targetE1EEEvT1_, .Lfunc_end550-_ZN7rocprim17ROCPRIM_400000_NS6detail17trampoline_kernelINS0_14default_configENS1_25transform_config_selectorItLb0EEEZNS1_14transform_implILb0ES3_S5_NS0_18transform_iteratorINS0_17counting_iteratorImlEEZNS1_24adjacent_difference_implIS3_Lb1ELb0EPKtPtN6thrust23THRUST_200600_302600_NS4plusItEEEE10hipError_tPvRmT2_T3_mT4_P12ihipStream_tbEUlmE_tEESD_NS0_8identityIvEEEESI_SL_SM_mSN_SP_bEUlT_E_NS1_11comp_targetILNS1_3genE5ELNS1_11target_archE942ELNS1_3gpuE9ELNS1_3repE0EEENS1_30default_config_static_selectorELNS0_4arch9wavefront6targetE1EEEvT1_
                                        ; -- End function
	.section	.AMDGPU.csdata,"",@progbits
; Kernel info:
; codeLenInByte = 0
; NumSgprs: 4
; NumVgprs: 0
; NumAgprs: 0
; TotalNumVgprs: 0
; ScratchSize: 0
; MemoryBound: 0
; FloatMode: 240
; IeeeMode: 1
; LDSByteSize: 0 bytes/workgroup (compile time only)
; SGPRBlocks: 0
; VGPRBlocks: 0
; NumSGPRsForWavesPerEU: 4
; NumVGPRsForWavesPerEU: 1
; AccumOffset: 4
; Occupancy: 8
; WaveLimiterHint : 0
; COMPUTE_PGM_RSRC2:SCRATCH_EN: 0
; COMPUTE_PGM_RSRC2:USER_SGPR: 6
; COMPUTE_PGM_RSRC2:TRAP_HANDLER: 0
; COMPUTE_PGM_RSRC2:TGID_X_EN: 1
; COMPUTE_PGM_RSRC2:TGID_Y_EN: 0
; COMPUTE_PGM_RSRC2:TGID_Z_EN: 0
; COMPUTE_PGM_RSRC2:TIDIG_COMP_CNT: 0
; COMPUTE_PGM_RSRC3_GFX90A:ACCUM_OFFSET: 0
; COMPUTE_PGM_RSRC3_GFX90A:TG_SPLIT: 0
	.section	.text._ZN7rocprim17ROCPRIM_400000_NS6detail17trampoline_kernelINS0_14default_configENS1_25transform_config_selectorItLb0EEEZNS1_14transform_implILb0ES3_S5_NS0_18transform_iteratorINS0_17counting_iteratorImlEEZNS1_24adjacent_difference_implIS3_Lb1ELb0EPKtPtN6thrust23THRUST_200600_302600_NS4plusItEEEE10hipError_tPvRmT2_T3_mT4_P12ihipStream_tbEUlmE_tEESD_NS0_8identityIvEEEESI_SL_SM_mSN_SP_bEUlT_E_NS1_11comp_targetILNS1_3genE4ELNS1_11target_archE910ELNS1_3gpuE8ELNS1_3repE0EEENS1_30default_config_static_selectorELNS0_4arch9wavefront6targetE1EEEvT1_,"axG",@progbits,_ZN7rocprim17ROCPRIM_400000_NS6detail17trampoline_kernelINS0_14default_configENS1_25transform_config_selectorItLb0EEEZNS1_14transform_implILb0ES3_S5_NS0_18transform_iteratorINS0_17counting_iteratorImlEEZNS1_24adjacent_difference_implIS3_Lb1ELb0EPKtPtN6thrust23THRUST_200600_302600_NS4plusItEEEE10hipError_tPvRmT2_T3_mT4_P12ihipStream_tbEUlmE_tEESD_NS0_8identityIvEEEESI_SL_SM_mSN_SP_bEUlT_E_NS1_11comp_targetILNS1_3genE4ELNS1_11target_archE910ELNS1_3gpuE8ELNS1_3repE0EEENS1_30default_config_static_selectorELNS0_4arch9wavefront6targetE1EEEvT1_,comdat
	.protected	_ZN7rocprim17ROCPRIM_400000_NS6detail17trampoline_kernelINS0_14default_configENS1_25transform_config_selectorItLb0EEEZNS1_14transform_implILb0ES3_S5_NS0_18transform_iteratorINS0_17counting_iteratorImlEEZNS1_24adjacent_difference_implIS3_Lb1ELb0EPKtPtN6thrust23THRUST_200600_302600_NS4plusItEEEE10hipError_tPvRmT2_T3_mT4_P12ihipStream_tbEUlmE_tEESD_NS0_8identityIvEEEESI_SL_SM_mSN_SP_bEUlT_E_NS1_11comp_targetILNS1_3genE4ELNS1_11target_archE910ELNS1_3gpuE8ELNS1_3repE0EEENS1_30default_config_static_selectorELNS0_4arch9wavefront6targetE1EEEvT1_ ; -- Begin function _ZN7rocprim17ROCPRIM_400000_NS6detail17trampoline_kernelINS0_14default_configENS1_25transform_config_selectorItLb0EEEZNS1_14transform_implILb0ES3_S5_NS0_18transform_iteratorINS0_17counting_iteratorImlEEZNS1_24adjacent_difference_implIS3_Lb1ELb0EPKtPtN6thrust23THRUST_200600_302600_NS4plusItEEEE10hipError_tPvRmT2_T3_mT4_P12ihipStream_tbEUlmE_tEESD_NS0_8identityIvEEEESI_SL_SM_mSN_SP_bEUlT_E_NS1_11comp_targetILNS1_3genE4ELNS1_11target_archE910ELNS1_3gpuE8ELNS1_3repE0EEENS1_30default_config_static_selectorELNS0_4arch9wavefront6targetE1EEEvT1_
	.globl	_ZN7rocprim17ROCPRIM_400000_NS6detail17trampoline_kernelINS0_14default_configENS1_25transform_config_selectorItLb0EEEZNS1_14transform_implILb0ES3_S5_NS0_18transform_iteratorINS0_17counting_iteratorImlEEZNS1_24adjacent_difference_implIS3_Lb1ELb0EPKtPtN6thrust23THRUST_200600_302600_NS4plusItEEEE10hipError_tPvRmT2_T3_mT4_P12ihipStream_tbEUlmE_tEESD_NS0_8identityIvEEEESI_SL_SM_mSN_SP_bEUlT_E_NS1_11comp_targetILNS1_3genE4ELNS1_11target_archE910ELNS1_3gpuE8ELNS1_3repE0EEENS1_30default_config_static_selectorELNS0_4arch9wavefront6targetE1EEEvT1_
	.p2align	8
	.type	_ZN7rocprim17ROCPRIM_400000_NS6detail17trampoline_kernelINS0_14default_configENS1_25transform_config_selectorItLb0EEEZNS1_14transform_implILb0ES3_S5_NS0_18transform_iteratorINS0_17counting_iteratorImlEEZNS1_24adjacent_difference_implIS3_Lb1ELb0EPKtPtN6thrust23THRUST_200600_302600_NS4plusItEEEE10hipError_tPvRmT2_T3_mT4_P12ihipStream_tbEUlmE_tEESD_NS0_8identityIvEEEESI_SL_SM_mSN_SP_bEUlT_E_NS1_11comp_targetILNS1_3genE4ELNS1_11target_archE910ELNS1_3gpuE8ELNS1_3repE0EEENS1_30default_config_static_selectorELNS0_4arch9wavefront6targetE1EEEvT1_,@function
_ZN7rocprim17ROCPRIM_400000_NS6detail17trampoline_kernelINS0_14default_configENS1_25transform_config_selectorItLb0EEEZNS1_14transform_implILb0ES3_S5_NS0_18transform_iteratorINS0_17counting_iteratorImlEEZNS1_24adjacent_difference_implIS3_Lb1ELb0EPKtPtN6thrust23THRUST_200600_302600_NS4plusItEEEE10hipError_tPvRmT2_T3_mT4_P12ihipStream_tbEUlmE_tEESD_NS0_8identityIvEEEESI_SL_SM_mSN_SP_bEUlT_E_NS1_11comp_targetILNS1_3genE4ELNS1_11target_archE910ELNS1_3gpuE8ELNS1_3repE0EEENS1_30default_config_static_selectorELNS0_4arch9wavefront6targetE1EEEvT1_: ; @_ZN7rocprim17ROCPRIM_400000_NS6detail17trampoline_kernelINS0_14default_configENS1_25transform_config_selectorItLb0EEEZNS1_14transform_implILb0ES3_S5_NS0_18transform_iteratorINS0_17counting_iteratorImlEEZNS1_24adjacent_difference_implIS3_Lb1ELb0EPKtPtN6thrust23THRUST_200600_302600_NS4plusItEEEE10hipError_tPvRmT2_T3_mT4_P12ihipStream_tbEUlmE_tEESD_NS0_8identityIvEEEESI_SL_SM_mSN_SP_bEUlT_E_NS1_11comp_targetILNS1_3genE4ELNS1_11target_archE910ELNS1_3gpuE8ELNS1_3repE0EEENS1_30default_config_static_selectorELNS0_4arch9wavefront6targetE1EEEvT1_
; %bb.0:
	s_load_dwordx4 s[0:3], s[4:5], 0x18
	s_load_dwordx2 s[8:9], s[4:5], 0x28
	s_load_dwordx4 s[16:19], s[4:5], 0x0
	s_load_dword s22, s[4:5], 0x10
	s_waitcnt lgkmcnt(0)
	s_load_dword s3, s[4:5], 0x38
                                        ; kill: killed $sgpr4_sgpr5
	s_lshl_b64 s[4:5], s[0:1], 1
	s_add_u32 s26, s8, s4
	s_addc_u32 s27, s9, s5
	s_lshl_b32 s20, s6, 9
	s_waitcnt lgkmcnt(0)
	s_add_i32 s3, s3, -1
	s_add_u32 s4, s16, s20
	s_addc_u32 s5, s17, 0
	s_add_u32 s28, s4, s0
	s_addc_u32 s29, s5, s1
	s_mov_b32 s21, 0
	s_cmp_lg_u32 s6, s3
	v_lshlrev_b32_e32 v1, 1, v0
	s_cbranch_scc0 .LBB551_2
; %bb.1:
	v_mov_b32_e32 v2, s29
	v_add_co_u32_e32 v3, vcc, s28, v0
	v_addc_co_u32_e32 v5, vcc, 0, v2, vcc
	v_mad_u64_u32 v[2:3], s[0:1], v3, s22, 0
	v_mov_b32_e32 v4, v3
	v_mad_u64_u32 v[4:5], s[0:1], v5, s22, v[4:5]
	v_mov_b32_e32 v3, v4
	v_lshlrev_b64 v[2:3], 1, v[2:3]
	s_mov_b32 s23, s21
	v_mov_b32_e32 v4, s19
	v_add_co_u32_e32 v2, vcc, s18, v2
	v_addc_co_u32_e32 v3, vcc, v4, v3, vcc
	s_lshl_b64 s[0:1], s[22:23], 7
	v_mov_b32_e32 v12, s1
	v_add_co_u32_e32 v4, vcc, s0, v2
	v_addc_co_u32_e32 v5, vcc, v3, v12, vcc
	v_add_co_u32_e32 v6, vcc, s0, v4
	v_addc_co_u32_e32 v7, vcc, v5, v12, vcc
	;; [unrolled: 2-line block ×4, first 2 shown]
	global_load_ushort v13, v[2:3], off
	global_load_ushort v14, v[4:5], off
	;; [unrolled: 1-line block ×5, first 2 shown]
	v_add_co_u32_e32 v2, vcc, s0, v10
	v_addc_co_u32_e32 v3, vcc, v11, v12, vcc
	global_load_ushort v4, v[2:3], off
	v_add_co_u32_e32 v2, vcc, s0, v2
	v_addc_co_u32_e32 v3, vcc, v3, v12, vcc
	global_load_ushort v5, v[2:3], off
	;; [unrolled: 3-line block ×3, first 2 shown]
	s_lshl_b64 s[4:5], s[20:21], 1
	s_add_u32 s4, s26, s4
	s_addc_u32 s5, s27, s5
	v_mov_b32_e32 v3, s5
	v_add_co_u32_e32 v6, vcc, s4, v1
	v_addc_co_u32_e32 v7, vcc, 0, v3, vcc
	s_mov_b64 s[16:17], -1
	s_waitcnt vmcnt(7)
	global_store_short v1, v13, s[4:5]
	s_waitcnt vmcnt(7)
	global_store_short v1, v14, s[4:5] offset:128
	s_waitcnt vmcnt(7)
	global_store_short v1, v15, s[4:5] offset:256
	;; [unrolled: 2-line block ×6, first 2 shown]
	s_cbranch_execz .LBB551_3
	s_branch .LBB551_32
.LBB551_2:
	s_mov_b64 s[16:17], 0
                                        ; implicit-def: $vgpr2
                                        ; implicit-def: $vgpr6_vgpr7
.LBB551_3:
	s_sub_i32 s23, s2, s20
	v_cmp_gt_u32_e32 vcc, s23, v0
                                        ; implicit-def: $vgpr2_vgpr3_vgpr4_vgpr5
	s_and_saveexec_b64 s[2:3], vcc
	s_cbranch_execz .LBB551_5
; %bb.4:
	s_waitcnt vmcnt(7)
	v_mov_b32_e32 v2, s29
	v_add_co_u32_e64 v3, s[0:1], s28, v0
	v_addc_co_u32_e64 v5, s[0:1], 0, v2, s[0:1]
	v_mad_u64_u32 v[2:3], s[0:1], v3, s22, 0
	v_mov_b32_e32 v4, v3
	v_mad_u64_u32 v[4:5], s[0:1], v5, s22, v[4:5]
	v_mov_b32_e32 v3, v4
	v_lshlrev_b64 v[2:3], 1, v[2:3]
	v_mov_b32_e32 v4, s19
	v_add_co_u32_e64 v2, s[0:1], s18, v2
	v_addc_co_u32_e64 v3, s[0:1], v4, v3, s[0:1]
	global_load_ushort v2, v[2:3], off
.LBB551_5:
	s_or_b64 exec, exec, s[2:3]
	v_or_b32_e32 v6, 64, v0
	v_cmp_gt_u32_e64 s[0:1], s23, v6
	s_and_saveexec_b64 s[4:5], s[0:1]
	s_cbranch_execz .LBB551_7
; %bb.6:
	v_mov_b32_e32 v7, s29
	v_add_co_u32_e64 v6, s[2:3], s28, v6
	v_addc_co_u32_e64 v9, s[2:3], 0, v7, s[2:3]
	v_mad_u64_u32 v[6:7], s[2:3], v6, s22, 0
	v_mov_b32_e32 v8, v7
	v_mad_u64_u32 v[8:9], s[2:3], v9, s22, v[8:9]
	v_mov_b32_e32 v7, v8
	v_lshlrev_b64 v[6:7], 1, v[6:7]
	v_mov_b32_e32 v8, s19
	v_add_co_u32_e64 v6, s[2:3], s18, v6
	v_addc_co_u32_e64 v7, s[2:3], v8, v7, s[2:3]
	global_load_ushort v6, v[6:7], off
	s_mov_b32 s2, 0x5040100
	s_waitcnt vmcnt(0)
	v_perm_b32 v2, v6, v2, s2
.LBB551_7:
	s_or_b64 exec, exec, s[4:5]
	v_or_b32_e32 v6, 0x80, v0
	v_cmp_gt_u32_e64 s[2:3], s23, v6
	s_and_saveexec_b64 s[6:7], s[2:3]
	s_cbranch_execz .LBB551_9
; %bb.8:
	v_mov_b32_e32 v7, s29
	v_add_co_u32_e64 v6, s[4:5], s28, v6
	v_addc_co_u32_e64 v9, s[4:5], 0, v7, s[4:5]
	v_mad_u64_u32 v[6:7], s[4:5], v6, s22, 0
	v_mov_b32_e32 v8, v7
	v_mad_u64_u32 v[8:9], s[4:5], v9, s22, v[8:9]
	v_mov_b32_e32 v7, v8
	v_lshlrev_b64 v[6:7], 1, v[6:7]
	v_mov_b32_e32 v8, s19
	v_add_co_u32_e64 v6, s[4:5], s18, v6
	v_addc_co_u32_e64 v7, s[4:5], v8, v7, s[4:5]
	global_load_ushort v6, v[6:7], off
	s_mov_b32 s4, 0xffff
	s_waitcnt vmcnt(0)
	v_bfi_b32 v3, s4, v6, v3
.LBB551_9:
	s_or_b64 exec, exec, s[6:7]
	v_or_b32_e32 v6, 0xc0, v0
	v_cmp_gt_u32_e64 s[4:5], s23, v6
	s_and_saveexec_b64 s[8:9], s[4:5]
	s_cbranch_execz .LBB551_11
; %bb.10:
	v_mov_b32_e32 v7, s29
	v_add_co_u32_e64 v6, s[6:7], s28, v6
	v_addc_co_u32_e64 v9, s[6:7], 0, v7, s[6:7]
	v_mad_u64_u32 v[6:7], s[6:7], v6, s22, 0
	v_mov_b32_e32 v8, v7
	v_mad_u64_u32 v[8:9], s[6:7], v9, s22, v[8:9]
	v_mov_b32_e32 v7, v8
	v_lshlrev_b64 v[6:7], 1, v[6:7]
	v_mov_b32_e32 v8, s19
	v_add_co_u32_e64 v6, s[6:7], s18, v6
	v_addc_co_u32_e64 v7, s[6:7], v8, v7, s[6:7]
	global_load_ushort v6, v[6:7], off
	s_mov_b32 s6, 0x5040100
	s_waitcnt vmcnt(0)
	v_perm_b32 v3, v6, v3, s6
.LBB551_11:
	s_or_b64 exec, exec, s[8:9]
	v_or_b32_e32 v6, 0x100, v0
	v_cmp_gt_u32_e64 s[6:7], s23, v6
	s_and_saveexec_b64 s[10:11], s[6:7]
	s_cbranch_execz .LBB551_13
; %bb.12:
	v_mov_b32_e32 v7, s29
	v_add_co_u32_e64 v6, s[8:9], s28, v6
	v_addc_co_u32_e64 v9, s[8:9], 0, v7, s[8:9]
	v_mad_u64_u32 v[6:7], s[8:9], v6, s22, 0
	v_mov_b32_e32 v8, v7
	v_mad_u64_u32 v[8:9], s[8:9], v9, s22, v[8:9]
	v_mov_b32_e32 v7, v8
	v_lshlrev_b64 v[6:7], 1, v[6:7]
	v_mov_b32_e32 v8, s19
	v_add_co_u32_e64 v6, s[8:9], s18, v6
	v_addc_co_u32_e64 v7, s[8:9], v8, v7, s[8:9]
	global_load_ushort v6, v[6:7], off
	s_mov_b32 s8, 0xffff
	s_waitcnt vmcnt(0)
	v_bfi_b32 v4, s8, v6, v4
.LBB551_13:
	;; [unrolled: 44-line block ×3, first 2 shown]
	s_or_b64 exec, exec, s[14:15]
	v_or_b32_e32 v0, 0x1c0, v0
	v_cmp_gt_u32_e64 s[12:13], s23, v0
	s_and_saveexec_b64 s[24:25], s[12:13]
	s_cbranch_execz .LBB551_19
; %bb.18:
	v_mov_b32_e32 v6, s29
	v_add_co_u32_e64 v0, s[14:15], s28, v0
	v_addc_co_u32_e64 v8, s[14:15], 0, v6, s[14:15]
	v_mad_u64_u32 v[6:7], s[14:15], v0, s22, 0
	v_mov_b32_e32 v0, v7
	v_mad_u64_u32 v[8:9], s[14:15], v8, s22, v[0:1]
	v_mov_b32_e32 v7, v8
	v_lshlrev_b64 v[6:7], 1, v[6:7]
	v_mov_b32_e32 v0, s19
	v_add_co_u32_e64 v6, s[14:15], s18, v6
	v_addc_co_u32_e64 v7, s[14:15], v0, v7, s[14:15]
	global_load_ushort v0, v[6:7], off
	s_mov_b32 s14, 0x5040100
	s_waitcnt vmcnt(0)
	v_perm_b32 v5, v0, v5, s14
.LBB551_19:
	s_or_b64 exec, exec, s[24:25]
	s_lshl_b64 s[14:15], s[20:21], 1
	s_add_u32 s14, s26, s14
	s_addc_u32 s15, s27, s15
	v_mov_b32_e32 v0, s15
	v_add_co_u32_e64 v6, s[14:15], s14, v1
	v_addc_co_u32_e64 v7, s[14:15], 0, v0, s[14:15]
	s_and_saveexec_b64 s[14:15], vcc
	s_cbranch_execnz .LBB551_35
; %bb.20:
	s_or_b64 exec, exec, s[14:15]
	s_and_saveexec_b64 s[14:15], s[0:1]
	s_cbranch_execnz .LBB551_36
.LBB551_21:
	s_or_b64 exec, exec, s[14:15]
	s_mov_b32 s14, 0xffff
	s_and_saveexec_b64 s[0:1], s[2:3]
	s_cbranch_execz .LBB551_23
.LBB551_22:
	global_store_short v[6:7], v3, off offset:256
.LBB551_23:
	s_or_b64 exec, exec, s[0:1]
	v_bfi_b32 v0, s14, v3, v3
	v_cndmask_b32_e64 v0, v0, v3, s[4:5]
	s_and_saveexec_b64 s[0:1], s[4:5]
	s_cbranch_execz .LBB551_25
; %bb.24:
	global_store_short_d16_hi v[6:7], v0, off offset:384
.LBB551_25:
	s_or_b64 exec, exec, s[0:1]
	s_mov_b32 s2, 0xffff
	v_cndmask_b32_e64 v0, v4, v4, s[6:7]
	s_and_saveexec_b64 s[0:1], s[6:7]
	s_cbranch_execz .LBB551_27
; %bb.26:
	global_store_short v[6:7], v0, off offset:512
.LBB551_27:
	s_or_b64 exec, exec, s[0:1]
	v_bfi_b32 v0, s2, v0, v4
	v_cndmask_b32_e64 v0, v0, v4, s[8:9]
	s_and_saveexec_b64 s[0:1], s[8:9]
	s_cbranch_execnz .LBB551_37
; %bb.28:
	s_or_b64 exec, exec, s[0:1]
	s_and_saveexec_b64 s[0:1], s[10:11]
	s_cbranch_execnz .LBB551_38
.LBB551_29:
	s_or_b64 exec, exec, s[0:1]
                                        ; implicit-def: $vgpr2
	s_and_saveexec_b64 s[0:1], s[12:13]
	s_cbranch_execz .LBB551_31
.LBB551_30:
	v_cndmask_b32_e64 v0, v5, v5, s[12:13]
	s_waitcnt vmcnt(0)
	v_lshrrev_b32_e32 v2, 16, v0
	s_or_b64 s[16:17], s[16:17], exec
.LBB551_31:
	s_or_b64 exec, exec, s[0:1]
.LBB551_32:
	s_and_saveexec_b64 s[0:1], s[16:17]
	s_cbranch_execnz .LBB551_34
; %bb.33:
	s_endpgm
.LBB551_34:
	s_waitcnt vmcnt(0)
	global_store_short v[6:7], v2, off offset:896
	s_endpgm
.LBB551_35:
	s_waitcnt vmcnt(0)
	global_store_short v[6:7], v2, off
	s_or_b64 exec, exec, s[14:15]
	s_and_saveexec_b64 s[14:15], s[0:1]
	s_cbranch_execz .LBB551_21
.LBB551_36:
	s_waitcnt vmcnt(0)
	global_store_short_d16_hi v[6:7], v2, off offset:128
	s_or_b64 exec, exec, s[14:15]
	s_mov_b32 s14, 0xffff
	s_and_saveexec_b64 s[0:1], s[2:3]
	s_cbranch_execnz .LBB551_22
	s_branch .LBB551_23
.LBB551_37:
	global_store_short_d16_hi v[6:7], v0, off offset:640
	s_or_b64 exec, exec, s[0:1]
	s_and_saveexec_b64 s[0:1], s[10:11]
	s_cbranch_execz .LBB551_29
.LBB551_38:
	v_cndmask_b32_e64 v0, v5, v5, s[10:11]
	global_store_short v[6:7], v0, off offset:768
	s_or_b64 exec, exec, s[0:1]
                                        ; implicit-def: $vgpr2
	s_and_saveexec_b64 s[0:1], s[12:13]
	s_cbranch_execnz .LBB551_30
	s_branch .LBB551_31
	.section	.rodata,"a",@progbits
	.p2align	6, 0x0
	.amdhsa_kernel _ZN7rocprim17ROCPRIM_400000_NS6detail17trampoline_kernelINS0_14default_configENS1_25transform_config_selectorItLb0EEEZNS1_14transform_implILb0ES3_S5_NS0_18transform_iteratorINS0_17counting_iteratorImlEEZNS1_24adjacent_difference_implIS3_Lb1ELb0EPKtPtN6thrust23THRUST_200600_302600_NS4plusItEEEE10hipError_tPvRmT2_T3_mT4_P12ihipStream_tbEUlmE_tEESD_NS0_8identityIvEEEESI_SL_SM_mSN_SP_bEUlT_E_NS1_11comp_targetILNS1_3genE4ELNS1_11target_archE910ELNS1_3gpuE8ELNS1_3repE0EEENS1_30default_config_static_selectorELNS0_4arch9wavefront6targetE1EEEvT1_
		.amdhsa_group_segment_fixed_size 0
		.amdhsa_private_segment_fixed_size 0
		.amdhsa_kernarg_size 312
		.amdhsa_user_sgpr_count 6
		.amdhsa_user_sgpr_private_segment_buffer 1
		.amdhsa_user_sgpr_dispatch_ptr 0
		.amdhsa_user_sgpr_queue_ptr 0
		.amdhsa_user_sgpr_kernarg_segment_ptr 1
		.amdhsa_user_sgpr_dispatch_id 0
		.amdhsa_user_sgpr_flat_scratch_init 0
		.amdhsa_user_sgpr_kernarg_preload_length 0
		.amdhsa_user_sgpr_kernarg_preload_offset 0
		.amdhsa_user_sgpr_private_segment_size 0
		.amdhsa_uses_dynamic_stack 0
		.amdhsa_system_sgpr_private_segment_wavefront_offset 0
		.amdhsa_system_sgpr_workgroup_id_x 1
		.amdhsa_system_sgpr_workgroup_id_y 0
		.amdhsa_system_sgpr_workgroup_id_z 0
		.amdhsa_system_sgpr_workgroup_info 0
		.amdhsa_system_vgpr_workitem_id 0
		.amdhsa_next_free_vgpr 18
		.amdhsa_next_free_sgpr 30
		.amdhsa_accum_offset 20
		.amdhsa_reserve_vcc 1
		.amdhsa_reserve_flat_scratch 0
		.amdhsa_float_round_mode_32 0
		.amdhsa_float_round_mode_16_64 0
		.amdhsa_float_denorm_mode_32 3
		.amdhsa_float_denorm_mode_16_64 3
		.amdhsa_dx10_clamp 1
		.amdhsa_ieee_mode 1
		.amdhsa_fp16_overflow 0
		.amdhsa_tg_split 0
		.amdhsa_exception_fp_ieee_invalid_op 0
		.amdhsa_exception_fp_denorm_src 0
		.amdhsa_exception_fp_ieee_div_zero 0
		.amdhsa_exception_fp_ieee_overflow 0
		.amdhsa_exception_fp_ieee_underflow 0
		.amdhsa_exception_fp_ieee_inexact 0
		.amdhsa_exception_int_div_zero 0
	.end_amdhsa_kernel
	.section	.text._ZN7rocprim17ROCPRIM_400000_NS6detail17trampoline_kernelINS0_14default_configENS1_25transform_config_selectorItLb0EEEZNS1_14transform_implILb0ES3_S5_NS0_18transform_iteratorINS0_17counting_iteratorImlEEZNS1_24adjacent_difference_implIS3_Lb1ELb0EPKtPtN6thrust23THRUST_200600_302600_NS4plusItEEEE10hipError_tPvRmT2_T3_mT4_P12ihipStream_tbEUlmE_tEESD_NS0_8identityIvEEEESI_SL_SM_mSN_SP_bEUlT_E_NS1_11comp_targetILNS1_3genE4ELNS1_11target_archE910ELNS1_3gpuE8ELNS1_3repE0EEENS1_30default_config_static_selectorELNS0_4arch9wavefront6targetE1EEEvT1_,"axG",@progbits,_ZN7rocprim17ROCPRIM_400000_NS6detail17trampoline_kernelINS0_14default_configENS1_25transform_config_selectorItLb0EEEZNS1_14transform_implILb0ES3_S5_NS0_18transform_iteratorINS0_17counting_iteratorImlEEZNS1_24adjacent_difference_implIS3_Lb1ELb0EPKtPtN6thrust23THRUST_200600_302600_NS4plusItEEEE10hipError_tPvRmT2_T3_mT4_P12ihipStream_tbEUlmE_tEESD_NS0_8identityIvEEEESI_SL_SM_mSN_SP_bEUlT_E_NS1_11comp_targetILNS1_3genE4ELNS1_11target_archE910ELNS1_3gpuE8ELNS1_3repE0EEENS1_30default_config_static_selectorELNS0_4arch9wavefront6targetE1EEEvT1_,comdat
.Lfunc_end551:
	.size	_ZN7rocprim17ROCPRIM_400000_NS6detail17trampoline_kernelINS0_14default_configENS1_25transform_config_selectorItLb0EEEZNS1_14transform_implILb0ES3_S5_NS0_18transform_iteratorINS0_17counting_iteratorImlEEZNS1_24adjacent_difference_implIS3_Lb1ELb0EPKtPtN6thrust23THRUST_200600_302600_NS4plusItEEEE10hipError_tPvRmT2_T3_mT4_P12ihipStream_tbEUlmE_tEESD_NS0_8identityIvEEEESI_SL_SM_mSN_SP_bEUlT_E_NS1_11comp_targetILNS1_3genE4ELNS1_11target_archE910ELNS1_3gpuE8ELNS1_3repE0EEENS1_30default_config_static_selectorELNS0_4arch9wavefront6targetE1EEEvT1_, .Lfunc_end551-_ZN7rocprim17ROCPRIM_400000_NS6detail17trampoline_kernelINS0_14default_configENS1_25transform_config_selectorItLb0EEEZNS1_14transform_implILb0ES3_S5_NS0_18transform_iteratorINS0_17counting_iteratorImlEEZNS1_24adjacent_difference_implIS3_Lb1ELb0EPKtPtN6thrust23THRUST_200600_302600_NS4plusItEEEE10hipError_tPvRmT2_T3_mT4_P12ihipStream_tbEUlmE_tEESD_NS0_8identityIvEEEESI_SL_SM_mSN_SP_bEUlT_E_NS1_11comp_targetILNS1_3genE4ELNS1_11target_archE910ELNS1_3gpuE8ELNS1_3repE0EEENS1_30default_config_static_selectorELNS0_4arch9wavefront6targetE1EEEvT1_
                                        ; -- End function
	.section	.AMDGPU.csdata,"",@progbits
; Kernel info:
; codeLenInByte = 1776
; NumSgprs: 34
; NumVgprs: 18
; NumAgprs: 0
; TotalNumVgprs: 18
; ScratchSize: 0
; MemoryBound: 0
; FloatMode: 240
; IeeeMode: 1
; LDSByteSize: 0 bytes/workgroup (compile time only)
; SGPRBlocks: 4
; VGPRBlocks: 2
; NumSGPRsForWavesPerEU: 34
; NumVGPRsForWavesPerEU: 18
; AccumOffset: 20
; Occupancy: 8
; WaveLimiterHint : 1
; COMPUTE_PGM_RSRC2:SCRATCH_EN: 0
; COMPUTE_PGM_RSRC2:USER_SGPR: 6
; COMPUTE_PGM_RSRC2:TRAP_HANDLER: 0
; COMPUTE_PGM_RSRC2:TGID_X_EN: 1
; COMPUTE_PGM_RSRC2:TGID_Y_EN: 0
; COMPUTE_PGM_RSRC2:TGID_Z_EN: 0
; COMPUTE_PGM_RSRC2:TIDIG_COMP_CNT: 0
; COMPUTE_PGM_RSRC3_GFX90A:ACCUM_OFFSET: 4
; COMPUTE_PGM_RSRC3_GFX90A:TG_SPLIT: 0
	.section	.text._ZN7rocprim17ROCPRIM_400000_NS6detail17trampoline_kernelINS0_14default_configENS1_25transform_config_selectorItLb0EEEZNS1_14transform_implILb0ES3_S5_NS0_18transform_iteratorINS0_17counting_iteratorImlEEZNS1_24adjacent_difference_implIS3_Lb1ELb0EPKtPtN6thrust23THRUST_200600_302600_NS4plusItEEEE10hipError_tPvRmT2_T3_mT4_P12ihipStream_tbEUlmE_tEESD_NS0_8identityIvEEEESI_SL_SM_mSN_SP_bEUlT_E_NS1_11comp_targetILNS1_3genE3ELNS1_11target_archE908ELNS1_3gpuE7ELNS1_3repE0EEENS1_30default_config_static_selectorELNS0_4arch9wavefront6targetE1EEEvT1_,"axG",@progbits,_ZN7rocprim17ROCPRIM_400000_NS6detail17trampoline_kernelINS0_14default_configENS1_25transform_config_selectorItLb0EEEZNS1_14transform_implILb0ES3_S5_NS0_18transform_iteratorINS0_17counting_iteratorImlEEZNS1_24adjacent_difference_implIS3_Lb1ELb0EPKtPtN6thrust23THRUST_200600_302600_NS4plusItEEEE10hipError_tPvRmT2_T3_mT4_P12ihipStream_tbEUlmE_tEESD_NS0_8identityIvEEEESI_SL_SM_mSN_SP_bEUlT_E_NS1_11comp_targetILNS1_3genE3ELNS1_11target_archE908ELNS1_3gpuE7ELNS1_3repE0EEENS1_30default_config_static_selectorELNS0_4arch9wavefront6targetE1EEEvT1_,comdat
	.protected	_ZN7rocprim17ROCPRIM_400000_NS6detail17trampoline_kernelINS0_14default_configENS1_25transform_config_selectorItLb0EEEZNS1_14transform_implILb0ES3_S5_NS0_18transform_iteratorINS0_17counting_iteratorImlEEZNS1_24adjacent_difference_implIS3_Lb1ELb0EPKtPtN6thrust23THRUST_200600_302600_NS4plusItEEEE10hipError_tPvRmT2_T3_mT4_P12ihipStream_tbEUlmE_tEESD_NS0_8identityIvEEEESI_SL_SM_mSN_SP_bEUlT_E_NS1_11comp_targetILNS1_3genE3ELNS1_11target_archE908ELNS1_3gpuE7ELNS1_3repE0EEENS1_30default_config_static_selectorELNS0_4arch9wavefront6targetE1EEEvT1_ ; -- Begin function _ZN7rocprim17ROCPRIM_400000_NS6detail17trampoline_kernelINS0_14default_configENS1_25transform_config_selectorItLb0EEEZNS1_14transform_implILb0ES3_S5_NS0_18transform_iteratorINS0_17counting_iteratorImlEEZNS1_24adjacent_difference_implIS3_Lb1ELb0EPKtPtN6thrust23THRUST_200600_302600_NS4plusItEEEE10hipError_tPvRmT2_T3_mT4_P12ihipStream_tbEUlmE_tEESD_NS0_8identityIvEEEESI_SL_SM_mSN_SP_bEUlT_E_NS1_11comp_targetILNS1_3genE3ELNS1_11target_archE908ELNS1_3gpuE7ELNS1_3repE0EEENS1_30default_config_static_selectorELNS0_4arch9wavefront6targetE1EEEvT1_
	.globl	_ZN7rocprim17ROCPRIM_400000_NS6detail17trampoline_kernelINS0_14default_configENS1_25transform_config_selectorItLb0EEEZNS1_14transform_implILb0ES3_S5_NS0_18transform_iteratorINS0_17counting_iteratorImlEEZNS1_24adjacent_difference_implIS3_Lb1ELb0EPKtPtN6thrust23THRUST_200600_302600_NS4plusItEEEE10hipError_tPvRmT2_T3_mT4_P12ihipStream_tbEUlmE_tEESD_NS0_8identityIvEEEESI_SL_SM_mSN_SP_bEUlT_E_NS1_11comp_targetILNS1_3genE3ELNS1_11target_archE908ELNS1_3gpuE7ELNS1_3repE0EEENS1_30default_config_static_selectorELNS0_4arch9wavefront6targetE1EEEvT1_
	.p2align	8
	.type	_ZN7rocprim17ROCPRIM_400000_NS6detail17trampoline_kernelINS0_14default_configENS1_25transform_config_selectorItLb0EEEZNS1_14transform_implILb0ES3_S5_NS0_18transform_iteratorINS0_17counting_iteratorImlEEZNS1_24adjacent_difference_implIS3_Lb1ELb0EPKtPtN6thrust23THRUST_200600_302600_NS4plusItEEEE10hipError_tPvRmT2_T3_mT4_P12ihipStream_tbEUlmE_tEESD_NS0_8identityIvEEEESI_SL_SM_mSN_SP_bEUlT_E_NS1_11comp_targetILNS1_3genE3ELNS1_11target_archE908ELNS1_3gpuE7ELNS1_3repE0EEENS1_30default_config_static_selectorELNS0_4arch9wavefront6targetE1EEEvT1_,@function
_ZN7rocprim17ROCPRIM_400000_NS6detail17trampoline_kernelINS0_14default_configENS1_25transform_config_selectorItLb0EEEZNS1_14transform_implILb0ES3_S5_NS0_18transform_iteratorINS0_17counting_iteratorImlEEZNS1_24adjacent_difference_implIS3_Lb1ELb0EPKtPtN6thrust23THRUST_200600_302600_NS4plusItEEEE10hipError_tPvRmT2_T3_mT4_P12ihipStream_tbEUlmE_tEESD_NS0_8identityIvEEEESI_SL_SM_mSN_SP_bEUlT_E_NS1_11comp_targetILNS1_3genE3ELNS1_11target_archE908ELNS1_3gpuE7ELNS1_3repE0EEENS1_30default_config_static_selectorELNS0_4arch9wavefront6targetE1EEEvT1_: ; @_ZN7rocprim17ROCPRIM_400000_NS6detail17trampoline_kernelINS0_14default_configENS1_25transform_config_selectorItLb0EEEZNS1_14transform_implILb0ES3_S5_NS0_18transform_iteratorINS0_17counting_iteratorImlEEZNS1_24adjacent_difference_implIS3_Lb1ELb0EPKtPtN6thrust23THRUST_200600_302600_NS4plusItEEEE10hipError_tPvRmT2_T3_mT4_P12ihipStream_tbEUlmE_tEESD_NS0_8identityIvEEEESI_SL_SM_mSN_SP_bEUlT_E_NS1_11comp_targetILNS1_3genE3ELNS1_11target_archE908ELNS1_3gpuE7ELNS1_3repE0EEENS1_30default_config_static_selectorELNS0_4arch9wavefront6targetE1EEEvT1_
; %bb.0:
	.section	.rodata,"a",@progbits
	.p2align	6, 0x0
	.amdhsa_kernel _ZN7rocprim17ROCPRIM_400000_NS6detail17trampoline_kernelINS0_14default_configENS1_25transform_config_selectorItLb0EEEZNS1_14transform_implILb0ES3_S5_NS0_18transform_iteratorINS0_17counting_iteratorImlEEZNS1_24adjacent_difference_implIS3_Lb1ELb0EPKtPtN6thrust23THRUST_200600_302600_NS4plusItEEEE10hipError_tPvRmT2_T3_mT4_P12ihipStream_tbEUlmE_tEESD_NS0_8identityIvEEEESI_SL_SM_mSN_SP_bEUlT_E_NS1_11comp_targetILNS1_3genE3ELNS1_11target_archE908ELNS1_3gpuE7ELNS1_3repE0EEENS1_30default_config_static_selectorELNS0_4arch9wavefront6targetE1EEEvT1_
		.amdhsa_group_segment_fixed_size 0
		.amdhsa_private_segment_fixed_size 0
		.amdhsa_kernarg_size 56
		.amdhsa_user_sgpr_count 6
		.amdhsa_user_sgpr_private_segment_buffer 1
		.amdhsa_user_sgpr_dispatch_ptr 0
		.amdhsa_user_sgpr_queue_ptr 0
		.amdhsa_user_sgpr_kernarg_segment_ptr 1
		.amdhsa_user_sgpr_dispatch_id 0
		.amdhsa_user_sgpr_flat_scratch_init 0
		.amdhsa_user_sgpr_kernarg_preload_length 0
		.amdhsa_user_sgpr_kernarg_preload_offset 0
		.amdhsa_user_sgpr_private_segment_size 0
		.amdhsa_uses_dynamic_stack 0
		.amdhsa_system_sgpr_private_segment_wavefront_offset 0
		.amdhsa_system_sgpr_workgroup_id_x 1
		.amdhsa_system_sgpr_workgroup_id_y 0
		.amdhsa_system_sgpr_workgroup_id_z 0
		.amdhsa_system_sgpr_workgroup_info 0
		.amdhsa_system_vgpr_workitem_id 0
		.amdhsa_next_free_vgpr 1
		.amdhsa_next_free_sgpr 0
		.amdhsa_accum_offset 4
		.amdhsa_reserve_vcc 0
		.amdhsa_reserve_flat_scratch 0
		.amdhsa_float_round_mode_32 0
		.amdhsa_float_round_mode_16_64 0
		.amdhsa_float_denorm_mode_32 3
		.amdhsa_float_denorm_mode_16_64 3
		.amdhsa_dx10_clamp 1
		.amdhsa_ieee_mode 1
		.amdhsa_fp16_overflow 0
		.amdhsa_tg_split 0
		.amdhsa_exception_fp_ieee_invalid_op 0
		.amdhsa_exception_fp_denorm_src 0
		.amdhsa_exception_fp_ieee_div_zero 0
		.amdhsa_exception_fp_ieee_overflow 0
		.amdhsa_exception_fp_ieee_underflow 0
		.amdhsa_exception_fp_ieee_inexact 0
		.amdhsa_exception_int_div_zero 0
	.end_amdhsa_kernel
	.section	.text._ZN7rocprim17ROCPRIM_400000_NS6detail17trampoline_kernelINS0_14default_configENS1_25transform_config_selectorItLb0EEEZNS1_14transform_implILb0ES3_S5_NS0_18transform_iteratorINS0_17counting_iteratorImlEEZNS1_24adjacent_difference_implIS3_Lb1ELb0EPKtPtN6thrust23THRUST_200600_302600_NS4plusItEEEE10hipError_tPvRmT2_T3_mT4_P12ihipStream_tbEUlmE_tEESD_NS0_8identityIvEEEESI_SL_SM_mSN_SP_bEUlT_E_NS1_11comp_targetILNS1_3genE3ELNS1_11target_archE908ELNS1_3gpuE7ELNS1_3repE0EEENS1_30default_config_static_selectorELNS0_4arch9wavefront6targetE1EEEvT1_,"axG",@progbits,_ZN7rocprim17ROCPRIM_400000_NS6detail17trampoline_kernelINS0_14default_configENS1_25transform_config_selectorItLb0EEEZNS1_14transform_implILb0ES3_S5_NS0_18transform_iteratorINS0_17counting_iteratorImlEEZNS1_24adjacent_difference_implIS3_Lb1ELb0EPKtPtN6thrust23THRUST_200600_302600_NS4plusItEEEE10hipError_tPvRmT2_T3_mT4_P12ihipStream_tbEUlmE_tEESD_NS0_8identityIvEEEESI_SL_SM_mSN_SP_bEUlT_E_NS1_11comp_targetILNS1_3genE3ELNS1_11target_archE908ELNS1_3gpuE7ELNS1_3repE0EEENS1_30default_config_static_selectorELNS0_4arch9wavefront6targetE1EEEvT1_,comdat
.Lfunc_end552:
	.size	_ZN7rocprim17ROCPRIM_400000_NS6detail17trampoline_kernelINS0_14default_configENS1_25transform_config_selectorItLb0EEEZNS1_14transform_implILb0ES3_S5_NS0_18transform_iteratorINS0_17counting_iteratorImlEEZNS1_24adjacent_difference_implIS3_Lb1ELb0EPKtPtN6thrust23THRUST_200600_302600_NS4plusItEEEE10hipError_tPvRmT2_T3_mT4_P12ihipStream_tbEUlmE_tEESD_NS0_8identityIvEEEESI_SL_SM_mSN_SP_bEUlT_E_NS1_11comp_targetILNS1_3genE3ELNS1_11target_archE908ELNS1_3gpuE7ELNS1_3repE0EEENS1_30default_config_static_selectorELNS0_4arch9wavefront6targetE1EEEvT1_, .Lfunc_end552-_ZN7rocprim17ROCPRIM_400000_NS6detail17trampoline_kernelINS0_14default_configENS1_25transform_config_selectorItLb0EEEZNS1_14transform_implILb0ES3_S5_NS0_18transform_iteratorINS0_17counting_iteratorImlEEZNS1_24adjacent_difference_implIS3_Lb1ELb0EPKtPtN6thrust23THRUST_200600_302600_NS4plusItEEEE10hipError_tPvRmT2_T3_mT4_P12ihipStream_tbEUlmE_tEESD_NS0_8identityIvEEEESI_SL_SM_mSN_SP_bEUlT_E_NS1_11comp_targetILNS1_3genE3ELNS1_11target_archE908ELNS1_3gpuE7ELNS1_3repE0EEENS1_30default_config_static_selectorELNS0_4arch9wavefront6targetE1EEEvT1_
                                        ; -- End function
	.section	.AMDGPU.csdata,"",@progbits
; Kernel info:
; codeLenInByte = 0
; NumSgprs: 4
; NumVgprs: 0
; NumAgprs: 0
; TotalNumVgprs: 0
; ScratchSize: 0
; MemoryBound: 0
; FloatMode: 240
; IeeeMode: 1
; LDSByteSize: 0 bytes/workgroup (compile time only)
; SGPRBlocks: 0
; VGPRBlocks: 0
; NumSGPRsForWavesPerEU: 4
; NumVGPRsForWavesPerEU: 1
; AccumOffset: 4
; Occupancy: 8
; WaveLimiterHint : 0
; COMPUTE_PGM_RSRC2:SCRATCH_EN: 0
; COMPUTE_PGM_RSRC2:USER_SGPR: 6
; COMPUTE_PGM_RSRC2:TRAP_HANDLER: 0
; COMPUTE_PGM_RSRC2:TGID_X_EN: 1
; COMPUTE_PGM_RSRC2:TGID_Y_EN: 0
; COMPUTE_PGM_RSRC2:TGID_Z_EN: 0
; COMPUTE_PGM_RSRC2:TIDIG_COMP_CNT: 0
; COMPUTE_PGM_RSRC3_GFX90A:ACCUM_OFFSET: 0
; COMPUTE_PGM_RSRC3_GFX90A:TG_SPLIT: 0
	.section	.text._ZN7rocprim17ROCPRIM_400000_NS6detail17trampoline_kernelINS0_14default_configENS1_25transform_config_selectorItLb0EEEZNS1_14transform_implILb0ES3_S5_NS0_18transform_iteratorINS0_17counting_iteratorImlEEZNS1_24adjacent_difference_implIS3_Lb1ELb0EPKtPtN6thrust23THRUST_200600_302600_NS4plusItEEEE10hipError_tPvRmT2_T3_mT4_P12ihipStream_tbEUlmE_tEESD_NS0_8identityIvEEEESI_SL_SM_mSN_SP_bEUlT_E_NS1_11comp_targetILNS1_3genE2ELNS1_11target_archE906ELNS1_3gpuE6ELNS1_3repE0EEENS1_30default_config_static_selectorELNS0_4arch9wavefront6targetE1EEEvT1_,"axG",@progbits,_ZN7rocprim17ROCPRIM_400000_NS6detail17trampoline_kernelINS0_14default_configENS1_25transform_config_selectorItLb0EEEZNS1_14transform_implILb0ES3_S5_NS0_18transform_iteratorINS0_17counting_iteratorImlEEZNS1_24adjacent_difference_implIS3_Lb1ELb0EPKtPtN6thrust23THRUST_200600_302600_NS4plusItEEEE10hipError_tPvRmT2_T3_mT4_P12ihipStream_tbEUlmE_tEESD_NS0_8identityIvEEEESI_SL_SM_mSN_SP_bEUlT_E_NS1_11comp_targetILNS1_3genE2ELNS1_11target_archE906ELNS1_3gpuE6ELNS1_3repE0EEENS1_30default_config_static_selectorELNS0_4arch9wavefront6targetE1EEEvT1_,comdat
	.protected	_ZN7rocprim17ROCPRIM_400000_NS6detail17trampoline_kernelINS0_14default_configENS1_25transform_config_selectorItLb0EEEZNS1_14transform_implILb0ES3_S5_NS0_18transform_iteratorINS0_17counting_iteratorImlEEZNS1_24adjacent_difference_implIS3_Lb1ELb0EPKtPtN6thrust23THRUST_200600_302600_NS4plusItEEEE10hipError_tPvRmT2_T3_mT4_P12ihipStream_tbEUlmE_tEESD_NS0_8identityIvEEEESI_SL_SM_mSN_SP_bEUlT_E_NS1_11comp_targetILNS1_3genE2ELNS1_11target_archE906ELNS1_3gpuE6ELNS1_3repE0EEENS1_30default_config_static_selectorELNS0_4arch9wavefront6targetE1EEEvT1_ ; -- Begin function _ZN7rocprim17ROCPRIM_400000_NS6detail17trampoline_kernelINS0_14default_configENS1_25transform_config_selectorItLb0EEEZNS1_14transform_implILb0ES3_S5_NS0_18transform_iteratorINS0_17counting_iteratorImlEEZNS1_24adjacent_difference_implIS3_Lb1ELb0EPKtPtN6thrust23THRUST_200600_302600_NS4plusItEEEE10hipError_tPvRmT2_T3_mT4_P12ihipStream_tbEUlmE_tEESD_NS0_8identityIvEEEESI_SL_SM_mSN_SP_bEUlT_E_NS1_11comp_targetILNS1_3genE2ELNS1_11target_archE906ELNS1_3gpuE6ELNS1_3repE0EEENS1_30default_config_static_selectorELNS0_4arch9wavefront6targetE1EEEvT1_
	.globl	_ZN7rocprim17ROCPRIM_400000_NS6detail17trampoline_kernelINS0_14default_configENS1_25transform_config_selectorItLb0EEEZNS1_14transform_implILb0ES3_S5_NS0_18transform_iteratorINS0_17counting_iteratorImlEEZNS1_24adjacent_difference_implIS3_Lb1ELb0EPKtPtN6thrust23THRUST_200600_302600_NS4plusItEEEE10hipError_tPvRmT2_T3_mT4_P12ihipStream_tbEUlmE_tEESD_NS0_8identityIvEEEESI_SL_SM_mSN_SP_bEUlT_E_NS1_11comp_targetILNS1_3genE2ELNS1_11target_archE906ELNS1_3gpuE6ELNS1_3repE0EEENS1_30default_config_static_selectorELNS0_4arch9wavefront6targetE1EEEvT1_
	.p2align	8
	.type	_ZN7rocprim17ROCPRIM_400000_NS6detail17trampoline_kernelINS0_14default_configENS1_25transform_config_selectorItLb0EEEZNS1_14transform_implILb0ES3_S5_NS0_18transform_iteratorINS0_17counting_iteratorImlEEZNS1_24adjacent_difference_implIS3_Lb1ELb0EPKtPtN6thrust23THRUST_200600_302600_NS4plusItEEEE10hipError_tPvRmT2_T3_mT4_P12ihipStream_tbEUlmE_tEESD_NS0_8identityIvEEEESI_SL_SM_mSN_SP_bEUlT_E_NS1_11comp_targetILNS1_3genE2ELNS1_11target_archE906ELNS1_3gpuE6ELNS1_3repE0EEENS1_30default_config_static_selectorELNS0_4arch9wavefront6targetE1EEEvT1_,@function
_ZN7rocprim17ROCPRIM_400000_NS6detail17trampoline_kernelINS0_14default_configENS1_25transform_config_selectorItLb0EEEZNS1_14transform_implILb0ES3_S5_NS0_18transform_iteratorINS0_17counting_iteratorImlEEZNS1_24adjacent_difference_implIS3_Lb1ELb0EPKtPtN6thrust23THRUST_200600_302600_NS4plusItEEEE10hipError_tPvRmT2_T3_mT4_P12ihipStream_tbEUlmE_tEESD_NS0_8identityIvEEEESI_SL_SM_mSN_SP_bEUlT_E_NS1_11comp_targetILNS1_3genE2ELNS1_11target_archE906ELNS1_3gpuE6ELNS1_3repE0EEENS1_30default_config_static_selectorELNS0_4arch9wavefront6targetE1EEEvT1_: ; @_ZN7rocprim17ROCPRIM_400000_NS6detail17trampoline_kernelINS0_14default_configENS1_25transform_config_selectorItLb0EEEZNS1_14transform_implILb0ES3_S5_NS0_18transform_iteratorINS0_17counting_iteratorImlEEZNS1_24adjacent_difference_implIS3_Lb1ELb0EPKtPtN6thrust23THRUST_200600_302600_NS4plusItEEEE10hipError_tPvRmT2_T3_mT4_P12ihipStream_tbEUlmE_tEESD_NS0_8identityIvEEEESI_SL_SM_mSN_SP_bEUlT_E_NS1_11comp_targetILNS1_3genE2ELNS1_11target_archE906ELNS1_3gpuE6ELNS1_3repE0EEENS1_30default_config_static_selectorELNS0_4arch9wavefront6targetE1EEEvT1_
; %bb.0:
	.section	.rodata,"a",@progbits
	.p2align	6, 0x0
	.amdhsa_kernel _ZN7rocprim17ROCPRIM_400000_NS6detail17trampoline_kernelINS0_14default_configENS1_25transform_config_selectorItLb0EEEZNS1_14transform_implILb0ES3_S5_NS0_18transform_iteratorINS0_17counting_iteratorImlEEZNS1_24adjacent_difference_implIS3_Lb1ELb0EPKtPtN6thrust23THRUST_200600_302600_NS4plusItEEEE10hipError_tPvRmT2_T3_mT4_P12ihipStream_tbEUlmE_tEESD_NS0_8identityIvEEEESI_SL_SM_mSN_SP_bEUlT_E_NS1_11comp_targetILNS1_3genE2ELNS1_11target_archE906ELNS1_3gpuE6ELNS1_3repE0EEENS1_30default_config_static_selectorELNS0_4arch9wavefront6targetE1EEEvT1_
		.amdhsa_group_segment_fixed_size 0
		.amdhsa_private_segment_fixed_size 0
		.amdhsa_kernarg_size 56
		.amdhsa_user_sgpr_count 6
		.amdhsa_user_sgpr_private_segment_buffer 1
		.amdhsa_user_sgpr_dispatch_ptr 0
		.amdhsa_user_sgpr_queue_ptr 0
		.amdhsa_user_sgpr_kernarg_segment_ptr 1
		.amdhsa_user_sgpr_dispatch_id 0
		.amdhsa_user_sgpr_flat_scratch_init 0
		.amdhsa_user_sgpr_kernarg_preload_length 0
		.amdhsa_user_sgpr_kernarg_preload_offset 0
		.amdhsa_user_sgpr_private_segment_size 0
		.amdhsa_uses_dynamic_stack 0
		.amdhsa_system_sgpr_private_segment_wavefront_offset 0
		.amdhsa_system_sgpr_workgroup_id_x 1
		.amdhsa_system_sgpr_workgroup_id_y 0
		.amdhsa_system_sgpr_workgroup_id_z 0
		.amdhsa_system_sgpr_workgroup_info 0
		.amdhsa_system_vgpr_workitem_id 0
		.amdhsa_next_free_vgpr 1
		.amdhsa_next_free_sgpr 0
		.amdhsa_accum_offset 4
		.amdhsa_reserve_vcc 0
		.amdhsa_reserve_flat_scratch 0
		.amdhsa_float_round_mode_32 0
		.amdhsa_float_round_mode_16_64 0
		.amdhsa_float_denorm_mode_32 3
		.amdhsa_float_denorm_mode_16_64 3
		.amdhsa_dx10_clamp 1
		.amdhsa_ieee_mode 1
		.amdhsa_fp16_overflow 0
		.amdhsa_tg_split 0
		.amdhsa_exception_fp_ieee_invalid_op 0
		.amdhsa_exception_fp_denorm_src 0
		.amdhsa_exception_fp_ieee_div_zero 0
		.amdhsa_exception_fp_ieee_overflow 0
		.amdhsa_exception_fp_ieee_underflow 0
		.amdhsa_exception_fp_ieee_inexact 0
		.amdhsa_exception_int_div_zero 0
	.end_amdhsa_kernel
	.section	.text._ZN7rocprim17ROCPRIM_400000_NS6detail17trampoline_kernelINS0_14default_configENS1_25transform_config_selectorItLb0EEEZNS1_14transform_implILb0ES3_S5_NS0_18transform_iteratorINS0_17counting_iteratorImlEEZNS1_24adjacent_difference_implIS3_Lb1ELb0EPKtPtN6thrust23THRUST_200600_302600_NS4plusItEEEE10hipError_tPvRmT2_T3_mT4_P12ihipStream_tbEUlmE_tEESD_NS0_8identityIvEEEESI_SL_SM_mSN_SP_bEUlT_E_NS1_11comp_targetILNS1_3genE2ELNS1_11target_archE906ELNS1_3gpuE6ELNS1_3repE0EEENS1_30default_config_static_selectorELNS0_4arch9wavefront6targetE1EEEvT1_,"axG",@progbits,_ZN7rocprim17ROCPRIM_400000_NS6detail17trampoline_kernelINS0_14default_configENS1_25transform_config_selectorItLb0EEEZNS1_14transform_implILb0ES3_S5_NS0_18transform_iteratorINS0_17counting_iteratorImlEEZNS1_24adjacent_difference_implIS3_Lb1ELb0EPKtPtN6thrust23THRUST_200600_302600_NS4plusItEEEE10hipError_tPvRmT2_T3_mT4_P12ihipStream_tbEUlmE_tEESD_NS0_8identityIvEEEESI_SL_SM_mSN_SP_bEUlT_E_NS1_11comp_targetILNS1_3genE2ELNS1_11target_archE906ELNS1_3gpuE6ELNS1_3repE0EEENS1_30default_config_static_selectorELNS0_4arch9wavefront6targetE1EEEvT1_,comdat
.Lfunc_end553:
	.size	_ZN7rocprim17ROCPRIM_400000_NS6detail17trampoline_kernelINS0_14default_configENS1_25transform_config_selectorItLb0EEEZNS1_14transform_implILb0ES3_S5_NS0_18transform_iteratorINS0_17counting_iteratorImlEEZNS1_24adjacent_difference_implIS3_Lb1ELb0EPKtPtN6thrust23THRUST_200600_302600_NS4plusItEEEE10hipError_tPvRmT2_T3_mT4_P12ihipStream_tbEUlmE_tEESD_NS0_8identityIvEEEESI_SL_SM_mSN_SP_bEUlT_E_NS1_11comp_targetILNS1_3genE2ELNS1_11target_archE906ELNS1_3gpuE6ELNS1_3repE0EEENS1_30default_config_static_selectorELNS0_4arch9wavefront6targetE1EEEvT1_, .Lfunc_end553-_ZN7rocprim17ROCPRIM_400000_NS6detail17trampoline_kernelINS0_14default_configENS1_25transform_config_selectorItLb0EEEZNS1_14transform_implILb0ES3_S5_NS0_18transform_iteratorINS0_17counting_iteratorImlEEZNS1_24adjacent_difference_implIS3_Lb1ELb0EPKtPtN6thrust23THRUST_200600_302600_NS4plusItEEEE10hipError_tPvRmT2_T3_mT4_P12ihipStream_tbEUlmE_tEESD_NS0_8identityIvEEEESI_SL_SM_mSN_SP_bEUlT_E_NS1_11comp_targetILNS1_3genE2ELNS1_11target_archE906ELNS1_3gpuE6ELNS1_3repE0EEENS1_30default_config_static_selectorELNS0_4arch9wavefront6targetE1EEEvT1_
                                        ; -- End function
	.section	.AMDGPU.csdata,"",@progbits
; Kernel info:
; codeLenInByte = 0
; NumSgprs: 4
; NumVgprs: 0
; NumAgprs: 0
; TotalNumVgprs: 0
; ScratchSize: 0
; MemoryBound: 0
; FloatMode: 240
; IeeeMode: 1
; LDSByteSize: 0 bytes/workgroup (compile time only)
; SGPRBlocks: 0
; VGPRBlocks: 0
; NumSGPRsForWavesPerEU: 4
; NumVGPRsForWavesPerEU: 1
; AccumOffset: 4
; Occupancy: 8
; WaveLimiterHint : 0
; COMPUTE_PGM_RSRC2:SCRATCH_EN: 0
; COMPUTE_PGM_RSRC2:USER_SGPR: 6
; COMPUTE_PGM_RSRC2:TRAP_HANDLER: 0
; COMPUTE_PGM_RSRC2:TGID_X_EN: 1
; COMPUTE_PGM_RSRC2:TGID_Y_EN: 0
; COMPUTE_PGM_RSRC2:TGID_Z_EN: 0
; COMPUTE_PGM_RSRC2:TIDIG_COMP_CNT: 0
; COMPUTE_PGM_RSRC3_GFX90A:ACCUM_OFFSET: 0
; COMPUTE_PGM_RSRC3_GFX90A:TG_SPLIT: 0
	.section	.text._ZN7rocprim17ROCPRIM_400000_NS6detail17trampoline_kernelINS0_14default_configENS1_25transform_config_selectorItLb0EEEZNS1_14transform_implILb0ES3_S5_NS0_18transform_iteratorINS0_17counting_iteratorImlEEZNS1_24adjacent_difference_implIS3_Lb1ELb0EPKtPtN6thrust23THRUST_200600_302600_NS4plusItEEEE10hipError_tPvRmT2_T3_mT4_P12ihipStream_tbEUlmE_tEESD_NS0_8identityIvEEEESI_SL_SM_mSN_SP_bEUlT_E_NS1_11comp_targetILNS1_3genE10ELNS1_11target_archE1201ELNS1_3gpuE5ELNS1_3repE0EEENS1_30default_config_static_selectorELNS0_4arch9wavefront6targetE1EEEvT1_,"axG",@progbits,_ZN7rocprim17ROCPRIM_400000_NS6detail17trampoline_kernelINS0_14default_configENS1_25transform_config_selectorItLb0EEEZNS1_14transform_implILb0ES3_S5_NS0_18transform_iteratorINS0_17counting_iteratorImlEEZNS1_24adjacent_difference_implIS3_Lb1ELb0EPKtPtN6thrust23THRUST_200600_302600_NS4plusItEEEE10hipError_tPvRmT2_T3_mT4_P12ihipStream_tbEUlmE_tEESD_NS0_8identityIvEEEESI_SL_SM_mSN_SP_bEUlT_E_NS1_11comp_targetILNS1_3genE10ELNS1_11target_archE1201ELNS1_3gpuE5ELNS1_3repE0EEENS1_30default_config_static_selectorELNS0_4arch9wavefront6targetE1EEEvT1_,comdat
	.protected	_ZN7rocprim17ROCPRIM_400000_NS6detail17trampoline_kernelINS0_14default_configENS1_25transform_config_selectorItLb0EEEZNS1_14transform_implILb0ES3_S5_NS0_18transform_iteratorINS0_17counting_iteratorImlEEZNS1_24adjacent_difference_implIS3_Lb1ELb0EPKtPtN6thrust23THRUST_200600_302600_NS4plusItEEEE10hipError_tPvRmT2_T3_mT4_P12ihipStream_tbEUlmE_tEESD_NS0_8identityIvEEEESI_SL_SM_mSN_SP_bEUlT_E_NS1_11comp_targetILNS1_3genE10ELNS1_11target_archE1201ELNS1_3gpuE5ELNS1_3repE0EEENS1_30default_config_static_selectorELNS0_4arch9wavefront6targetE1EEEvT1_ ; -- Begin function _ZN7rocprim17ROCPRIM_400000_NS6detail17trampoline_kernelINS0_14default_configENS1_25transform_config_selectorItLb0EEEZNS1_14transform_implILb0ES3_S5_NS0_18transform_iteratorINS0_17counting_iteratorImlEEZNS1_24adjacent_difference_implIS3_Lb1ELb0EPKtPtN6thrust23THRUST_200600_302600_NS4plusItEEEE10hipError_tPvRmT2_T3_mT4_P12ihipStream_tbEUlmE_tEESD_NS0_8identityIvEEEESI_SL_SM_mSN_SP_bEUlT_E_NS1_11comp_targetILNS1_3genE10ELNS1_11target_archE1201ELNS1_3gpuE5ELNS1_3repE0EEENS1_30default_config_static_selectorELNS0_4arch9wavefront6targetE1EEEvT1_
	.globl	_ZN7rocprim17ROCPRIM_400000_NS6detail17trampoline_kernelINS0_14default_configENS1_25transform_config_selectorItLb0EEEZNS1_14transform_implILb0ES3_S5_NS0_18transform_iteratorINS0_17counting_iteratorImlEEZNS1_24adjacent_difference_implIS3_Lb1ELb0EPKtPtN6thrust23THRUST_200600_302600_NS4plusItEEEE10hipError_tPvRmT2_T3_mT4_P12ihipStream_tbEUlmE_tEESD_NS0_8identityIvEEEESI_SL_SM_mSN_SP_bEUlT_E_NS1_11comp_targetILNS1_3genE10ELNS1_11target_archE1201ELNS1_3gpuE5ELNS1_3repE0EEENS1_30default_config_static_selectorELNS0_4arch9wavefront6targetE1EEEvT1_
	.p2align	8
	.type	_ZN7rocprim17ROCPRIM_400000_NS6detail17trampoline_kernelINS0_14default_configENS1_25transform_config_selectorItLb0EEEZNS1_14transform_implILb0ES3_S5_NS0_18transform_iteratorINS0_17counting_iteratorImlEEZNS1_24adjacent_difference_implIS3_Lb1ELb0EPKtPtN6thrust23THRUST_200600_302600_NS4plusItEEEE10hipError_tPvRmT2_T3_mT4_P12ihipStream_tbEUlmE_tEESD_NS0_8identityIvEEEESI_SL_SM_mSN_SP_bEUlT_E_NS1_11comp_targetILNS1_3genE10ELNS1_11target_archE1201ELNS1_3gpuE5ELNS1_3repE0EEENS1_30default_config_static_selectorELNS0_4arch9wavefront6targetE1EEEvT1_,@function
_ZN7rocprim17ROCPRIM_400000_NS6detail17trampoline_kernelINS0_14default_configENS1_25transform_config_selectorItLb0EEEZNS1_14transform_implILb0ES3_S5_NS0_18transform_iteratorINS0_17counting_iteratorImlEEZNS1_24adjacent_difference_implIS3_Lb1ELb0EPKtPtN6thrust23THRUST_200600_302600_NS4plusItEEEE10hipError_tPvRmT2_T3_mT4_P12ihipStream_tbEUlmE_tEESD_NS0_8identityIvEEEESI_SL_SM_mSN_SP_bEUlT_E_NS1_11comp_targetILNS1_3genE10ELNS1_11target_archE1201ELNS1_3gpuE5ELNS1_3repE0EEENS1_30default_config_static_selectorELNS0_4arch9wavefront6targetE1EEEvT1_: ; @_ZN7rocprim17ROCPRIM_400000_NS6detail17trampoline_kernelINS0_14default_configENS1_25transform_config_selectorItLb0EEEZNS1_14transform_implILb0ES3_S5_NS0_18transform_iteratorINS0_17counting_iteratorImlEEZNS1_24adjacent_difference_implIS3_Lb1ELb0EPKtPtN6thrust23THRUST_200600_302600_NS4plusItEEEE10hipError_tPvRmT2_T3_mT4_P12ihipStream_tbEUlmE_tEESD_NS0_8identityIvEEEESI_SL_SM_mSN_SP_bEUlT_E_NS1_11comp_targetILNS1_3genE10ELNS1_11target_archE1201ELNS1_3gpuE5ELNS1_3repE0EEENS1_30default_config_static_selectorELNS0_4arch9wavefront6targetE1EEEvT1_
; %bb.0:
	.section	.rodata,"a",@progbits
	.p2align	6, 0x0
	.amdhsa_kernel _ZN7rocprim17ROCPRIM_400000_NS6detail17trampoline_kernelINS0_14default_configENS1_25transform_config_selectorItLb0EEEZNS1_14transform_implILb0ES3_S5_NS0_18transform_iteratorINS0_17counting_iteratorImlEEZNS1_24adjacent_difference_implIS3_Lb1ELb0EPKtPtN6thrust23THRUST_200600_302600_NS4plusItEEEE10hipError_tPvRmT2_T3_mT4_P12ihipStream_tbEUlmE_tEESD_NS0_8identityIvEEEESI_SL_SM_mSN_SP_bEUlT_E_NS1_11comp_targetILNS1_3genE10ELNS1_11target_archE1201ELNS1_3gpuE5ELNS1_3repE0EEENS1_30default_config_static_selectorELNS0_4arch9wavefront6targetE1EEEvT1_
		.amdhsa_group_segment_fixed_size 0
		.amdhsa_private_segment_fixed_size 0
		.amdhsa_kernarg_size 56
		.amdhsa_user_sgpr_count 6
		.amdhsa_user_sgpr_private_segment_buffer 1
		.amdhsa_user_sgpr_dispatch_ptr 0
		.amdhsa_user_sgpr_queue_ptr 0
		.amdhsa_user_sgpr_kernarg_segment_ptr 1
		.amdhsa_user_sgpr_dispatch_id 0
		.amdhsa_user_sgpr_flat_scratch_init 0
		.amdhsa_user_sgpr_kernarg_preload_length 0
		.amdhsa_user_sgpr_kernarg_preload_offset 0
		.amdhsa_user_sgpr_private_segment_size 0
		.amdhsa_uses_dynamic_stack 0
		.amdhsa_system_sgpr_private_segment_wavefront_offset 0
		.amdhsa_system_sgpr_workgroup_id_x 1
		.amdhsa_system_sgpr_workgroup_id_y 0
		.amdhsa_system_sgpr_workgroup_id_z 0
		.amdhsa_system_sgpr_workgroup_info 0
		.amdhsa_system_vgpr_workitem_id 0
		.amdhsa_next_free_vgpr 1
		.amdhsa_next_free_sgpr 0
		.amdhsa_accum_offset 4
		.amdhsa_reserve_vcc 0
		.amdhsa_reserve_flat_scratch 0
		.amdhsa_float_round_mode_32 0
		.amdhsa_float_round_mode_16_64 0
		.amdhsa_float_denorm_mode_32 3
		.amdhsa_float_denorm_mode_16_64 3
		.amdhsa_dx10_clamp 1
		.amdhsa_ieee_mode 1
		.amdhsa_fp16_overflow 0
		.amdhsa_tg_split 0
		.amdhsa_exception_fp_ieee_invalid_op 0
		.amdhsa_exception_fp_denorm_src 0
		.amdhsa_exception_fp_ieee_div_zero 0
		.amdhsa_exception_fp_ieee_overflow 0
		.amdhsa_exception_fp_ieee_underflow 0
		.amdhsa_exception_fp_ieee_inexact 0
		.amdhsa_exception_int_div_zero 0
	.end_amdhsa_kernel
	.section	.text._ZN7rocprim17ROCPRIM_400000_NS6detail17trampoline_kernelINS0_14default_configENS1_25transform_config_selectorItLb0EEEZNS1_14transform_implILb0ES3_S5_NS0_18transform_iteratorINS0_17counting_iteratorImlEEZNS1_24adjacent_difference_implIS3_Lb1ELb0EPKtPtN6thrust23THRUST_200600_302600_NS4plusItEEEE10hipError_tPvRmT2_T3_mT4_P12ihipStream_tbEUlmE_tEESD_NS0_8identityIvEEEESI_SL_SM_mSN_SP_bEUlT_E_NS1_11comp_targetILNS1_3genE10ELNS1_11target_archE1201ELNS1_3gpuE5ELNS1_3repE0EEENS1_30default_config_static_selectorELNS0_4arch9wavefront6targetE1EEEvT1_,"axG",@progbits,_ZN7rocprim17ROCPRIM_400000_NS6detail17trampoline_kernelINS0_14default_configENS1_25transform_config_selectorItLb0EEEZNS1_14transform_implILb0ES3_S5_NS0_18transform_iteratorINS0_17counting_iteratorImlEEZNS1_24adjacent_difference_implIS3_Lb1ELb0EPKtPtN6thrust23THRUST_200600_302600_NS4plusItEEEE10hipError_tPvRmT2_T3_mT4_P12ihipStream_tbEUlmE_tEESD_NS0_8identityIvEEEESI_SL_SM_mSN_SP_bEUlT_E_NS1_11comp_targetILNS1_3genE10ELNS1_11target_archE1201ELNS1_3gpuE5ELNS1_3repE0EEENS1_30default_config_static_selectorELNS0_4arch9wavefront6targetE1EEEvT1_,comdat
.Lfunc_end554:
	.size	_ZN7rocprim17ROCPRIM_400000_NS6detail17trampoline_kernelINS0_14default_configENS1_25transform_config_selectorItLb0EEEZNS1_14transform_implILb0ES3_S5_NS0_18transform_iteratorINS0_17counting_iteratorImlEEZNS1_24adjacent_difference_implIS3_Lb1ELb0EPKtPtN6thrust23THRUST_200600_302600_NS4plusItEEEE10hipError_tPvRmT2_T3_mT4_P12ihipStream_tbEUlmE_tEESD_NS0_8identityIvEEEESI_SL_SM_mSN_SP_bEUlT_E_NS1_11comp_targetILNS1_3genE10ELNS1_11target_archE1201ELNS1_3gpuE5ELNS1_3repE0EEENS1_30default_config_static_selectorELNS0_4arch9wavefront6targetE1EEEvT1_, .Lfunc_end554-_ZN7rocprim17ROCPRIM_400000_NS6detail17trampoline_kernelINS0_14default_configENS1_25transform_config_selectorItLb0EEEZNS1_14transform_implILb0ES3_S5_NS0_18transform_iteratorINS0_17counting_iteratorImlEEZNS1_24adjacent_difference_implIS3_Lb1ELb0EPKtPtN6thrust23THRUST_200600_302600_NS4plusItEEEE10hipError_tPvRmT2_T3_mT4_P12ihipStream_tbEUlmE_tEESD_NS0_8identityIvEEEESI_SL_SM_mSN_SP_bEUlT_E_NS1_11comp_targetILNS1_3genE10ELNS1_11target_archE1201ELNS1_3gpuE5ELNS1_3repE0EEENS1_30default_config_static_selectorELNS0_4arch9wavefront6targetE1EEEvT1_
                                        ; -- End function
	.section	.AMDGPU.csdata,"",@progbits
; Kernel info:
; codeLenInByte = 0
; NumSgprs: 4
; NumVgprs: 0
; NumAgprs: 0
; TotalNumVgprs: 0
; ScratchSize: 0
; MemoryBound: 0
; FloatMode: 240
; IeeeMode: 1
; LDSByteSize: 0 bytes/workgroup (compile time only)
; SGPRBlocks: 0
; VGPRBlocks: 0
; NumSGPRsForWavesPerEU: 4
; NumVGPRsForWavesPerEU: 1
; AccumOffset: 4
; Occupancy: 8
; WaveLimiterHint : 0
; COMPUTE_PGM_RSRC2:SCRATCH_EN: 0
; COMPUTE_PGM_RSRC2:USER_SGPR: 6
; COMPUTE_PGM_RSRC2:TRAP_HANDLER: 0
; COMPUTE_PGM_RSRC2:TGID_X_EN: 1
; COMPUTE_PGM_RSRC2:TGID_Y_EN: 0
; COMPUTE_PGM_RSRC2:TGID_Z_EN: 0
; COMPUTE_PGM_RSRC2:TIDIG_COMP_CNT: 0
; COMPUTE_PGM_RSRC3_GFX90A:ACCUM_OFFSET: 0
; COMPUTE_PGM_RSRC3_GFX90A:TG_SPLIT: 0
	.section	.text._ZN7rocprim17ROCPRIM_400000_NS6detail17trampoline_kernelINS0_14default_configENS1_25transform_config_selectorItLb0EEEZNS1_14transform_implILb0ES3_S5_NS0_18transform_iteratorINS0_17counting_iteratorImlEEZNS1_24adjacent_difference_implIS3_Lb1ELb0EPKtPtN6thrust23THRUST_200600_302600_NS4plusItEEEE10hipError_tPvRmT2_T3_mT4_P12ihipStream_tbEUlmE_tEESD_NS0_8identityIvEEEESI_SL_SM_mSN_SP_bEUlT_E_NS1_11comp_targetILNS1_3genE10ELNS1_11target_archE1200ELNS1_3gpuE4ELNS1_3repE0EEENS1_30default_config_static_selectorELNS0_4arch9wavefront6targetE1EEEvT1_,"axG",@progbits,_ZN7rocprim17ROCPRIM_400000_NS6detail17trampoline_kernelINS0_14default_configENS1_25transform_config_selectorItLb0EEEZNS1_14transform_implILb0ES3_S5_NS0_18transform_iteratorINS0_17counting_iteratorImlEEZNS1_24adjacent_difference_implIS3_Lb1ELb0EPKtPtN6thrust23THRUST_200600_302600_NS4plusItEEEE10hipError_tPvRmT2_T3_mT4_P12ihipStream_tbEUlmE_tEESD_NS0_8identityIvEEEESI_SL_SM_mSN_SP_bEUlT_E_NS1_11comp_targetILNS1_3genE10ELNS1_11target_archE1200ELNS1_3gpuE4ELNS1_3repE0EEENS1_30default_config_static_selectorELNS0_4arch9wavefront6targetE1EEEvT1_,comdat
	.protected	_ZN7rocprim17ROCPRIM_400000_NS6detail17trampoline_kernelINS0_14default_configENS1_25transform_config_selectorItLb0EEEZNS1_14transform_implILb0ES3_S5_NS0_18transform_iteratorINS0_17counting_iteratorImlEEZNS1_24adjacent_difference_implIS3_Lb1ELb0EPKtPtN6thrust23THRUST_200600_302600_NS4plusItEEEE10hipError_tPvRmT2_T3_mT4_P12ihipStream_tbEUlmE_tEESD_NS0_8identityIvEEEESI_SL_SM_mSN_SP_bEUlT_E_NS1_11comp_targetILNS1_3genE10ELNS1_11target_archE1200ELNS1_3gpuE4ELNS1_3repE0EEENS1_30default_config_static_selectorELNS0_4arch9wavefront6targetE1EEEvT1_ ; -- Begin function _ZN7rocprim17ROCPRIM_400000_NS6detail17trampoline_kernelINS0_14default_configENS1_25transform_config_selectorItLb0EEEZNS1_14transform_implILb0ES3_S5_NS0_18transform_iteratorINS0_17counting_iteratorImlEEZNS1_24adjacent_difference_implIS3_Lb1ELb0EPKtPtN6thrust23THRUST_200600_302600_NS4plusItEEEE10hipError_tPvRmT2_T3_mT4_P12ihipStream_tbEUlmE_tEESD_NS0_8identityIvEEEESI_SL_SM_mSN_SP_bEUlT_E_NS1_11comp_targetILNS1_3genE10ELNS1_11target_archE1200ELNS1_3gpuE4ELNS1_3repE0EEENS1_30default_config_static_selectorELNS0_4arch9wavefront6targetE1EEEvT1_
	.globl	_ZN7rocprim17ROCPRIM_400000_NS6detail17trampoline_kernelINS0_14default_configENS1_25transform_config_selectorItLb0EEEZNS1_14transform_implILb0ES3_S5_NS0_18transform_iteratorINS0_17counting_iteratorImlEEZNS1_24adjacent_difference_implIS3_Lb1ELb0EPKtPtN6thrust23THRUST_200600_302600_NS4plusItEEEE10hipError_tPvRmT2_T3_mT4_P12ihipStream_tbEUlmE_tEESD_NS0_8identityIvEEEESI_SL_SM_mSN_SP_bEUlT_E_NS1_11comp_targetILNS1_3genE10ELNS1_11target_archE1200ELNS1_3gpuE4ELNS1_3repE0EEENS1_30default_config_static_selectorELNS0_4arch9wavefront6targetE1EEEvT1_
	.p2align	8
	.type	_ZN7rocprim17ROCPRIM_400000_NS6detail17trampoline_kernelINS0_14default_configENS1_25transform_config_selectorItLb0EEEZNS1_14transform_implILb0ES3_S5_NS0_18transform_iteratorINS0_17counting_iteratorImlEEZNS1_24adjacent_difference_implIS3_Lb1ELb0EPKtPtN6thrust23THRUST_200600_302600_NS4plusItEEEE10hipError_tPvRmT2_T3_mT4_P12ihipStream_tbEUlmE_tEESD_NS0_8identityIvEEEESI_SL_SM_mSN_SP_bEUlT_E_NS1_11comp_targetILNS1_3genE10ELNS1_11target_archE1200ELNS1_3gpuE4ELNS1_3repE0EEENS1_30default_config_static_selectorELNS0_4arch9wavefront6targetE1EEEvT1_,@function
_ZN7rocprim17ROCPRIM_400000_NS6detail17trampoline_kernelINS0_14default_configENS1_25transform_config_selectorItLb0EEEZNS1_14transform_implILb0ES3_S5_NS0_18transform_iteratorINS0_17counting_iteratorImlEEZNS1_24adjacent_difference_implIS3_Lb1ELb0EPKtPtN6thrust23THRUST_200600_302600_NS4plusItEEEE10hipError_tPvRmT2_T3_mT4_P12ihipStream_tbEUlmE_tEESD_NS0_8identityIvEEEESI_SL_SM_mSN_SP_bEUlT_E_NS1_11comp_targetILNS1_3genE10ELNS1_11target_archE1200ELNS1_3gpuE4ELNS1_3repE0EEENS1_30default_config_static_selectorELNS0_4arch9wavefront6targetE1EEEvT1_: ; @_ZN7rocprim17ROCPRIM_400000_NS6detail17trampoline_kernelINS0_14default_configENS1_25transform_config_selectorItLb0EEEZNS1_14transform_implILb0ES3_S5_NS0_18transform_iteratorINS0_17counting_iteratorImlEEZNS1_24adjacent_difference_implIS3_Lb1ELb0EPKtPtN6thrust23THRUST_200600_302600_NS4plusItEEEE10hipError_tPvRmT2_T3_mT4_P12ihipStream_tbEUlmE_tEESD_NS0_8identityIvEEEESI_SL_SM_mSN_SP_bEUlT_E_NS1_11comp_targetILNS1_3genE10ELNS1_11target_archE1200ELNS1_3gpuE4ELNS1_3repE0EEENS1_30default_config_static_selectorELNS0_4arch9wavefront6targetE1EEEvT1_
; %bb.0:
	.section	.rodata,"a",@progbits
	.p2align	6, 0x0
	.amdhsa_kernel _ZN7rocprim17ROCPRIM_400000_NS6detail17trampoline_kernelINS0_14default_configENS1_25transform_config_selectorItLb0EEEZNS1_14transform_implILb0ES3_S5_NS0_18transform_iteratorINS0_17counting_iteratorImlEEZNS1_24adjacent_difference_implIS3_Lb1ELb0EPKtPtN6thrust23THRUST_200600_302600_NS4plusItEEEE10hipError_tPvRmT2_T3_mT4_P12ihipStream_tbEUlmE_tEESD_NS0_8identityIvEEEESI_SL_SM_mSN_SP_bEUlT_E_NS1_11comp_targetILNS1_3genE10ELNS1_11target_archE1200ELNS1_3gpuE4ELNS1_3repE0EEENS1_30default_config_static_selectorELNS0_4arch9wavefront6targetE1EEEvT1_
		.amdhsa_group_segment_fixed_size 0
		.amdhsa_private_segment_fixed_size 0
		.amdhsa_kernarg_size 56
		.amdhsa_user_sgpr_count 6
		.amdhsa_user_sgpr_private_segment_buffer 1
		.amdhsa_user_sgpr_dispatch_ptr 0
		.amdhsa_user_sgpr_queue_ptr 0
		.amdhsa_user_sgpr_kernarg_segment_ptr 1
		.amdhsa_user_sgpr_dispatch_id 0
		.amdhsa_user_sgpr_flat_scratch_init 0
		.amdhsa_user_sgpr_kernarg_preload_length 0
		.amdhsa_user_sgpr_kernarg_preload_offset 0
		.amdhsa_user_sgpr_private_segment_size 0
		.amdhsa_uses_dynamic_stack 0
		.amdhsa_system_sgpr_private_segment_wavefront_offset 0
		.amdhsa_system_sgpr_workgroup_id_x 1
		.amdhsa_system_sgpr_workgroup_id_y 0
		.amdhsa_system_sgpr_workgroup_id_z 0
		.amdhsa_system_sgpr_workgroup_info 0
		.amdhsa_system_vgpr_workitem_id 0
		.amdhsa_next_free_vgpr 1
		.amdhsa_next_free_sgpr 0
		.amdhsa_accum_offset 4
		.amdhsa_reserve_vcc 0
		.amdhsa_reserve_flat_scratch 0
		.amdhsa_float_round_mode_32 0
		.amdhsa_float_round_mode_16_64 0
		.amdhsa_float_denorm_mode_32 3
		.amdhsa_float_denorm_mode_16_64 3
		.amdhsa_dx10_clamp 1
		.amdhsa_ieee_mode 1
		.amdhsa_fp16_overflow 0
		.amdhsa_tg_split 0
		.amdhsa_exception_fp_ieee_invalid_op 0
		.amdhsa_exception_fp_denorm_src 0
		.amdhsa_exception_fp_ieee_div_zero 0
		.amdhsa_exception_fp_ieee_overflow 0
		.amdhsa_exception_fp_ieee_underflow 0
		.amdhsa_exception_fp_ieee_inexact 0
		.amdhsa_exception_int_div_zero 0
	.end_amdhsa_kernel
	.section	.text._ZN7rocprim17ROCPRIM_400000_NS6detail17trampoline_kernelINS0_14default_configENS1_25transform_config_selectorItLb0EEEZNS1_14transform_implILb0ES3_S5_NS0_18transform_iteratorINS0_17counting_iteratorImlEEZNS1_24adjacent_difference_implIS3_Lb1ELb0EPKtPtN6thrust23THRUST_200600_302600_NS4plusItEEEE10hipError_tPvRmT2_T3_mT4_P12ihipStream_tbEUlmE_tEESD_NS0_8identityIvEEEESI_SL_SM_mSN_SP_bEUlT_E_NS1_11comp_targetILNS1_3genE10ELNS1_11target_archE1200ELNS1_3gpuE4ELNS1_3repE0EEENS1_30default_config_static_selectorELNS0_4arch9wavefront6targetE1EEEvT1_,"axG",@progbits,_ZN7rocprim17ROCPRIM_400000_NS6detail17trampoline_kernelINS0_14default_configENS1_25transform_config_selectorItLb0EEEZNS1_14transform_implILb0ES3_S5_NS0_18transform_iteratorINS0_17counting_iteratorImlEEZNS1_24adjacent_difference_implIS3_Lb1ELb0EPKtPtN6thrust23THRUST_200600_302600_NS4plusItEEEE10hipError_tPvRmT2_T3_mT4_P12ihipStream_tbEUlmE_tEESD_NS0_8identityIvEEEESI_SL_SM_mSN_SP_bEUlT_E_NS1_11comp_targetILNS1_3genE10ELNS1_11target_archE1200ELNS1_3gpuE4ELNS1_3repE0EEENS1_30default_config_static_selectorELNS0_4arch9wavefront6targetE1EEEvT1_,comdat
.Lfunc_end555:
	.size	_ZN7rocprim17ROCPRIM_400000_NS6detail17trampoline_kernelINS0_14default_configENS1_25transform_config_selectorItLb0EEEZNS1_14transform_implILb0ES3_S5_NS0_18transform_iteratorINS0_17counting_iteratorImlEEZNS1_24adjacent_difference_implIS3_Lb1ELb0EPKtPtN6thrust23THRUST_200600_302600_NS4plusItEEEE10hipError_tPvRmT2_T3_mT4_P12ihipStream_tbEUlmE_tEESD_NS0_8identityIvEEEESI_SL_SM_mSN_SP_bEUlT_E_NS1_11comp_targetILNS1_3genE10ELNS1_11target_archE1200ELNS1_3gpuE4ELNS1_3repE0EEENS1_30default_config_static_selectorELNS0_4arch9wavefront6targetE1EEEvT1_, .Lfunc_end555-_ZN7rocprim17ROCPRIM_400000_NS6detail17trampoline_kernelINS0_14default_configENS1_25transform_config_selectorItLb0EEEZNS1_14transform_implILb0ES3_S5_NS0_18transform_iteratorINS0_17counting_iteratorImlEEZNS1_24adjacent_difference_implIS3_Lb1ELb0EPKtPtN6thrust23THRUST_200600_302600_NS4plusItEEEE10hipError_tPvRmT2_T3_mT4_P12ihipStream_tbEUlmE_tEESD_NS0_8identityIvEEEESI_SL_SM_mSN_SP_bEUlT_E_NS1_11comp_targetILNS1_3genE10ELNS1_11target_archE1200ELNS1_3gpuE4ELNS1_3repE0EEENS1_30default_config_static_selectorELNS0_4arch9wavefront6targetE1EEEvT1_
                                        ; -- End function
	.section	.AMDGPU.csdata,"",@progbits
; Kernel info:
; codeLenInByte = 0
; NumSgprs: 4
; NumVgprs: 0
; NumAgprs: 0
; TotalNumVgprs: 0
; ScratchSize: 0
; MemoryBound: 0
; FloatMode: 240
; IeeeMode: 1
; LDSByteSize: 0 bytes/workgroup (compile time only)
; SGPRBlocks: 0
; VGPRBlocks: 0
; NumSGPRsForWavesPerEU: 4
; NumVGPRsForWavesPerEU: 1
; AccumOffset: 4
; Occupancy: 8
; WaveLimiterHint : 0
; COMPUTE_PGM_RSRC2:SCRATCH_EN: 0
; COMPUTE_PGM_RSRC2:USER_SGPR: 6
; COMPUTE_PGM_RSRC2:TRAP_HANDLER: 0
; COMPUTE_PGM_RSRC2:TGID_X_EN: 1
; COMPUTE_PGM_RSRC2:TGID_Y_EN: 0
; COMPUTE_PGM_RSRC2:TGID_Z_EN: 0
; COMPUTE_PGM_RSRC2:TIDIG_COMP_CNT: 0
; COMPUTE_PGM_RSRC3_GFX90A:ACCUM_OFFSET: 0
; COMPUTE_PGM_RSRC3_GFX90A:TG_SPLIT: 0
	.section	.text._ZN7rocprim17ROCPRIM_400000_NS6detail17trampoline_kernelINS0_14default_configENS1_25transform_config_selectorItLb0EEEZNS1_14transform_implILb0ES3_S5_NS0_18transform_iteratorINS0_17counting_iteratorImlEEZNS1_24adjacent_difference_implIS3_Lb1ELb0EPKtPtN6thrust23THRUST_200600_302600_NS4plusItEEEE10hipError_tPvRmT2_T3_mT4_P12ihipStream_tbEUlmE_tEESD_NS0_8identityIvEEEESI_SL_SM_mSN_SP_bEUlT_E_NS1_11comp_targetILNS1_3genE9ELNS1_11target_archE1100ELNS1_3gpuE3ELNS1_3repE0EEENS1_30default_config_static_selectorELNS0_4arch9wavefront6targetE1EEEvT1_,"axG",@progbits,_ZN7rocprim17ROCPRIM_400000_NS6detail17trampoline_kernelINS0_14default_configENS1_25transform_config_selectorItLb0EEEZNS1_14transform_implILb0ES3_S5_NS0_18transform_iteratorINS0_17counting_iteratorImlEEZNS1_24adjacent_difference_implIS3_Lb1ELb0EPKtPtN6thrust23THRUST_200600_302600_NS4plusItEEEE10hipError_tPvRmT2_T3_mT4_P12ihipStream_tbEUlmE_tEESD_NS0_8identityIvEEEESI_SL_SM_mSN_SP_bEUlT_E_NS1_11comp_targetILNS1_3genE9ELNS1_11target_archE1100ELNS1_3gpuE3ELNS1_3repE0EEENS1_30default_config_static_selectorELNS0_4arch9wavefront6targetE1EEEvT1_,comdat
	.protected	_ZN7rocprim17ROCPRIM_400000_NS6detail17trampoline_kernelINS0_14default_configENS1_25transform_config_selectorItLb0EEEZNS1_14transform_implILb0ES3_S5_NS0_18transform_iteratorINS0_17counting_iteratorImlEEZNS1_24adjacent_difference_implIS3_Lb1ELb0EPKtPtN6thrust23THRUST_200600_302600_NS4plusItEEEE10hipError_tPvRmT2_T3_mT4_P12ihipStream_tbEUlmE_tEESD_NS0_8identityIvEEEESI_SL_SM_mSN_SP_bEUlT_E_NS1_11comp_targetILNS1_3genE9ELNS1_11target_archE1100ELNS1_3gpuE3ELNS1_3repE0EEENS1_30default_config_static_selectorELNS0_4arch9wavefront6targetE1EEEvT1_ ; -- Begin function _ZN7rocprim17ROCPRIM_400000_NS6detail17trampoline_kernelINS0_14default_configENS1_25transform_config_selectorItLb0EEEZNS1_14transform_implILb0ES3_S5_NS0_18transform_iteratorINS0_17counting_iteratorImlEEZNS1_24adjacent_difference_implIS3_Lb1ELb0EPKtPtN6thrust23THRUST_200600_302600_NS4plusItEEEE10hipError_tPvRmT2_T3_mT4_P12ihipStream_tbEUlmE_tEESD_NS0_8identityIvEEEESI_SL_SM_mSN_SP_bEUlT_E_NS1_11comp_targetILNS1_3genE9ELNS1_11target_archE1100ELNS1_3gpuE3ELNS1_3repE0EEENS1_30default_config_static_selectorELNS0_4arch9wavefront6targetE1EEEvT1_
	.globl	_ZN7rocprim17ROCPRIM_400000_NS6detail17trampoline_kernelINS0_14default_configENS1_25transform_config_selectorItLb0EEEZNS1_14transform_implILb0ES3_S5_NS0_18transform_iteratorINS0_17counting_iteratorImlEEZNS1_24adjacent_difference_implIS3_Lb1ELb0EPKtPtN6thrust23THRUST_200600_302600_NS4plusItEEEE10hipError_tPvRmT2_T3_mT4_P12ihipStream_tbEUlmE_tEESD_NS0_8identityIvEEEESI_SL_SM_mSN_SP_bEUlT_E_NS1_11comp_targetILNS1_3genE9ELNS1_11target_archE1100ELNS1_3gpuE3ELNS1_3repE0EEENS1_30default_config_static_selectorELNS0_4arch9wavefront6targetE1EEEvT1_
	.p2align	8
	.type	_ZN7rocprim17ROCPRIM_400000_NS6detail17trampoline_kernelINS0_14default_configENS1_25transform_config_selectorItLb0EEEZNS1_14transform_implILb0ES3_S5_NS0_18transform_iteratorINS0_17counting_iteratorImlEEZNS1_24adjacent_difference_implIS3_Lb1ELb0EPKtPtN6thrust23THRUST_200600_302600_NS4plusItEEEE10hipError_tPvRmT2_T3_mT4_P12ihipStream_tbEUlmE_tEESD_NS0_8identityIvEEEESI_SL_SM_mSN_SP_bEUlT_E_NS1_11comp_targetILNS1_3genE9ELNS1_11target_archE1100ELNS1_3gpuE3ELNS1_3repE0EEENS1_30default_config_static_selectorELNS0_4arch9wavefront6targetE1EEEvT1_,@function
_ZN7rocprim17ROCPRIM_400000_NS6detail17trampoline_kernelINS0_14default_configENS1_25transform_config_selectorItLb0EEEZNS1_14transform_implILb0ES3_S5_NS0_18transform_iteratorINS0_17counting_iteratorImlEEZNS1_24adjacent_difference_implIS3_Lb1ELb0EPKtPtN6thrust23THRUST_200600_302600_NS4plusItEEEE10hipError_tPvRmT2_T3_mT4_P12ihipStream_tbEUlmE_tEESD_NS0_8identityIvEEEESI_SL_SM_mSN_SP_bEUlT_E_NS1_11comp_targetILNS1_3genE9ELNS1_11target_archE1100ELNS1_3gpuE3ELNS1_3repE0EEENS1_30default_config_static_selectorELNS0_4arch9wavefront6targetE1EEEvT1_: ; @_ZN7rocprim17ROCPRIM_400000_NS6detail17trampoline_kernelINS0_14default_configENS1_25transform_config_selectorItLb0EEEZNS1_14transform_implILb0ES3_S5_NS0_18transform_iteratorINS0_17counting_iteratorImlEEZNS1_24adjacent_difference_implIS3_Lb1ELb0EPKtPtN6thrust23THRUST_200600_302600_NS4plusItEEEE10hipError_tPvRmT2_T3_mT4_P12ihipStream_tbEUlmE_tEESD_NS0_8identityIvEEEESI_SL_SM_mSN_SP_bEUlT_E_NS1_11comp_targetILNS1_3genE9ELNS1_11target_archE1100ELNS1_3gpuE3ELNS1_3repE0EEENS1_30default_config_static_selectorELNS0_4arch9wavefront6targetE1EEEvT1_
; %bb.0:
	.section	.rodata,"a",@progbits
	.p2align	6, 0x0
	.amdhsa_kernel _ZN7rocprim17ROCPRIM_400000_NS6detail17trampoline_kernelINS0_14default_configENS1_25transform_config_selectorItLb0EEEZNS1_14transform_implILb0ES3_S5_NS0_18transform_iteratorINS0_17counting_iteratorImlEEZNS1_24adjacent_difference_implIS3_Lb1ELb0EPKtPtN6thrust23THRUST_200600_302600_NS4plusItEEEE10hipError_tPvRmT2_T3_mT4_P12ihipStream_tbEUlmE_tEESD_NS0_8identityIvEEEESI_SL_SM_mSN_SP_bEUlT_E_NS1_11comp_targetILNS1_3genE9ELNS1_11target_archE1100ELNS1_3gpuE3ELNS1_3repE0EEENS1_30default_config_static_selectorELNS0_4arch9wavefront6targetE1EEEvT1_
		.amdhsa_group_segment_fixed_size 0
		.amdhsa_private_segment_fixed_size 0
		.amdhsa_kernarg_size 56
		.amdhsa_user_sgpr_count 6
		.amdhsa_user_sgpr_private_segment_buffer 1
		.amdhsa_user_sgpr_dispatch_ptr 0
		.amdhsa_user_sgpr_queue_ptr 0
		.amdhsa_user_sgpr_kernarg_segment_ptr 1
		.amdhsa_user_sgpr_dispatch_id 0
		.amdhsa_user_sgpr_flat_scratch_init 0
		.amdhsa_user_sgpr_kernarg_preload_length 0
		.amdhsa_user_sgpr_kernarg_preload_offset 0
		.amdhsa_user_sgpr_private_segment_size 0
		.amdhsa_uses_dynamic_stack 0
		.amdhsa_system_sgpr_private_segment_wavefront_offset 0
		.amdhsa_system_sgpr_workgroup_id_x 1
		.amdhsa_system_sgpr_workgroup_id_y 0
		.amdhsa_system_sgpr_workgroup_id_z 0
		.amdhsa_system_sgpr_workgroup_info 0
		.amdhsa_system_vgpr_workitem_id 0
		.amdhsa_next_free_vgpr 1
		.amdhsa_next_free_sgpr 0
		.amdhsa_accum_offset 4
		.amdhsa_reserve_vcc 0
		.amdhsa_reserve_flat_scratch 0
		.amdhsa_float_round_mode_32 0
		.amdhsa_float_round_mode_16_64 0
		.amdhsa_float_denorm_mode_32 3
		.amdhsa_float_denorm_mode_16_64 3
		.amdhsa_dx10_clamp 1
		.amdhsa_ieee_mode 1
		.amdhsa_fp16_overflow 0
		.amdhsa_tg_split 0
		.amdhsa_exception_fp_ieee_invalid_op 0
		.amdhsa_exception_fp_denorm_src 0
		.amdhsa_exception_fp_ieee_div_zero 0
		.amdhsa_exception_fp_ieee_overflow 0
		.amdhsa_exception_fp_ieee_underflow 0
		.amdhsa_exception_fp_ieee_inexact 0
		.amdhsa_exception_int_div_zero 0
	.end_amdhsa_kernel
	.section	.text._ZN7rocprim17ROCPRIM_400000_NS6detail17trampoline_kernelINS0_14default_configENS1_25transform_config_selectorItLb0EEEZNS1_14transform_implILb0ES3_S5_NS0_18transform_iteratorINS0_17counting_iteratorImlEEZNS1_24adjacent_difference_implIS3_Lb1ELb0EPKtPtN6thrust23THRUST_200600_302600_NS4plusItEEEE10hipError_tPvRmT2_T3_mT4_P12ihipStream_tbEUlmE_tEESD_NS0_8identityIvEEEESI_SL_SM_mSN_SP_bEUlT_E_NS1_11comp_targetILNS1_3genE9ELNS1_11target_archE1100ELNS1_3gpuE3ELNS1_3repE0EEENS1_30default_config_static_selectorELNS0_4arch9wavefront6targetE1EEEvT1_,"axG",@progbits,_ZN7rocprim17ROCPRIM_400000_NS6detail17trampoline_kernelINS0_14default_configENS1_25transform_config_selectorItLb0EEEZNS1_14transform_implILb0ES3_S5_NS0_18transform_iteratorINS0_17counting_iteratorImlEEZNS1_24adjacent_difference_implIS3_Lb1ELb0EPKtPtN6thrust23THRUST_200600_302600_NS4plusItEEEE10hipError_tPvRmT2_T3_mT4_P12ihipStream_tbEUlmE_tEESD_NS0_8identityIvEEEESI_SL_SM_mSN_SP_bEUlT_E_NS1_11comp_targetILNS1_3genE9ELNS1_11target_archE1100ELNS1_3gpuE3ELNS1_3repE0EEENS1_30default_config_static_selectorELNS0_4arch9wavefront6targetE1EEEvT1_,comdat
.Lfunc_end556:
	.size	_ZN7rocprim17ROCPRIM_400000_NS6detail17trampoline_kernelINS0_14default_configENS1_25transform_config_selectorItLb0EEEZNS1_14transform_implILb0ES3_S5_NS0_18transform_iteratorINS0_17counting_iteratorImlEEZNS1_24adjacent_difference_implIS3_Lb1ELb0EPKtPtN6thrust23THRUST_200600_302600_NS4plusItEEEE10hipError_tPvRmT2_T3_mT4_P12ihipStream_tbEUlmE_tEESD_NS0_8identityIvEEEESI_SL_SM_mSN_SP_bEUlT_E_NS1_11comp_targetILNS1_3genE9ELNS1_11target_archE1100ELNS1_3gpuE3ELNS1_3repE0EEENS1_30default_config_static_selectorELNS0_4arch9wavefront6targetE1EEEvT1_, .Lfunc_end556-_ZN7rocprim17ROCPRIM_400000_NS6detail17trampoline_kernelINS0_14default_configENS1_25transform_config_selectorItLb0EEEZNS1_14transform_implILb0ES3_S5_NS0_18transform_iteratorINS0_17counting_iteratorImlEEZNS1_24adjacent_difference_implIS3_Lb1ELb0EPKtPtN6thrust23THRUST_200600_302600_NS4plusItEEEE10hipError_tPvRmT2_T3_mT4_P12ihipStream_tbEUlmE_tEESD_NS0_8identityIvEEEESI_SL_SM_mSN_SP_bEUlT_E_NS1_11comp_targetILNS1_3genE9ELNS1_11target_archE1100ELNS1_3gpuE3ELNS1_3repE0EEENS1_30default_config_static_selectorELNS0_4arch9wavefront6targetE1EEEvT1_
                                        ; -- End function
	.section	.AMDGPU.csdata,"",@progbits
; Kernel info:
; codeLenInByte = 0
; NumSgprs: 4
; NumVgprs: 0
; NumAgprs: 0
; TotalNumVgprs: 0
; ScratchSize: 0
; MemoryBound: 0
; FloatMode: 240
; IeeeMode: 1
; LDSByteSize: 0 bytes/workgroup (compile time only)
; SGPRBlocks: 0
; VGPRBlocks: 0
; NumSGPRsForWavesPerEU: 4
; NumVGPRsForWavesPerEU: 1
; AccumOffset: 4
; Occupancy: 8
; WaveLimiterHint : 0
; COMPUTE_PGM_RSRC2:SCRATCH_EN: 0
; COMPUTE_PGM_RSRC2:USER_SGPR: 6
; COMPUTE_PGM_RSRC2:TRAP_HANDLER: 0
; COMPUTE_PGM_RSRC2:TGID_X_EN: 1
; COMPUTE_PGM_RSRC2:TGID_Y_EN: 0
; COMPUTE_PGM_RSRC2:TGID_Z_EN: 0
; COMPUTE_PGM_RSRC2:TIDIG_COMP_CNT: 0
; COMPUTE_PGM_RSRC3_GFX90A:ACCUM_OFFSET: 0
; COMPUTE_PGM_RSRC3_GFX90A:TG_SPLIT: 0
	.section	.text._ZN7rocprim17ROCPRIM_400000_NS6detail17trampoline_kernelINS0_14default_configENS1_25transform_config_selectorItLb0EEEZNS1_14transform_implILb0ES3_S5_NS0_18transform_iteratorINS0_17counting_iteratorImlEEZNS1_24adjacent_difference_implIS3_Lb1ELb0EPKtPtN6thrust23THRUST_200600_302600_NS4plusItEEEE10hipError_tPvRmT2_T3_mT4_P12ihipStream_tbEUlmE_tEESD_NS0_8identityIvEEEESI_SL_SM_mSN_SP_bEUlT_E_NS1_11comp_targetILNS1_3genE8ELNS1_11target_archE1030ELNS1_3gpuE2ELNS1_3repE0EEENS1_30default_config_static_selectorELNS0_4arch9wavefront6targetE1EEEvT1_,"axG",@progbits,_ZN7rocprim17ROCPRIM_400000_NS6detail17trampoline_kernelINS0_14default_configENS1_25transform_config_selectorItLb0EEEZNS1_14transform_implILb0ES3_S5_NS0_18transform_iteratorINS0_17counting_iteratorImlEEZNS1_24adjacent_difference_implIS3_Lb1ELb0EPKtPtN6thrust23THRUST_200600_302600_NS4plusItEEEE10hipError_tPvRmT2_T3_mT4_P12ihipStream_tbEUlmE_tEESD_NS0_8identityIvEEEESI_SL_SM_mSN_SP_bEUlT_E_NS1_11comp_targetILNS1_3genE8ELNS1_11target_archE1030ELNS1_3gpuE2ELNS1_3repE0EEENS1_30default_config_static_selectorELNS0_4arch9wavefront6targetE1EEEvT1_,comdat
	.protected	_ZN7rocprim17ROCPRIM_400000_NS6detail17trampoline_kernelINS0_14default_configENS1_25transform_config_selectorItLb0EEEZNS1_14transform_implILb0ES3_S5_NS0_18transform_iteratorINS0_17counting_iteratorImlEEZNS1_24adjacent_difference_implIS3_Lb1ELb0EPKtPtN6thrust23THRUST_200600_302600_NS4plusItEEEE10hipError_tPvRmT2_T3_mT4_P12ihipStream_tbEUlmE_tEESD_NS0_8identityIvEEEESI_SL_SM_mSN_SP_bEUlT_E_NS1_11comp_targetILNS1_3genE8ELNS1_11target_archE1030ELNS1_3gpuE2ELNS1_3repE0EEENS1_30default_config_static_selectorELNS0_4arch9wavefront6targetE1EEEvT1_ ; -- Begin function _ZN7rocprim17ROCPRIM_400000_NS6detail17trampoline_kernelINS0_14default_configENS1_25transform_config_selectorItLb0EEEZNS1_14transform_implILb0ES3_S5_NS0_18transform_iteratorINS0_17counting_iteratorImlEEZNS1_24adjacent_difference_implIS3_Lb1ELb0EPKtPtN6thrust23THRUST_200600_302600_NS4plusItEEEE10hipError_tPvRmT2_T3_mT4_P12ihipStream_tbEUlmE_tEESD_NS0_8identityIvEEEESI_SL_SM_mSN_SP_bEUlT_E_NS1_11comp_targetILNS1_3genE8ELNS1_11target_archE1030ELNS1_3gpuE2ELNS1_3repE0EEENS1_30default_config_static_selectorELNS0_4arch9wavefront6targetE1EEEvT1_
	.globl	_ZN7rocprim17ROCPRIM_400000_NS6detail17trampoline_kernelINS0_14default_configENS1_25transform_config_selectorItLb0EEEZNS1_14transform_implILb0ES3_S5_NS0_18transform_iteratorINS0_17counting_iteratorImlEEZNS1_24adjacent_difference_implIS3_Lb1ELb0EPKtPtN6thrust23THRUST_200600_302600_NS4plusItEEEE10hipError_tPvRmT2_T3_mT4_P12ihipStream_tbEUlmE_tEESD_NS0_8identityIvEEEESI_SL_SM_mSN_SP_bEUlT_E_NS1_11comp_targetILNS1_3genE8ELNS1_11target_archE1030ELNS1_3gpuE2ELNS1_3repE0EEENS1_30default_config_static_selectorELNS0_4arch9wavefront6targetE1EEEvT1_
	.p2align	8
	.type	_ZN7rocprim17ROCPRIM_400000_NS6detail17trampoline_kernelINS0_14default_configENS1_25transform_config_selectorItLb0EEEZNS1_14transform_implILb0ES3_S5_NS0_18transform_iteratorINS0_17counting_iteratorImlEEZNS1_24adjacent_difference_implIS3_Lb1ELb0EPKtPtN6thrust23THRUST_200600_302600_NS4plusItEEEE10hipError_tPvRmT2_T3_mT4_P12ihipStream_tbEUlmE_tEESD_NS0_8identityIvEEEESI_SL_SM_mSN_SP_bEUlT_E_NS1_11comp_targetILNS1_3genE8ELNS1_11target_archE1030ELNS1_3gpuE2ELNS1_3repE0EEENS1_30default_config_static_selectorELNS0_4arch9wavefront6targetE1EEEvT1_,@function
_ZN7rocprim17ROCPRIM_400000_NS6detail17trampoline_kernelINS0_14default_configENS1_25transform_config_selectorItLb0EEEZNS1_14transform_implILb0ES3_S5_NS0_18transform_iteratorINS0_17counting_iteratorImlEEZNS1_24adjacent_difference_implIS3_Lb1ELb0EPKtPtN6thrust23THRUST_200600_302600_NS4plusItEEEE10hipError_tPvRmT2_T3_mT4_P12ihipStream_tbEUlmE_tEESD_NS0_8identityIvEEEESI_SL_SM_mSN_SP_bEUlT_E_NS1_11comp_targetILNS1_3genE8ELNS1_11target_archE1030ELNS1_3gpuE2ELNS1_3repE0EEENS1_30default_config_static_selectorELNS0_4arch9wavefront6targetE1EEEvT1_: ; @_ZN7rocprim17ROCPRIM_400000_NS6detail17trampoline_kernelINS0_14default_configENS1_25transform_config_selectorItLb0EEEZNS1_14transform_implILb0ES3_S5_NS0_18transform_iteratorINS0_17counting_iteratorImlEEZNS1_24adjacent_difference_implIS3_Lb1ELb0EPKtPtN6thrust23THRUST_200600_302600_NS4plusItEEEE10hipError_tPvRmT2_T3_mT4_P12ihipStream_tbEUlmE_tEESD_NS0_8identityIvEEEESI_SL_SM_mSN_SP_bEUlT_E_NS1_11comp_targetILNS1_3genE8ELNS1_11target_archE1030ELNS1_3gpuE2ELNS1_3repE0EEENS1_30default_config_static_selectorELNS0_4arch9wavefront6targetE1EEEvT1_
; %bb.0:
	.section	.rodata,"a",@progbits
	.p2align	6, 0x0
	.amdhsa_kernel _ZN7rocprim17ROCPRIM_400000_NS6detail17trampoline_kernelINS0_14default_configENS1_25transform_config_selectorItLb0EEEZNS1_14transform_implILb0ES3_S5_NS0_18transform_iteratorINS0_17counting_iteratorImlEEZNS1_24adjacent_difference_implIS3_Lb1ELb0EPKtPtN6thrust23THRUST_200600_302600_NS4plusItEEEE10hipError_tPvRmT2_T3_mT4_P12ihipStream_tbEUlmE_tEESD_NS0_8identityIvEEEESI_SL_SM_mSN_SP_bEUlT_E_NS1_11comp_targetILNS1_3genE8ELNS1_11target_archE1030ELNS1_3gpuE2ELNS1_3repE0EEENS1_30default_config_static_selectorELNS0_4arch9wavefront6targetE1EEEvT1_
		.amdhsa_group_segment_fixed_size 0
		.amdhsa_private_segment_fixed_size 0
		.amdhsa_kernarg_size 56
		.amdhsa_user_sgpr_count 6
		.amdhsa_user_sgpr_private_segment_buffer 1
		.amdhsa_user_sgpr_dispatch_ptr 0
		.amdhsa_user_sgpr_queue_ptr 0
		.amdhsa_user_sgpr_kernarg_segment_ptr 1
		.amdhsa_user_sgpr_dispatch_id 0
		.amdhsa_user_sgpr_flat_scratch_init 0
		.amdhsa_user_sgpr_kernarg_preload_length 0
		.amdhsa_user_sgpr_kernarg_preload_offset 0
		.amdhsa_user_sgpr_private_segment_size 0
		.amdhsa_uses_dynamic_stack 0
		.amdhsa_system_sgpr_private_segment_wavefront_offset 0
		.amdhsa_system_sgpr_workgroup_id_x 1
		.amdhsa_system_sgpr_workgroup_id_y 0
		.amdhsa_system_sgpr_workgroup_id_z 0
		.amdhsa_system_sgpr_workgroup_info 0
		.amdhsa_system_vgpr_workitem_id 0
		.amdhsa_next_free_vgpr 1
		.amdhsa_next_free_sgpr 0
		.amdhsa_accum_offset 4
		.amdhsa_reserve_vcc 0
		.amdhsa_reserve_flat_scratch 0
		.amdhsa_float_round_mode_32 0
		.amdhsa_float_round_mode_16_64 0
		.amdhsa_float_denorm_mode_32 3
		.amdhsa_float_denorm_mode_16_64 3
		.amdhsa_dx10_clamp 1
		.amdhsa_ieee_mode 1
		.amdhsa_fp16_overflow 0
		.amdhsa_tg_split 0
		.amdhsa_exception_fp_ieee_invalid_op 0
		.amdhsa_exception_fp_denorm_src 0
		.amdhsa_exception_fp_ieee_div_zero 0
		.amdhsa_exception_fp_ieee_overflow 0
		.amdhsa_exception_fp_ieee_underflow 0
		.amdhsa_exception_fp_ieee_inexact 0
		.amdhsa_exception_int_div_zero 0
	.end_amdhsa_kernel
	.section	.text._ZN7rocprim17ROCPRIM_400000_NS6detail17trampoline_kernelINS0_14default_configENS1_25transform_config_selectorItLb0EEEZNS1_14transform_implILb0ES3_S5_NS0_18transform_iteratorINS0_17counting_iteratorImlEEZNS1_24adjacent_difference_implIS3_Lb1ELb0EPKtPtN6thrust23THRUST_200600_302600_NS4plusItEEEE10hipError_tPvRmT2_T3_mT4_P12ihipStream_tbEUlmE_tEESD_NS0_8identityIvEEEESI_SL_SM_mSN_SP_bEUlT_E_NS1_11comp_targetILNS1_3genE8ELNS1_11target_archE1030ELNS1_3gpuE2ELNS1_3repE0EEENS1_30default_config_static_selectorELNS0_4arch9wavefront6targetE1EEEvT1_,"axG",@progbits,_ZN7rocprim17ROCPRIM_400000_NS6detail17trampoline_kernelINS0_14default_configENS1_25transform_config_selectorItLb0EEEZNS1_14transform_implILb0ES3_S5_NS0_18transform_iteratorINS0_17counting_iteratorImlEEZNS1_24adjacent_difference_implIS3_Lb1ELb0EPKtPtN6thrust23THRUST_200600_302600_NS4plusItEEEE10hipError_tPvRmT2_T3_mT4_P12ihipStream_tbEUlmE_tEESD_NS0_8identityIvEEEESI_SL_SM_mSN_SP_bEUlT_E_NS1_11comp_targetILNS1_3genE8ELNS1_11target_archE1030ELNS1_3gpuE2ELNS1_3repE0EEENS1_30default_config_static_selectorELNS0_4arch9wavefront6targetE1EEEvT1_,comdat
.Lfunc_end557:
	.size	_ZN7rocprim17ROCPRIM_400000_NS6detail17trampoline_kernelINS0_14default_configENS1_25transform_config_selectorItLb0EEEZNS1_14transform_implILb0ES3_S5_NS0_18transform_iteratorINS0_17counting_iteratorImlEEZNS1_24adjacent_difference_implIS3_Lb1ELb0EPKtPtN6thrust23THRUST_200600_302600_NS4plusItEEEE10hipError_tPvRmT2_T3_mT4_P12ihipStream_tbEUlmE_tEESD_NS0_8identityIvEEEESI_SL_SM_mSN_SP_bEUlT_E_NS1_11comp_targetILNS1_3genE8ELNS1_11target_archE1030ELNS1_3gpuE2ELNS1_3repE0EEENS1_30default_config_static_selectorELNS0_4arch9wavefront6targetE1EEEvT1_, .Lfunc_end557-_ZN7rocprim17ROCPRIM_400000_NS6detail17trampoline_kernelINS0_14default_configENS1_25transform_config_selectorItLb0EEEZNS1_14transform_implILb0ES3_S5_NS0_18transform_iteratorINS0_17counting_iteratorImlEEZNS1_24adjacent_difference_implIS3_Lb1ELb0EPKtPtN6thrust23THRUST_200600_302600_NS4plusItEEEE10hipError_tPvRmT2_T3_mT4_P12ihipStream_tbEUlmE_tEESD_NS0_8identityIvEEEESI_SL_SM_mSN_SP_bEUlT_E_NS1_11comp_targetILNS1_3genE8ELNS1_11target_archE1030ELNS1_3gpuE2ELNS1_3repE0EEENS1_30default_config_static_selectorELNS0_4arch9wavefront6targetE1EEEvT1_
                                        ; -- End function
	.section	.AMDGPU.csdata,"",@progbits
; Kernel info:
; codeLenInByte = 0
; NumSgprs: 4
; NumVgprs: 0
; NumAgprs: 0
; TotalNumVgprs: 0
; ScratchSize: 0
; MemoryBound: 0
; FloatMode: 240
; IeeeMode: 1
; LDSByteSize: 0 bytes/workgroup (compile time only)
; SGPRBlocks: 0
; VGPRBlocks: 0
; NumSGPRsForWavesPerEU: 4
; NumVGPRsForWavesPerEU: 1
; AccumOffset: 4
; Occupancy: 8
; WaveLimiterHint : 0
; COMPUTE_PGM_RSRC2:SCRATCH_EN: 0
; COMPUTE_PGM_RSRC2:USER_SGPR: 6
; COMPUTE_PGM_RSRC2:TRAP_HANDLER: 0
; COMPUTE_PGM_RSRC2:TGID_X_EN: 1
; COMPUTE_PGM_RSRC2:TGID_Y_EN: 0
; COMPUTE_PGM_RSRC2:TGID_Z_EN: 0
; COMPUTE_PGM_RSRC2:TIDIG_COMP_CNT: 0
; COMPUTE_PGM_RSRC3_GFX90A:ACCUM_OFFSET: 0
; COMPUTE_PGM_RSRC3_GFX90A:TG_SPLIT: 0
	.section	.text._ZN7rocprim17ROCPRIM_400000_NS6detail17trampoline_kernelINS0_14default_configENS1_35adjacent_difference_config_selectorILb1EtEEZNS1_24adjacent_difference_implIS3_Lb1ELb0EPKtPtN6thrust23THRUST_200600_302600_NS4plusItEEEE10hipError_tPvRmT2_T3_mT4_P12ihipStream_tbEUlT_E_NS1_11comp_targetILNS1_3genE0ELNS1_11target_archE4294967295ELNS1_3gpuE0ELNS1_3repE0EEENS1_30default_config_static_selectorELNS0_4arch9wavefront6targetE1EEEvT1_,"axG",@progbits,_ZN7rocprim17ROCPRIM_400000_NS6detail17trampoline_kernelINS0_14default_configENS1_35adjacent_difference_config_selectorILb1EtEEZNS1_24adjacent_difference_implIS3_Lb1ELb0EPKtPtN6thrust23THRUST_200600_302600_NS4plusItEEEE10hipError_tPvRmT2_T3_mT4_P12ihipStream_tbEUlT_E_NS1_11comp_targetILNS1_3genE0ELNS1_11target_archE4294967295ELNS1_3gpuE0ELNS1_3repE0EEENS1_30default_config_static_selectorELNS0_4arch9wavefront6targetE1EEEvT1_,comdat
	.protected	_ZN7rocprim17ROCPRIM_400000_NS6detail17trampoline_kernelINS0_14default_configENS1_35adjacent_difference_config_selectorILb1EtEEZNS1_24adjacent_difference_implIS3_Lb1ELb0EPKtPtN6thrust23THRUST_200600_302600_NS4plusItEEEE10hipError_tPvRmT2_T3_mT4_P12ihipStream_tbEUlT_E_NS1_11comp_targetILNS1_3genE0ELNS1_11target_archE4294967295ELNS1_3gpuE0ELNS1_3repE0EEENS1_30default_config_static_selectorELNS0_4arch9wavefront6targetE1EEEvT1_ ; -- Begin function _ZN7rocprim17ROCPRIM_400000_NS6detail17trampoline_kernelINS0_14default_configENS1_35adjacent_difference_config_selectorILb1EtEEZNS1_24adjacent_difference_implIS3_Lb1ELb0EPKtPtN6thrust23THRUST_200600_302600_NS4plusItEEEE10hipError_tPvRmT2_T3_mT4_P12ihipStream_tbEUlT_E_NS1_11comp_targetILNS1_3genE0ELNS1_11target_archE4294967295ELNS1_3gpuE0ELNS1_3repE0EEENS1_30default_config_static_selectorELNS0_4arch9wavefront6targetE1EEEvT1_
	.globl	_ZN7rocprim17ROCPRIM_400000_NS6detail17trampoline_kernelINS0_14default_configENS1_35adjacent_difference_config_selectorILb1EtEEZNS1_24adjacent_difference_implIS3_Lb1ELb0EPKtPtN6thrust23THRUST_200600_302600_NS4plusItEEEE10hipError_tPvRmT2_T3_mT4_P12ihipStream_tbEUlT_E_NS1_11comp_targetILNS1_3genE0ELNS1_11target_archE4294967295ELNS1_3gpuE0ELNS1_3repE0EEENS1_30default_config_static_selectorELNS0_4arch9wavefront6targetE1EEEvT1_
	.p2align	8
	.type	_ZN7rocprim17ROCPRIM_400000_NS6detail17trampoline_kernelINS0_14default_configENS1_35adjacent_difference_config_selectorILb1EtEEZNS1_24adjacent_difference_implIS3_Lb1ELb0EPKtPtN6thrust23THRUST_200600_302600_NS4plusItEEEE10hipError_tPvRmT2_T3_mT4_P12ihipStream_tbEUlT_E_NS1_11comp_targetILNS1_3genE0ELNS1_11target_archE4294967295ELNS1_3gpuE0ELNS1_3repE0EEENS1_30default_config_static_selectorELNS0_4arch9wavefront6targetE1EEEvT1_,@function
_ZN7rocprim17ROCPRIM_400000_NS6detail17trampoline_kernelINS0_14default_configENS1_35adjacent_difference_config_selectorILb1EtEEZNS1_24adjacent_difference_implIS3_Lb1ELb0EPKtPtN6thrust23THRUST_200600_302600_NS4plusItEEEE10hipError_tPvRmT2_T3_mT4_P12ihipStream_tbEUlT_E_NS1_11comp_targetILNS1_3genE0ELNS1_11target_archE4294967295ELNS1_3gpuE0ELNS1_3repE0EEENS1_30default_config_static_selectorELNS0_4arch9wavefront6targetE1EEEvT1_: ; @_ZN7rocprim17ROCPRIM_400000_NS6detail17trampoline_kernelINS0_14default_configENS1_35adjacent_difference_config_selectorILb1EtEEZNS1_24adjacent_difference_implIS3_Lb1ELb0EPKtPtN6thrust23THRUST_200600_302600_NS4plusItEEEE10hipError_tPvRmT2_T3_mT4_P12ihipStream_tbEUlT_E_NS1_11comp_targetILNS1_3genE0ELNS1_11target_archE4294967295ELNS1_3gpuE0ELNS1_3repE0EEENS1_30default_config_static_selectorELNS0_4arch9wavefront6targetE1EEEvT1_
; %bb.0:
	.section	.rodata,"a",@progbits
	.p2align	6, 0x0
	.amdhsa_kernel _ZN7rocprim17ROCPRIM_400000_NS6detail17trampoline_kernelINS0_14default_configENS1_35adjacent_difference_config_selectorILb1EtEEZNS1_24adjacent_difference_implIS3_Lb1ELb0EPKtPtN6thrust23THRUST_200600_302600_NS4plusItEEEE10hipError_tPvRmT2_T3_mT4_P12ihipStream_tbEUlT_E_NS1_11comp_targetILNS1_3genE0ELNS1_11target_archE4294967295ELNS1_3gpuE0ELNS1_3repE0EEENS1_30default_config_static_selectorELNS0_4arch9wavefront6targetE1EEEvT1_
		.amdhsa_group_segment_fixed_size 0
		.amdhsa_private_segment_fixed_size 0
		.amdhsa_kernarg_size 56
		.amdhsa_user_sgpr_count 6
		.amdhsa_user_sgpr_private_segment_buffer 1
		.amdhsa_user_sgpr_dispatch_ptr 0
		.amdhsa_user_sgpr_queue_ptr 0
		.amdhsa_user_sgpr_kernarg_segment_ptr 1
		.amdhsa_user_sgpr_dispatch_id 0
		.amdhsa_user_sgpr_flat_scratch_init 0
		.amdhsa_user_sgpr_kernarg_preload_length 0
		.amdhsa_user_sgpr_kernarg_preload_offset 0
		.amdhsa_user_sgpr_private_segment_size 0
		.amdhsa_uses_dynamic_stack 0
		.amdhsa_system_sgpr_private_segment_wavefront_offset 0
		.amdhsa_system_sgpr_workgroup_id_x 1
		.amdhsa_system_sgpr_workgroup_id_y 0
		.amdhsa_system_sgpr_workgroup_id_z 0
		.amdhsa_system_sgpr_workgroup_info 0
		.amdhsa_system_vgpr_workitem_id 0
		.amdhsa_next_free_vgpr 1
		.amdhsa_next_free_sgpr 0
		.amdhsa_accum_offset 4
		.amdhsa_reserve_vcc 0
		.amdhsa_reserve_flat_scratch 0
		.amdhsa_float_round_mode_32 0
		.amdhsa_float_round_mode_16_64 0
		.amdhsa_float_denorm_mode_32 3
		.amdhsa_float_denorm_mode_16_64 3
		.amdhsa_dx10_clamp 1
		.amdhsa_ieee_mode 1
		.amdhsa_fp16_overflow 0
		.amdhsa_tg_split 0
		.amdhsa_exception_fp_ieee_invalid_op 0
		.amdhsa_exception_fp_denorm_src 0
		.amdhsa_exception_fp_ieee_div_zero 0
		.amdhsa_exception_fp_ieee_overflow 0
		.amdhsa_exception_fp_ieee_underflow 0
		.amdhsa_exception_fp_ieee_inexact 0
		.amdhsa_exception_int_div_zero 0
	.end_amdhsa_kernel
	.section	.text._ZN7rocprim17ROCPRIM_400000_NS6detail17trampoline_kernelINS0_14default_configENS1_35adjacent_difference_config_selectorILb1EtEEZNS1_24adjacent_difference_implIS3_Lb1ELb0EPKtPtN6thrust23THRUST_200600_302600_NS4plusItEEEE10hipError_tPvRmT2_T3_mT4_P12ihipStream_tbEUlT_E_NS1_11comp_targetILNS1_3genE0ELNS1_11target_archE4294967295ELNS1_3gpuE0ELNS1_3repE0EEENS1_30default_config_static_selectorELNS0_4arch9wavefront6targetE1EEEvT1_,"axG",@progbits,_ZN7rocprim17ROCPRIM_400000_NS6detail17trampoline_kernelINS0_14default_configENS1_35adjacent_difference_config_selectorILb1EtEEZNS1_24adjacent_difference_implIS3_Lb1ELb0EPKtPtN6thrust23THRUST_200600_302600_NS4plusItEEEE10hipError_tPvRmT2_T3_mT4_P12ihipStream_tbEUlT_E_NS1_11comp_targetILNS1_3genE0ELNS1_11target_archE4294967295ELNS1_3gpuE0ELNS1_3repE0EEENS1_30default_config_static_selectorELNS0_4arch9wavefront6targetE1EEEvT1_,comdat
.Lfunc_end558:
	.size	_ZN7rocprim17ROCPRIM_400000_NS6detail17trampoline_kernelINS0_14default_configENS1_35adjacent_difference_config_selectorILb1EtEEZNS1_24adjacent_difference_implIS3_Lb1ELb0EPKtPtN6thrust23THRUST_200600_302600_NS4plusItEEEE10hipError_tPvRmT2_T3_mT4_P12ihipStream_tbEUlT_E_NS1_11comp_targetILNS1_3genE0ELNS1_11target_archE4294967295ELNS1_3gpuE0ELNS1_3repE0EEENS1_30default_config_static_selectorELNS0_4arch9wavefront6targetE1EEEvT1_, .Lfunc_end558-_ZN7rocprim17ROCPRIM_400000_NS6detail17trampoline_kernelINS0_14default_configENS1_35adjacent_difference_config_selectorILb1EtEEZNS1_24adjacent_difference_implIS3_Lb1ELb0EPKtPtN6thrust23THRUST_200600_302600_NS4plusItEEEE10hipError_tPvRmT2_T3_mT4_P12ihipStream_tbEUlT_E_NS1_11comp_targetILNS1_3genE0ELNS1_11target_archE4294967295ELNS1_3gpuE0ELNS1_3repE0EEENS1_30default_config_static_selectorELNS0_4arch9wavefront6targetE1EEEvT1_
                                        ; -- End function
	.section	.AMDGPU.csdata,"",@progbits
; Kernel info:
; codeLenInByte = 0
; NumSgprs: 4
; NumVgprs: 0
; NumAgprs: 0
; TotalNumVgprs: 0
; ScratchSize: 0
; MemoryBound: 0
; FloatMode: 240
; IeeeMode: 1
; LDSByteSize: 0 bytes/workgroup (compile time only)
; SGPRBlocks: 0
; VGPRBlocks: 0
; NumSGPRsForWavesPerEU: 4
; NumVGPRsForWavesPerEU: 1
; AccumOffset: 4
; Occupancy: 8
; WaveLimiterHint : 0
; COMPUTE_PGM_RSRC2:SCRATCH_EN: 0
; COMPUTE_PGM_RSRC2:USER_SGPR: 6
; COMPUTE_PGM_RSRC2:TRAP_HANDLER: 0
; COMPUTE_PGM_RSRC2:TGID_X_EN: 1
; COMPUTE_PGM_RSRC2:TGID_Y_EN: 0
; COMPUTE_PGM_RSRC2:TGID_Z_EN: 0
; COMPUTE_PGM_RSRC2:TIDIG_COMP_CNT: 0
; COMPUTE_PGM_RSRC3_GFX90A:ACCUM_OFFSET: 0
; COMPUTE_PGM_RSRC3_GFX90A:TG_SPLIT: 0
	.section	.text._ZN7rocprim17ROCPRIM_400000_NS6detail17trampoline_kernelINS0_14default_configENS1_35adjacent_difference_config_selectorILb1EtEEZNS1_24adjacent_difference_implIS3_Lb1ELb0EPKtPtN6thrust23THRUST_200600_302600_NS4plusItEEEE10hipError_tPvRmT2_T3_mT4_P12ihipStream_tbEUlT_E_NS1_11comp_targetILNS1_3genE10ELNS1_11target_archE1201ELNS1_3gpuE5ELNS1_3repE0EEENS1_30default_config_static_selectorELNS0_4arch9wavefront6targetE1EEEvT1_,"axG",@progbits,_ZN7rocprim17ROCPRIM_400000_NS6detail17trampoline_kernelINS0_14default_configENS1_35adjacent_difference_config_selectorILb1EtEEZNS1_24adjacent_difference_implIS3_Lb1ELb0EPKtPtN6thrust23THRUST_200600_302600_NS4plusItEEEE10hipError_tPvRmT2_T3_mT4_P12ihipStream_tbEUlT_E_NS1_11comp_targetILNS1_3genE10ELNS1_11target_archE1201ELNS1_3gpuE5ELNS1_3repE0EEENS1_30default_config_static_selectorELNS0_4arch9wavefront6targetE1EEEvT1_,comdat
	.protected	_ZN7rocprim17ROCPRIM_400000_NS6detail17trampoline_kernelINS0_14default_configENS1_35adjacent_difference_config_selectorILb1EtEEZNS1_24adjacent_difference_implIS3_Lb1ELb0EPKtPtN6thrust23THRUST_200600_302600_NS4plusItEEEE10hipError_tPvRmT2_T3_mT4_P12ihipStream_tbEUlT_E_NS1_11comp_targetILNS1_3genE10ELNS1_11target_archE1201ELNS1_3gpuE5ELNS1_3repE0EEENS1_30default_config_static_selectorELNS0_4arch9wavefront6targetE1EEEvT1_ ; -- Begin function _ZN7rocprim17ROCPRIM_400000_NS6detail17trampoline_kernelINS0_14default_configENS1_35adjacent_difference_config_selectorILb1EtEEZNS1_24adjacent_difference_implIS3_Lb1ELb0EPKtPtN6thrust23THRUST_200600_302600_NS4plusItEEEE10hipError_tPvRmT2_T3_mT4_P12ihipStream_tbEUlT_E_NS1_11comp_targetILNS1_3genE10ELNS1_11target_archE1201ELNS1_3gpuE5ELNS1_3repE0EEENS1_30default_config_static_selectorELNS0_4arch9wavefront6targetE1EEEvT1_
	.globl	_ZN7rocprim17ROCPRIM_400000_NS6detail17trampoline_kernelINS0_14default_configENS1_35adjacent_difference_config_selectorILb1EtEEZNS1_24adjacent_difference_implIS3_Lb1ELb0EPKtPtN6thrust23THRUST_200600_302600_NS4plusItEEEE10hipError_tPvRmT2_T3_mT4_P12ihipStream_tbEUlT_E_NS1_11comp_targetILNS1_3genE10ELNS1_11target_archE1201ELNS1_3gpuE5ELNS1_3repE0EEENS1_30default_config_static_selectorELNS0_4arch9wavefront6targetE1EEEvT1_
	.p2align	8
	.type	_ZN7rocprim17ROCPRIM_400000_NS6detail17trampoline_kernelINS0_14default_configENS1_35adjacent_difference_config_selectorILb1EtEEZNS1_24adjacent_difference_implIS3_Lb1ELb0EPKtPtN6thrust23THRUST_200600_302600_NS4plusItEEEE10hipError_tPvRmT2_T3_mT4_P12ihipStream_tbEUlT_E_NS1_11comp_targetILNS1_3genE10ELNS1_11target_archE1201ELNS1_3gpuE5ELNS1_3repE0EEENS1_30default_config_static_selectorELNS0_4arch9wavefront6targetE1EEEvT1_,@function
_ZN7rocprim17ROCPRIM_400000_NS6detail17trampoline_kernelINS0_14default_configENS1_35adjacent_difference_config_selectorILb1EtEEZNS1_24adjacent_difference_implIS3_Lb1ELb0EPKtPtN6thrust23THRUST_200600_302600_NS4plusItEEEE10hipError_tPvRmT2_T3_mT4_P12ihipStream_tbEUlT_E_NS1_11comp_targetILNS1_3genE10ELNS1_11target_archE1201ELNS1_3gpuE5ELNS1_3repE0EEENS1_30default_config_static_selectorELNS0_4arch9wavefront6targetE1EEEvT1_: ; @_ZN7rocprim17ROCPRIM_400000_NS6detail17trampoline_kernelINS0_14default_configENS1_35adjacent_difference_config_selectorILb1EtEEZNS1_24adjacent_difference_implIS3_Lb1ELb0EPKtPtN6thrust23THRUST_200600_302600_NS4plusItEEEE10hipError_tPvRmT2_T3_mT4_P12ihipStream_tbEUlT_E_NS1_11comp_targetILNS1_3genE10ELNS1_11target_archE1201ELNS1_3gpuE5ELNS1_3repE0EEENS1_30default_config_static_selectorELNS0_4arch9wavefront6targetE1EEEvT1_
; %bb.0:
	.section	.rodata,"a",@progbits
	.p2align	6, 0x0
	.amdhsa_kernel _ZN7rocprim17ROCPRIM_400000_NS6detail17trampoline_kernelINS0_14default_configENS1_35adjacent_difference_config_selectorILb1EtEEZNS1_24adjacent_difference_implIS3_Lb1ELb0EPKtPtN6thrust23THRUST_200600_302600_NS4plusItEEEE10hipError_tPvRmT2_T3_mT4_P12ihipStream_tbEUlT_E_NS1_11comp_targetILNS1_3genE10ELNS1_11target_archE1201ELNS1_3gpuE5ELNS1_3repE0EEENS1_30default_config_static_selectorELNS0_4arch9wavefront6targetE1EEEvT1_
		.amdhsa_group_segment_fixed_size 0
		.amdhsa_private_segment_fixed_size 0
		.amdhsa_kernarg_size 56
		.amdhsa_user_sgpr_count 6
		.amdhsa_user_sgpr_private_segment_buffer 1
		.amdhsa_user_sgpr_dispatch_ptr 0
		.amdhsa_user_sgpr_queue_ptr 0
		.amdhsa_user_sgpr_kernarg_segment_ptr 1
		.amdhsa_user_sgpr_dispatch_id 0
		.amdhsa_user_sgpr_flat_scratch_init 0
		.amdhsa_user_sgpr_kernarg_preload_length 0
		.amdhsa_user_sgpr_kernarg_preload_offset 0
		.amdhsa_user_sgpr_private_segment_size 0
		.amdhsa_uses_dynamic_stack 0
		.amdhsa_system_sgpr_private_segment_wavefront_offset 0
		.amdhsa_system_sgpr_workgroup_id_x 1
		.amdhsa_system_sgpr_workgroup_id_y 0
		.amdhsa_system_sgpr_workgroup_id_z 0
		.amdhsa_system_sgpr_workgroup_info 0
		.amdhsa_system_vgpr_workitem_id 0
		.amdhsa_next_free_vgpr 1
		.amdhsa_next_free_sgpr 0
		.amdhsa_accum_offset 4
		.amdhsa_reserve_vcc 0
		.amdhsa_reserve_flat_scratch 0
		.amdhsa_float_round_mode_32 0
		.amdhsa_float_round_mode_16_64 0
		.amdhsa_float_denorm_mode_32 3
		.amdhsa_float_denorm_mode_16_64 3
		.amdhsa_dx10_clamp 1
		.amdhsa_ieee_mode 1
		.amdhsa_fp16_overflow 0
		.amdhsa_tg_split 0
		.amdhsa_exception_fp_ieee_invalid_op 0
		.amdhsa_exception_fp_denorm_src 0
		.amdhsa_exception_fp_ieee_div_zero 0
		.amdhsa_exception_fp_ieee_overflow 0
		.amdhsa_exception_fp_ieee_underflow 0
		.amdhsa_exception_fp_ieee_inexact 0
		.amdhsa_exception_int_div_zero 0
	.end_amdhsa_kernel
	.section	.text._ZN7rocprim17ROCPRIM_400000_NS6detail17trampoline_kernelINS0_14default_configENS1_35adjacent_difference_config_selectorILb1EtEEZNS1_24adjacent_difference_implIS3_Lb1ELb0EPKtPtN6thrust23THRUST_200600_302600_NS4plusItEEEE10hipError_tPvRmT2_T3_mT4_P12ihipStream_tbEUlT_E_NS1_11comp_targetILNS1_3genE10ELNS1_11target_archE1201ELNS1_3gpuE5ELNS1_3repE0EEENS1_30default_config_static_selectorELNS0_4arch9wavefront6targetE1EEEvT1_,"axG",@progbits,_ZN7rocprim17ROCPRIM_400000_NS6detail17trampoline_kernelINS0_14default_configENS1_35adjacent_difference_config_selectorILb1EtEEZNS1_24adjacent_difference_implIS3_Lb1ELb0EPKtPtN6thrust23THRUST_200600_302600_NS4plusItEEEE10hipError_tPvRmT2_T3_mT4_P12ihipStream_tbEUlT_E_NS1_11comp_targetILNS1_3genE10ELNS1_11target_archE1201ELNS1_3gpuE5ELNS1_3repE0EEENS1_30default_config_static_selectorELNS0_4arch9wavefront6targetE1EEEvT1_,comdat
.Lfunc_end559:
	.size	_ZN7rocprim17ROCPRIM_400000_NS6detail17trampoline_kernelINS0_14default_configENS1_35adjacent_difference_config_selectorILb1EtEEZNS1_24adjacent_difference_implIS3_Lb1ELb0EPKtPtN6thrust23THRUST_200600_302600_NS4plusItEEEE10hipError_tPvRmT2_T3_mT4_P12ihipStream_tbEUlT_E_NS1_11comp_targetILNS1_3genE10ELNS1_11target_archE1201ELNS1_3gpuE5ELNS1_3repE0EEENS1_30default_config_static_selectorELNS0_4arch9wavefront6targetE1EEEvT1_, .Lfunc_end559-_ZN7rocprim17ROCPRIM_400000_NS6detail17trampoline_kernelINS0_14default_configENS1_35adjacent_difference_config_selectorILb1EtEEZNS1_24adjacent_difference_implIS3_Lb1ELb0EPKtPtN6thrust23THRUST_200600_302600_NS4plusItEEEE10hipError_tPvRmT2_T3_mT4_P12ihipStream_tbEUlT_E_NS1_11comp_targetILNS1_3genE10ELNS1_11target_archE1201ELNS1_3gpuE5ELNS1_3repE0EEENS1_30default_config_static_selectorELNS0_4arch9wavefront6targetE1EEEvT1_
                                        ; -- End function
	.section	.AMDGPU.csdata,"",@progbits
; Kernel info:
; codeLenInByte = 0
; NumSgprs: 4
; NumVgprs: 0
; NumAgprs: 0
; TotalNumVgprs: 0
; ScratchSize: 0
; MemoryBound: 0
; FloatMode: 240
; IeeeMode: 1
; LDSByteSize: 0 bytes/workgroup (compile time only)
; SGPRBlocks: 0
; VGPRBlocks: 0
; NumSGPRsForWavesPerEU: 4
; NumVGPRsForWavesPerEU: 1
; AccumOffset: 4
; Occupancy: 8
; WaveLimiterHint : 0
; COMPUTE_PGM_RSRC2:SCRATCH_EN: 0
; COMPUTE_PGM_RSRC2:USER_SGPR: 6
; COMPUTE_PGM_RSRC2:TRAP_HANDLER: 0
; COMPUTE_PGM_RSRC2:TGID_X_EN: 1
; COMPUTE_PGM_RSRC2:TGID_Y_EN: 0
; COMPUTE_PGM_RSRC2:TGID_Z_EN: 0
; COMPUTE_PGM_RSRC2:TIDIG_COMP_CNT: 0
; COMPUTE_PGM_RSRC3_GFX90A:ACCUM_OFFSET: 0
; COMPUTE_PGM_RSRC3_GFX90A:TG_SPLIT: 0
	.section	.text._ZN7rocprim17ROCPRIM_400000_NS6detail17trampoline_kernelINS0_14default_configENS1_35adjacent_difference_config_selectorILb1EtEEZNS1_24adjacent_difference_implIS3_Lb1ELb0EPKtPtN6thrust23THRUST_200600_302600_NS4plusItEEEE10hipError_tPvRmT2_T3_mT4_P12ihipStream_tbEUlT_E_NS1_11comp_targetILNS1_3genE5ELNS1_11target_archE942ELNS1_3gpuE9ELNS1_3repE0EEENS1_30default_config_static_selectorELNS0_4arch9wavefront6targetE1EEEvT1_,"axG",@progbits,_ZN7rocprim17ROCPRIM_400000_NS6detail17trampoline_kernelINS0_14default_configENS1_35adjacent_difference_config_selectorILb1EtEEZNS1_24adjacent_difference_implIS3_Lb1ELb0EPKtPtN6thrust23THRUST_200600_302600_NS4plusItEEEE10hipError_tPvRmT2_T3_mT4_P12ihipStream_tbEUlT_E_NS1_11comp_targetILNS1_3genE5ELNS1_11target_archE942ELNS1_3gpuE9ELNS1_3repE0EEENS1_30default_config_static_selectorELNS0_4arch9wavefront6targetE1EEEvT1_,comdat
	.protected	_ZN7rocprim17ROCPRIM_400000_NS6detail17trampoline_kernelINS0_14default_configENS1_35adjacent_difference_config_selectorILb1EtEEZNS1_24adjacent_difference_implIS3_Lb1ELb0EPKtPtN6thrust23THRUST_200600_302600_NS4plusItEEEE10hipError_tPvRmT2_T3_mT4_P12ihipStream_tbEUlT_E_NS1_11comp_targetILNS1_3genE5ELNS1_11target_archE942ELNS1_3gpuE9ELNS1_3repE0EEENS1_30default_config_static_selectorELNS0_4arch9wavefront6targetE1EEEvT1_ ; -- Begin function _ZN7rocprim17ROCPRIM_400000_NS6detail17trampoline_kernelINS0_14default_configENS1_35adjacent_difference_config_selectorILb1EtEEZNS1_24adjacent_difference_implIS3_Lb1ELb0EPKtPtN6thrust23THRUST_200600_302600_NS4plusItEEEE10hipError_tPvRmT2_T3_mT4_P12ihipStream_tbEUlT_E_NS1_11comp_targetILNS1_3genE5ELNS1_11target_archE942ELNS1_3gpuE9ELNS1_3repE0EEENS1_30default_config_static_selectorELNS0_4arch9wavefront6targetE1EEEvT1_
	.globl	_ZN7rocprim17ROCPRIM_400000_NS6detail17trampoline_kernelINS0_14default_configENS1_35adjacent_difference_config_selectorILb1EtEEZNS1_24adjacent_difference_implIS3_Lb1ELb0EPKtPtN6thrust23THRUST_200600_302600_NS4plusItEEEE10hipError_tPvRmT2_T3_mT4_P12ihipStream_tbEUlT_E_NS1_11comp_targetILNS1_3genE5ELNS1_11target_archE942ELNS1_3gpuE9ELNS1_3repE0EEENS1_30default_config_static_selectorELNS0_4arch9wavefront6targetE1EEEvT1_
	.p2align	8
	.type	_ZN7rocprim17ROCPRIM_400000_NS6detail17trampoline_kernelINS0_14default_configENS1_35adjacent_difference_config_selectorILb1EtEEZNS1_24adjacent_difference_implIS3_Lb1ELb0EPKtPtN6thrust23THRUST_200600_302600_NS4plusItEEEE10hipError_tPvRmT2_T3_mT4_P12ihipStream_tbEUlT_E_NS1_11comp_targetILNS1_3genE5ELNS1_11target_archE942ELNS1_3gpuE9ELNS1_3repE0EEENS1_30default_config_static_selectorELNS0_4arch9wavefront6targetE1EEEvT1_,@function
_ZN7rocprim17ROCPRIM_400000_NS6detail17trampoline_kernelINS0_14default_configENS1_35adjacent_difference_config_selectorILb1EtEEZNS1_24adjacent_difference_implIS3_Lb1ELb0EPKtPtN6thrust23THRUST_200600_302600_NS4plusItEEEE10hipError_tPvRmT2_T3_mT4_P12ihipStream_tbEUlT_E_NS1_11comp_targetILNS1_3genE5ELNS1_11target_archE942ELNS1_3gpuE9ELNS1_3repE0EEENS1_30default_config_static_selectorELNS0_4arch9wavefront6targetE1EEEvT1_: ; @_ZN7rocprim17ROCPRIM_400000_NS6detail17trampoline_kernelINS0_14default_configENS1_35adjacent_difference_config_selectorILb1EtEEZNS1_24adjacent_difference_implIS3_Lb1ELb0EPKtPtN6thrust23THRUST_200600_302600_NS4plusItEEEE10hipError_tPvRmT2_T3_mT4_P12ihipStream_tbEUlT_E_NS1_11comp_targetILNS1_3genE5ELNS1_11target_archE942ELNS1_3gpuE9ELNS1_3repE0EEENS1_30default_config_static_selectorELNS0_4arch9wavefront6targetE1EEEvT1_
; %bb.0:
	.section	.rodata,"a",@progbits
	.p2align	6, 0x0
	.amdhsa_kernel _ZN7rocprim17ROCPRIM_400000_NS6detail17trampoline_kernelINS0_14default_configENS1_35adjacent_difference_config_selectorILb1EtEEZNS1_24adjacent_difference_implIS3_Lb1ELb0EPKtPtN6thrust23THRUST_200600_302600_NS4plusItEEEE10hipError_tPvRmT2_T3_mT4_P12ihipStream_tbEUlT_E_NS1_11comp_targetILNS1_3genE5ELNS1_11target_archE942ELNS1_3gpuE9ELNS1_3repE0EEENS1_30default_config_static_selectorELNS0_4arch9wavefront6targetE1EEEvT1_
		.amdhsa_group_segment_fixed_size 0
		.amdhsa_private_segment_fixed_size 0
		.amdhsa_kernarg_size 56
		.amdhsa_user_sgpr_count 6
		.amdhsa_user_sgpr_private_segment_buffer 1
		.amdhsa_user_sgpr_dispatch_ptr 0
		.amdhsa_user_sgpr_queue_ptr 0
		.amdhsa_user_sgpr_kernarg_segment_ptr 1
		.amdhsa_user_sgpr_dispatch_id 0
		.amdhsa_user_sgpr_flat_scratch_init 0
		.amdhsa_user_sgpr_kernarg_preload_length 0
		.amdhsa_user_sgpr_kernarg_preload_offset 0
		.amdhsa_user_sgpr_private_segment_size 0
		.amdhsa_uses_dynamic_stack 0
		.amdhsa_system_sgpr_private_segment_wavefront_offset 0
		.amdhsa_system_sgpr_workgroup_id_x 1
		.amdhsa_system_sgpr_workgroup_id_y 0
		.amdhsa_system_sgpr_workgroup_id_z 0
		.amdhsa_system_sgpr_workgroup_info 0
		.amdhsa_system_vgpr_workitem_id 0
		.amdhsa_next_free_vgpr 1
		.amdhsa_next_free_sgpr 0
		.amdhsa_accum_offset 4
		.amdhsa_reserve_vcc 0
		.amdhsa_reserve_flat_scratch 0
		.amdhsa_float_round_mode_32 0
		.amdhsa_float_round_mode_16_64 0
		.amdhsa_float_denorm_mode_32 3
		.amdhsa_float_denorm_mode_16_64 3
		.amdhsa_dx10_clamp 1
		.amdhsa_ieee_mode 1
		.amdhsa_fp16_overflow 0
		.amdhsa_tg_split 0
		.amdhsa_exception_fp_ieee_invalid_op 0
		.amdhsa_exception_fp_denorm_src 0
		.amdhsa_exception_fp_ieee_div_zero 0
		.amdhsa_exception_fp_ieee_overflow 0
		.amdhsa_exception_fp_ieee_underflow 0
		.amdhsa_exception_fp_ieee_inexact 0
		.amdhsa_exception_int_div_zero 0
	.end_amdhsa_kernel
	.section	.text._ZN7rocprim17ROCPRIM_400000_NS6detail17trampoline_kernelINS0_14default_configENS1_35adjacent_difference_config_selectorILb1EtEEZNS1_24adjacent_difference_implIS3_Lb1ELb0EPKtPtN6thrust23THRUST_200600_302600_NS4plusItEEEE10hipError_tPvRmT2_T3_mT4_P12ihipStream_tbEUlT_E_NS1_11comp_targetILNS1_3genE5ELNS1_11target_archE942ELNS1_3gpuE9ELNS1_3repE0EEENS1_30default_config_static_selectorELNS0_4arch9wavefront6targetE1EEEvT1_,"axG",@progbits,_ZN7rocprim17ROCPRIM_400000_NS6detail17trampoline_kernelINS0_14default_configENS1_35adjacent_difference_config_selectorILb1EtEEZNS1_24adjacent_difference_implIS3_Lb1ELb0EPKtPtN6thrust23THRUST_200600_302600_NS4plusItEEEE10hipError_tPvRmT2_T3_mT4_P12ihipStream_tbEUlT_E_NS1_11comp_targetILNS1_3genE5ELNS1_11target_archE942ELNS1_3gpuE9ELNS1_3repE0EEENS1_30default_config_static_selectorELNS0_4arch9wavefront6targetE1EEEvT1_,comdat
.Lfunc_end560:
	.size	_ZN7rocprim17ROCPRIM_400000_NS6detail17trampoline_kernelINS0_14default_configENS1_35adjacent_difference_config_selectorILb1EtEEZNS1_24adjacent_difference_implIS3_Lb1ELb0EPKtPtN6thrust23THRUST_200600_302600_NS4plusItEEEE10hipError_tPvRmT2_T3_mT4_P12ihipStream_tbEUlT_E_NS1_11comp_targetILNS1_3genE5ELNS1_11target_archE942ELNS1_3gpuE9ELNS1_3repE0EEENS1_30default_config_static_selectorELNS0_4arch9wavefront6targetE1EEEvT1_, .Lfunc_end560-_ZN7rocprim17ROCPRIM_400000_NS6detail17trampoline_kernelINS0_14default_configENS1_35adjacent_difference_config_selectorILb1EtEEZNS1_24adjacent_difference_implIS3_Lb1ELb0EPKtPtN6thrust23THRUST_200600_302600_NS4plusItEEEE10hipError_tPvRmT2_T3_mT4_P12ihipStream_tbEUlT_E_NS1_11comp_targetILNS1_3genE5ELNS1_11target_archE942ELNS1_3gpuE9ELNS1_3repE0EEENS1_30default_config_static_selectorELNS0_4arch9wavefront6targetE1EEEvT1_
                                        ; -- End function
	.section	.AMDGPU.csdata,"",@progbits
; Kernel info:
; codeLenInByte = 0
; NumSgprs: 4
; NumVgprs: 0
; NumAgprs: 0
; TotalNumVgprs: 0
; ScratchSize: 0
; MemoryBound: 0
; FloatMode: 240
; IeeeMode: 1
; LDSByteSize: 0 bytes/workgroup (compile time only)
; SGPRBlocks: 0
; VGPRBlocks: 0
; NumSGPRsForWavesPerEU: 4
; NumVGPRsForWavesPerEU: 1
; AccumOffset: 4
; Occupancy: 8
; WaveLimiterHint : 0
; COMPUTE_PGM_RSRC2:SCRATCH_EN: 0
; COMPUTE_PGM_RSRC2:USER_SGPR: 6
; COMPUTE_PGM_RSRC2:TRAP_HANDLER: 0
; COMPUTE_PGM_RSRC2:TGID_X_EN: 1
; COMPUTE_PGM_RSRC2:TGID_Y_EN: 0
; COMPUTE_PGM_RSRC2:TGID_Z_EN: 0
; COMPUTE_PGM_RSRC2:TIDIG_COMP_CNT: 0
; COMPUTE_PGM_RSRC3_GFX90A:ACCUM_OFFSET: 0
; COMPUTE_PGM_RSRC3_GFX90A:TG_SPLIT: 0
	.section	.text._ZN7rocprim17ROCPRIM_400000_NS6detail17trampoline_kernelINS0_14default_configENS1_35adjacent_difference_config_selectorILb1EtEEZNS1_24adjacent_difference_implIS3_Lb1ELb0EPKtPtN6thrust23THRUST_200600_302600_NS4plusItEEEE10hipError_tPvRmT2_T3_mT4_P12ihipStream_tbEUlT_E_NS1_11comp_targetILNS1_3genE4ELNS1_11target_archE910ELNS1_3gpuE8ELNS1_3repE0EEENS1_30default_config_static_selectorELNS0_4arch9wavefront6targetE1EEEvT1_,"axG",@progbits,_ZN7rocprim17ROCPRIM_400000_NS6detail17trampoline_kernelINS0_14default_configENS1_35adjacent_difference_config_selectorILb1EtEEZNS1_24adjacent_difference_implIS3_Lb1ELb0EPKtPtN6thrust23THRUST_200600_302600_NS4plusItEEEE10hipError_tPvRmT2_T3_mT4_P12ihipStream_tbEUlT_E_NS1_11comp_targetILNS1_3genE4ELNS1_11target_archE910ELNS1_3gpuE8ELNS1_3repE0EEENS1_30default_config_static_selectorELNS0_4arch9wavefront6targetE1EEEvT1_,comdat
	.protected	_ZN7rocprim17ROCPRIM_400000_NS6detail17trampoline_kernelINS0_14default_configENS1_35adjacent_difference_config_selectorILb1EtEEZNS1_24adjacent_difference_implIS3_Lb1ELb0EPKtPtN6thrust23THRUST_200600_302600_NS4plusItEEEE10hipError_tPvRmT2_T3_mT4_P12ihipStream_tbEUlT_E_NS1_11comp_targetILNS1_3genE4ELNS1_11target_archE910ELNS1_3gpuE8ELNS1_3repE0EEENS1_30default_config_static_selectorELNS0_4arch9wavefront6targetE1EEEvT1_ ; -- Begin function _ZN7rocprim17ROCPRIM_400000_NS6detail17trampoline_kernelINS0_14default_configENS1_35adjacent_difference_config_selectorILb1EtEEZNS1_24adjacent_difference_implIS3_Lb1ELb0EPKtPtN6thrust23THRUST_200600_302600_NS4plusItEEEE10hipError_tPvRmT2_T3_mT4_P12ihipStream_tbEUlT_E_NS1_11comp_targetILNS1_3genE4ELNS1_11target_archE910ELNS1_3gpuE8ELNS1_3repE0EEENS1_30default_config_static_selectorELNS0_4arch9wavefront6targetE1EEEvT1_
	.globl	_ZN7rocprim17ROCPRIM_400000_NS6detail17trampoline_kernelINS0_14default_configENS1_35adjacent_difference_config_selectorILb1EtEEZNS1_24adjacent_difference_implIS3_Lb1ELb0EPKtPtN6thrust23THRUST_200600_302600_NS4plusItEEEE10hipError_tPvRmT2_T3_mT4_P12ihipStream_tbEUlT_E_NS1_11comp_targetILNS1_3genE4ELNS1_11target_archE910ELNS1_3gpuE8ELNS1_3repE0EEENS1_30default_config_static_selectorELNS0_4arch9wavefront6targetE1EEEvT1_
	.p2align	8
	.type	_ZN7rocprim17ROCPRIM_400000_NS6detail17trampoline_kernelINS0_14default_configENS1_35adjacent_difference_config_selectorILb1EtEEZNS1_24adjacent_difference_implIS3_Lb1ELb0EPKtPtN6thrust23THRUST_200600_302600_NS4plusItEEEE10hipError_tPvRmT2_T3_mT4_P12ihipStream_tbEUlT_E_NS1_11comp_targetILNS1_3genE4ELNS1_11target_archE910ELNS1_3gpuE8ELNS1_3repE0EEENS1_30default_config_static_selectorELNS0_4arch9wavefront6targetE1EEEvT1_,@function
_ZN7rocprim17ROCPRIM_400000_NS6detail17trampoline_kernelINS0_14default_configENS1_35adjacent_difference_config_selectorILb1EtEEZNS1_24adjacent_difference_implIS3_Lb1ELb0EPKtPtN6thrust23THRUST_200600_302600_NS4plusItEEEE10hipError_tPvRmT2_T3_mT4_P12ihipStream_tbEUlT_E_NS1_11comp_targetILNS1_3genE4ELNS1_11target_archE910ELNS1_3gpuE8ELNS1_3repE0EEENS1_30default_config_static_selectorELNS0_4arch9wavefront6targetE1EEEvT1_: ; @_ZN7rocprim17ROCPRIM_400000_NS6detail17trampoline_kernelINS0_14default_configENS1_35adjacent_difference_config_selectorILb1EtEEZNS1_24adjacent_difference_implIS3_Lb1ELb0EPKtPtN6thrust23THRUST_200600_302600_NS4plusItEEEE10hipError_tPvRmT2_T3_mT4_P12ihipStream_tbEUlT_E_NS1_11comp_targetILNS1_3genE4ELNS1_11target_archE910ELNS1_3gpuE8ELNS1_3repE0EEENS1_30default_config_static_selectorELNS0_4arch9wavefront6targetE1EEEvT1_
; %bb.0:
	s_load_dwordx8 s[8:15], s[4:5], 0x0
	s_mov_b32 s0, 0xfc3c3710
	s_load_dwordx4 s[16:19], s[4:5], 0x28
	s_movk_i32 s2, 0x440
	s_mul_i32 s4, s6, 0x440
	s_waitcnt lgkmcnt(0)
	s_lshl_b64 s[10:11], s[10:11], 1
	s_add_u32 s26, s8, s10
	s_addc_u32 s27, s9, s11
	s_add_u32 s0, 0x10c, s0
	s_addc_u32 s3, 0, 0
	v_add_co_u32_e64 v1, s[0:1], s0, 2.0
	s_cmp_lg_u64 s[0:1], 0
	s_addc_u32 s0, s3, 0x3c3c3b
	v_readfirstlane_b32 s3, v1
	s_mul_hi_u32 s5, s3, 0xfffffbc0
	s_mul_i32 s1, s0, 0xfffffbc0
	s_sub_i32 s5, s5, s3
	s_add_i32 s5, s5, s1
	s_mul_i32 s9, s3, 0xfffffbc0
	s_mul_hi_u32 s1, s3, s5
	s_mul_i32 s8, s3, s5
	s_mul_hi_u32 s3, s3, s9
	s_add_u32 s3, s3, s8
	s_addc_u32 s1, 0, s1
	s_mul_hi_u32 s20, s0, s9
	s_mul_i32 s9, s0, s9
	s_add_u32 s3, s3, s9
	s_mul_hi_u32 s8, s0, s5
	s_addc_u32 s1, s1, s20
	s_addc_u32 s3, s8, 0
	s_mul_i32 s5, s0, s5
	s_add_u32 s1, s1, s5
	s_addc_u32 s3, 0, s3
	v_add_co_u32_e32 v1, vcc, s1, v1
	s_cmp_lg_u64 vcc, 0
	s_addc_u32 s0, s0, s3
	v_readfirstlane_b32 s5, v1
	s_mul_i32 s3, s14, s0
	s_mul_hi_u32 s8, s14, s5
	s_mul_hi_u32 s1, s14, s0
	s_add_u32 s3, s8, s3
	s_addc_u32 s1, 0, s1
	s_mul_hi_u32 s9, s15, s5
	s_mul_i32 s5, s15, s5
	s_add_u32 s3, s3, s5
	s_mul_hi_u32 s8, s15, s0
	s_addc_u32 s1, s1, s9
	s_addc_u32 s3, s8, 0
	s_mul_i32 s0, s15, s0
	s_add_u32 s0, s1, s0
	s_addc_u32 s1, 0, s3
	s_add_u32 s3, s0, 1
	s_addc_u32 s5, s1, 0
	s_add_u32 s8, s0, 2
	s_mul_i32 s20, s1, 0x440
	s_mul_hi_u32 s21, s0, 0x440
	s_addc_u32 s9, s1, 0
	s_add_i32 s21, s21, s20
	s_mul_i32 s20, s0, 0x440
	v_mov_b32_e32 v1, s20
	v_sub_co_u32_e32 v1, vcc, s14, v1
	s_cmp_lg_u64 vcc, 0
	s_subb_u32 s20, s15, s21
	v_subrev_co_u32_e32 v2, vcc, s2, v1
	s_cmp_lg_u64 vcc, 0
	s_subb_u32 s2, s20, 0
	v_readfirstlane_b32 s21, v2
	s_cmpk_gt_u32 s21, 0x43f
	s_cselect_b32 s21, -1, 0
	s_cmp_eq_u32 s2, 0
	s_cselect_b32 s2, s21, -1
	s_cmp_lg_u32 s2, 0
	s_cselect_b32 s2, s8, s3
	s_cselect_b32 s3, s9, s5
	v_readfirstlane_b32 s5, v1
	s_cmpk_gt_u32 s5, 0x43f
	s_cselect_b32 s5, -1, 0
	s_cmp_eq_u32 s20, 0
	s_cselect_b32 s5, s5, -1
	s_cmp_lg_u32 s5, 0
	s_cselect_b32 s3, s3, s1
	s_cselect_b32 s2, s2, s0
	s_mul_i32 s0, s3, 0x440
	s_mul_hi_u32 s1, s2, 0x440
	s_add_i32 s1, s1, s0
	s_mul_i32 s0, s2, 0x440
	s_sub_u32 s0, s14, s0
	s_subb_u32 s1, s15, s1
	s_cmp_lg_u64 s[0:1], 0
	s_cselect_b64 s[0:1], -1, 0
	v_cndmask_b32_e64 v1, 0, 1, s[0:1]
	v_readfirstlane_b32 s0, v1
	s_add_u32 s2, s2, s0
	s_addc_u32 s3, s3, 0
	s_add_u32 s8, s18, s6
	s_addc_u32 s9, s19, 0
	s_add_u32 s20, s2, -1
	s_addc_u32 s21, s3, -1
	v_pk_mov_b32 v[2:3], s[20:21], s[20:21] op_sel:[0,1]
	v_cmp_ge_u64_e64 s[0:1], s[8:9], v[2:3]
	s_mov_b32 s7, 0
	s_mov_b64 s[22:23], -1
	s_and_b64 vcc, exec, s[0:1]
	s_mul_i32 s15, s20, 0xfffffbc0
	s_cbranch_vccz .LBB561_36
; %bb.1:
	s_mov_b32 s5, s7
	s_add_i32 s28, s15, s14
	s_lshl_b64 s[22:23], s[4:5], 1
	s_add_u32 s22, s26, s22
	s_addc_u32 s23, s27, s23
	v_cmp_gt_u32_e32 vcc, s28, v0
                                        ; implicit-def: $vgpr1
	s_and_saveexec_b64 s[24:25], vcc
	s_cbranch_execz .LBB561_3
; %bb.2:
	v_lshlrev_b32_e32 v1, 1, v0
	global_load_ushort v1, v1, s[22:23]
.LBB561_3:
	s_or_b64 exec, exec, s[24:25]
	v_or_b32_e32 v2, 64, v0
	v_cmp_gt_u32_e32 vcc, s28, v2
                                        ; implicit-def: $vgpr2
	s_and_saveexec_b64 s[24:25], vcc
	s_cbranch_execz .LBB561_5
; %bb.4:
	v_lshlrev_b32_e32 v2, 1, v0
	global_load_ushort v2, v2, s[22:23] offset:128
.LBB561_5:
	s_or_b64 exec, exec, s[24:25]
	v_or_b32_e32 v3, 0x80, v0
	v_cmp_gt_u32_e32 vcc, s28, v3
                                        ; implicit-def: $vgpr3
	s_and_saveexec_b64 s[24:25], vcc
	s_cbranch_execz .LBB561_7
; %bb.6:
	v_lshlrev_b32_e32 v3, 1, v0
	global_load_ushort v3, v3, s[22:23] offset:256
.LBB561_7:
	s_or_b64 exec, exec, s[24:25]
	v_or_b32_e32 v4, 0xc0, v0
	v_cmp_gt_u32_e32 vcc, s28, v4
                                        ; implicit-def: $vgpr4
	s_and_saveexec_b64 s[24:25], vcc
	s_cbranch_execz .LBB561_9
; %bb.8:
	v_lshlrev_b32_e32 v4, 1, v0
	global_load_ushort v4, v4, s[22:23] offset:384
.LBB561_9:
	s_or_b64 exec, exec, s[24:25]
	v_or_b32_e32 v5, 0x100, v0
	v_cmp_gt_u32_e32 vcc, s28, v5
                                        ; implicit-def: $vgpr5
	s_and_saveexec_b64 s[24:25], vcc
	s_cbranch_execz .LBB561_11
; %bb.10:
	v_lshlrev_b32_e32 v5, 1, v0
	global_load_ushort v5, v5, s[22:23] offset:512
.LBB561_11:
	s_or_b64 exec, exec, s[24:25]
	v_or_b32_e32 v6, 0x140, v0
	v_cmp_gt_u32_e32 vcc, s28, v6
                                        ; implicit-def: $vgpr6
	s_and_saveexec_b64 s[24:25], vcc
	s_cbranch_execz .LBB561_13
; %bb.12:
	v_lshlrev_b32_e32 v6, 1, v0
	global_load_ushort v6, v6, s[22:23] offset:640
.LBB561_13:
	s_or_b64 exec, exec, s[24:25]
	v_or_b32_e32 v7, 0x180, v0
	v_cmp_gt_u32_e32 vcc, s28, v7
                                        ; implicit-def: $vgpr7
	s_and_saveexec_b64 s[24:25], vcc
	s_cbranch_execz .LBB561_15
; %bb.14:
	v_lshlrev_b32_e32 v7, 1, v0
	global_load_ushort v7, v7, s[22:23] offset:768
.LBB561_15:
	s_or_b64 exec, exec, s[24:25]
	v_or_b32_e32 v8, 0x1c0, v0
	v_cmp_gt_u32_e32 vcc, s28, v8
                                        ; implicit-def: $vgpr8
	s_and_saveexec_b64 s[24:25], vcc
	s_cbranch_execz .LBB561_17
; %bb.16:
	v_lshlrev_b32_e32 v8, 1, v0
	global_load_ushort v8, v8, s[22:23] offset:896
.LBB561_17:
	s_or_b64 exec, exec, s[24:25]
	v_or_b32_e32 v9, 0x200, v0
	v_cmp_gt_u32_e32 vcc, s28, v9
                                        ; implicit-def: $vgpr9
	s_and_saveexec_b64 s[24:25], vcc
	s_cbranch_execz .LBB561_19
; %bb.18:
	v_lshlrev_b32_e32 v9, 1, v0
	global_load_ushort v9, v9, s[22:23] offset:1024
.LBB561_19:
	s_or_b64 exec, exec, s[24:25]
	v_or_b32_e32 v10, 0x240, v0
	v_cmp_gt_u32_e32 vcc, s28, v10
                                        ; implicit-def: $vgpr10
	s_and_saveexec_b64 s[24:25], vcc
	s_cbranch_execz .LBB561_21
; %bb.20:
	v_lshlrev_b32_e32 v10, 1, v0
	global_load_ushort v10, v10, s[22:23] offset:1152
.LBB561_21:
	s_or_b64 exec, exec, s[24:25]
	v_or_b32_e32 v11, 0x280, v0
	v_cmp_gt_u32_e32 vcc, s28, v11
                                        ; implicit-def: $vgpr11
	s_and_saveexec_b64 s[24:25], vcc
	s_cbranch_execz .LBB561_23
; %bb.22:
	v_lshlrev_b32_e32 v11, 1, v0
	global_load_ushort v11, v11, s[22:23] offset:1280
.LBB561_23:
	s_or_b64 exec, exec, s[24:25]
	v_or_b32_e32 v12, 0x2c0, v0
	v_cmp_gt_u32_e32 vcc, s28, v12
                                        ; implicit-def: $vgpr12
	s_and_saveexec_b64 s[24:25], vcc
	s_cbranch_execz .LBB561_25
; %bb.24:
	v_lshlrev_b32_e32 v12, 1, v0
	global_load_ushort v12, v12, s[22:23] offset:1408
.LBB561_25:
	s_or_b64 exec, exec, s[24:25]
	v_or_b32_e32 v13, 0x300, v0
	v_cmp_gt_u32_e32 vcc, s28, v13
                                        ; implicit-def: $vgpr13
	s_and_saveexec_b64 s[24:25], vcc
	s_cbranch_execz .LBB561_27
; %bb.26:
	v_lshlrev_b32_e32 v13, 1, v0
	global_load_ushort v13, v13, s[22:23] offset:1536
.LBB561_27:
	s_or_b64 exec, exec, s[24:25]
	v_or_b32_e32 v14, 0x340, v0
	v_cmp_gt_u32_e32 vcc, s28, v14
                                        ; implicit-def: $vgpr14
	s_and_saveexec_b64 s[24:25], vcc
	s_cbranch_execz .LBB561_29
; %bb.28:
	v_lshlrev_b32_e32 v14, 1, v0
	global_load_ushort v14, v14, s[22:23] offset:1664
.LBB561_29:
	s_or_b64 exec, exec, s[24:25]
	v_or_b32_e32 v15, 0x380, v0
	v_cmp_gt_u32_e32 vcc, s28, v15
                                        ; implicit-def: $vgpr15
	s_and_saveexec_b64 s[24:25], vcc
	s_cbranch_execz .LBB561_31
; %bb.30:
	v_lshlrev_b32_e32 v15, 1, v0
	global_load_ushort v15, v15, s[22:23] offset:1792
.LBB561_31:
	s_or_b64 exec, exec, s[24:25]
	v_or_b32_e32 v16, 0x3c0, v0
	v_cmp_gt_u32_e32 vcc, s28, v16
                                        ; implicit-def: $vgpr16
	s_and_saveexec_b64 s[24:25], vcc
	s_cbranch_execz .LBB561_33
; %bb.32:
	v_lshlrev_b32_e32 v16, 1, v0
	global_load_ushort v16, v16, s[22:23] offset:1920
.LBB561_33:
	s_or_b64 exec, exec, s[24:25]
	v_or_b32_e32 v17, 0x400, v0
	v_cmp_gt_u32_e32 vcc, s28, v17
                                        ; implicit-def: $vgpr17
	s_and_saveexec_b64 s[24:25], vcc
	s_cbranch_execz .LBB561_35
; %bb.34:
	v_lshlrev_b32_e32 v17, 1, v0
	global_load_ushort v17, v17, s[22:23] offset:2048
.LBB561_35:
	s_or_b64 exec, exec, s[24:25]
	v_lshlrev_b32_e32 v18, 1, v0
	s_mov_b64 s[22:23], 0
	s_waitcnt vmcnt(0)
	ds_write_b16 v18, v1
	ds_write_b16 v18, v2 offset:128
	ds_write_b16 v18, v3 offset:256
	ds_write_b16 v18, v4 offset:384
	ds_write_b16 v18, v5 offset:512
	ds_write_b16 v18, v6 offset:640
	ds_write_b16 v18, v7 offset:768
	ds_write_b16 v18, v8 offset:896
	ds_write_b16 v18, v9 offset:1024
	ds_write_b16 v18, v10 offset:1152
	ds_write_b16 v18, v11 offset:1280
	ds_write_b16 v18, v12 offset:1408
	ds_write_b16 v18, v13 offset:1536
	ds_write_b16 v18, v14 offset:1664
	ds_write_b16 v18, v15 offset:1792
	ds_write_b16 v18, v16 offset:1920
	ds_write_b16 v18, v17 offset:2048
	s_waitcnt lgkmcnt(0)
	; wave barrier
.LBB561_36:
	s_and_b64 vcc, exec, s[22:23]
	v_lshlrev_b32_e32 v1, 1, v0
	s_cbranch_vccz .LBB561_38
; %bb.37:
	s_mov_b32 s5, 0
	s_lshl_b64 s[22:23], s[4:5], 1
	s_add_u32 s22, s26, s22
	s_addc_u32 s23, s27, s23
	global_load_ushort v2, v1, s[22:23]
	global_load_ushort v3, v1, s[22:23] offset:128
	global_load_ushort v4, v1, s[22:23] offset:256
	;; [unrolled: 1-line block ×16, first 2 shown]
	s_waitcnt vmcnt(16)
	ds_write_b16 v1, v2
	s_waitcnt vmcnt(15)
	ds_write_b16 v1, v3 offset:128
	s_waitcnt vmcnt(14)
	ds_write_b16 v1, v4 offset:256
	;; [unrolled: 2-line block ×16, first 2 shown]
	s_waitcnt lgkmcnt(0)
	; wave barrier
.LBB561_38:
	v_mul_u32_u24_e32 v2, 17, v0
	v_lshlrev_b32_e32 v10, 1, v2
	s_waitcnt lgkmcnt(0)
	ds_read_b128 v[6:9], v10
	ds_read_b128 v[2:5], v10 offset:16
	ds_read_u16 v18, v10 offset:32
	s_cmp_eq_u64 s[8:9], 0
	s_waitcnt lgkmcnt(0)
	; wave barrier
	s_waitcnt lgkmcnt(0)
	s_cbranch_scc1 .LBB561_43
; %bb.39:
	s_lshl_b64 s[18:19], s[18:19], 1
	s_add_u32 s5, s16, s18
	s_addc_u32 s16, s17, s19
	s_lshl_b64 s[6:7], s[6:7], 1
	s_add_u32 s6, s5, s6
	s_addc_u32 s7, s16, s7
	v_mov_b32_e32 v10, 0
	global_load_ushort v20, v10, s[6:7] offset:-2
	s_cmp_eq_u64 s[8:9], s[20:21]
	s_cbranch_scc1 .LBB561_44
; %bb.40:
	v_cmp_ne_u32_e32 vcc, 0, v0
	s_waitcnt vmcnt(0)
	v_mov_b32_e32 v10, v20
	ds_write_b16 v1, v18
	s_waitcnt lgkmcnt(0)
	; wave barrier
	s_waitcnt lgkmcnt(0)
	s_and_saveexec_b64 s[6:7], vcc
	s_cbranch_execz .LBB561_42
; %bb.41:
	v_add_u32_e32 v10, -2, v1
	ds_read_u16 v10, v10
.LBB561_42:
	s_or_b64 exec, exec, s[6:7]
	s_waitcnt lgkmcnt(0)
	v_add_u16_e32 v19, v10, v6
	s_mov_b64 s[6:7], 0
	s_branch .LBB561_45
.LBB561_43:
                                        ; implicit-def: $vgpr10_vgpr11
                                        ; implicit-def: $vgpr12_vgpr13
                                        ; implicit-def: $vgpr14_vgpr15
                                        ; implicit-def: $vgpr16_vgpr17
                                        ; implicit-def: $vgpr19
	s_branch .LBB561_50
.LBB561_44:
	s_mov_b64 s[6:7], -1
                                        ; implicit-def: $vgpr19
.LBB561_45:
	s_and_b64 vcc, exec, s[6:7]
	v_pk_mov_b32 v[10:11], v[4:5], v[4:5] op_sel:[0,1]
	v_pk_mov_b32 v[12:13], v[2:3], v[2:3] op_sel:[0,1]
	;; [unrolled: 1-line block ×4, first 2 shown]
	s_cbranch_vccz .LBB561_49
; %bb.46:
	v_mul_u32_u24_e32 v19, 17, v0
	v_cmp_ne_u32_e32 vcc, 0, v0
	ds_write_b16 v1, v18
	s_waitcnt lgkmcnt(0)
	; wave barrier
	s_waitcnt lgkmcnt(0)
	s_and_saveexec_b64 s[6:7], vcc
	s_cbranch_execz .LBB561_48
; %bb.47:
	v_add_u32_e32 v10, -2, v1
	s_waitcnt vmcnt(0)
	ds_read_u16 v20, v10
.LBB561_48:
	s_or_b64 exec, exec, s[6:7]
	s_mul_i32 s5, s8, 0xfffffbc0
	s_add_i32 s5, s5, s14
	v_add_u32_e32 v10, 15, v19
	v_add_u32_e32 v11, 16, v19
	v_cmp_gt_u32_e32 vcc, s5, v10
	v_add_u32_e32 v12, 13, v19
	v_cndmask_b32_e32 v10, 0, v5, vcc
	v_lshrrev_b32_e32 v14, 16, v5
	v_cmp_gt_u32_e32 vcc, s5, v11
	v_add_u32_e32 v13, 14, v19
	v_cndmask_b32_e32 v11, 0, v14, vcc
	s_mov_b32 s6, 0x5040100
	v_cmp_gt_u32_e32 vcc, s5, v12
	v_perm_b32 v11, v11, v10, s6
	v_cndmask_b32_e32 v10, 0, v4, vcc
	v_lshrrev_b32_e32 v12, 16, v4
	v_cmp_gt_u32_e32 vcc, s5, v13
	v_cndmask_b32_e32 v12, 0, v12, vcc
	v_perm_b32 v10, v12, v10, s6
	v_add_u32_e32 v12, 11, v19
	v_add_u32_e32 v13, 12, v19
	v_cmp_gt_u32_e32 vcc, s5, v12
	v_add_u32_e32 v14, 9, v19
	v_cndmask_b32_e32 v12, 0, v3, vcc
	v_lshrrev_b32_e32 v16, 16, v3
	v_cmp_gt_u32_e32 vcc, s5, v13
	v_add_u32_e32 v15, 10, v19
	v_cndmask_b32_e32 v13, 0, v16, vcc
	v_cmp_gt_u32_e32 vcc, s5, v14
	v_perm_b32 v13, v13, v12, s6
	v_cndmask_b32_e32 v12, 0, v2, vcc
	v_lshrrev_b32_e32 v14, 16, v2
	v_cmp_gt_u32_e32 vcc, s5, v15
	v_cndmask_b32_e32 v14, 0, v14, vcc
	v_perm_b32 v12, v14, v12, s6
	v_add_u32_e32 v14, 7, v19
	v_add_u32_e32 v15, 8, v19
	v_cmp_gt_u32_e32 vcc, s5, v14
	v_add_u32_e32 v16, 5, v19
	v_cndmask_b32_e32 v14, 0, v9, vcc
	v_lshrrev_b32_e32 v21, 16, v9
	v_cmp_gt_u32_e32 vcc, s5, v15
	v_add_u32_e32 v17, 6, v19
	v_cndmask_b32_e32 v15, 0, v21, vcc
	;; [unrolled: 16-line block ×3, first 2 shown]
	v_cmp_gt_u32_e32 vcc, s5, v21
	v_perm_b32 v17, v17, v16, s6
	v_cndmask_b32_e32 v16, 0, v6, vcc
	v_lshrrev_b32_e32 v21, 16, v6
	v_cmp_gt_u32_e32 vcc, s5, v22
	v_cndmask_b32_e32 v21, 0, v21, vcc
	v_cmp_gt_u32_e32 vcc, s5, v19
	s_waitcnt vmcnt(0) lgkmcnt(0)
	v_cndmask_b32_e32 v19, 0, v20, vcc
	v_perm_b32 v16, v21, v16, s6
	v_add_u16_e32 v19, v19, v6
.LBB561_49:
	s_cbranch_execnz .LBB561_59
.LBB561_50:
	s_cmp_eq_u64 s[2:3], 1
	v_cmp_ne_u32_e32 vcc, 0, v0
	s_cbranch_scc1 .LBB561_54
; %bb.51:
	v_mov_b32_e32 v19, v6
	ds_write_b16 v1, v18
	s_waitcnt lgkmcnt(0)
	; wave barrier
	s_waitcnt lgkmcnt(0)
	s_and_saveexec_b64 s[2:3], vcc
	s_cbranch_execz .LBB561_53
; %bb.52:
	v_add_u32_e32 v10, -2, v1
	ds_read_u16 v10, v10
	s_waitcnt lgkmcnt(0)
	v_add_u16_e32 v19, v10, v6
.LBB561_53:
	s_or_b64 exec, exec, s[2:3]
	s_mov_b64 s[2:3], 0
	s_branch .LBB561_55
.LBB561_54:
	s_mov_b64 s[2:3], -1
                                        ; implicit-def: $vgpr19
.LBB561_55:
	s_andn2_b64 vcc, exec, s[2:3]
	v_pk_mov_b32 v[10:11], v[4:5], v[4:5] op_sel:[0,1]
	v_pk_mov_b32 v[12:13], v[2:3], v[2:3] op_sel:[0,1]
	v_pk_mov_b32 v[14:15], v[8:9], v[8:9] op_sel:[0,1]
	v_pk_mov_b32 v[16:17], v[6:7], v[6:7] op_sel:[0,1]
	s_cbranch_vccnz .LBB561_59
; %bb.56:
	v_mad_u32_u24 v10, v0, 17, 15
	v_mad_u32_u24 v11, v0, 17, 16
	v_cmp_gt_u32_e32 vcc, s14, v10
	v_mad_u32_u24 v12, v0, 17, 13
	v_cndmask_b32_e32 v10, 0, v5, vcc
	v_lshrrev_b32_e32 v14, 16, v5
	v_cmp_gt_u32_e32 vcc, s14, v11
	v_mad_u32_u24 v13, v0, 17, 14
	v_cndmask_b32_e32 v11, 0, v14, vcc
	s_mov_b32 s2, 0x5040100
	v_cmp_gt_u32_e32 vcc, s14, v12
	v_perm_b32 v11, v11, v10, s2
	v_cndmask_b32_e32 v10, 0, v4, vcc
	v_lshrrev_b32_e32 v12, 16, v4
	v_cmp_gt_u32_e32 vcc, s14, v13
	v_cndmask_b32_e32 v12, 0, v12, vcc
	v_perm_b32 v10, v12, v10, s2
	v_mad_u32_u24 v12, v0, 17, 11
	v_mad_u32_u24 v13, v0, 17, 12
	v_cmp_gt_u32_e32 vcc, s14, v12
	v_mad_u32_u24 v14, v0, 17, 9
	v_cndmask_b32_e32 v12, 0, v3, vcc
	v_lshrrev_b32_e32 v16, 16, v3
	v_cmp_gt_u32_e32 vcc, s14, v13
	v_mad_u32_u24 v15, v0, 17, 10
	v_cndmask_b32_e32 v13, 0, v16, vcc
	v_cmp_gt_u32_e32 vcc, s14, v14
	v_perm_b32 v13, v13, v12, s2
	v_cndmask_b32_e32 v12, 0, v2, vcc
	v_lshrrev_b32_e32 v14, 16, v2
	v_cmp_gt_u32_e32 vcc, s14, v15
	v_cndmask_b32_e32 v14, 0, v14, vcc
	v_perm_b32 v12, v14, v12, s2
	v_mad_u32_u24 v14, v0, 17, 7
	v_mad_u32_u24 v15, v0, 17, 8
	v_cmp_gt_u32_e32 vcc, s14, v14
	v_mad_u32_u24 v16, v0, 17, 5
	v_cndmask_b32_e32 v14, 0, v9, vcc
	s_waitcnt vmcnt(0)
	v_lshrrev_b32_e32 v20, 16, v9
	v_cmp_gt_u32_e32 vcc, s14, v15
	v_mad_u32_u24 v17, v0, 17, 6
	v_cndmask_b32_e32 v15, 0, v20, vcc
	v_cmp_gt_u32_e32 vcc, s14, v16
	v_perm_b32 v15, v15, v14, s2
	v_cndmask_b32_e32 v14, 0, v8, vcc
	v_lshrrev_b32_e32 v16, 16, v8
	v_cmp_gt_u32_e32 vcc, s14, v17
	v_cndmask_b32_e32 v16, 0, v16, vcc
	v_perm_b32 v14, v16, v14, s2
	v_mad_u32_u24 v16, v0, 17, 3
	v_mad_u32_u24 v17, v0, 17, 4
	v_cmp_gt_u32_e32 vcc, s14, v16
	v_mad_u32_u24 v20, v0, 17, 1
	v_cndmask_b32_e32 v16, 0, v7, vcc
	v_lshrrev_b32_e32 v22, 16, v7
	v_cmp_gt_u32_e32 vcc, s14, v17
	v_mad_u32_u24 v21, v0, 17, 2
	v_cndmask_b32_e32 v17, 0, v22, vcc
	v_cmp_gt_u32_e32 vcc, s14, v20
	v_perm_b32 v17, v17, v16, s2
	v_cndmask_b32_e32 v16, 0, v6, vcc
	v_lshrrev_b32_e32 v20, 16, v6
	v_cmp_gt_u32_e32 vcc, s14, v21
	v_mul_u32_u24_e32 v19, 17, v0
	v_cndmask_b32_e32 v20, 0, v20, vcc
	v_perm_b32 v16, v20, v16, s2
	v_cmp_ne_u32_e32 vcc, 0, v0
	v_cmp_gt_u32_e64 s[2:3], s14, v19
	s_and_b64 s[6:7], vcc, s[2:3]
	v_mov_b32_e32 v19, v6
	ds_write_b16 v1, v18
	s_waitcnt lgkmcnt(0)
	; wave barrier
	s_waitcnt lgkmcnt(0)
	s_and_saveexec_b64 s[2:3], s[6:7]
	s_cbranch_execz .LBB561_58
; %bb.57:
	v_add_u32_e32 v19, -2, v1
	ds_read_u16 v19, v19
	s_waitcnt lgkmcnt(0)
	v_add_u16_e32 v19, v19, v6
.LBB561_58:
	s_or_b64 exec, exec, s[2:3]
.LBB561_59:
	s_add_u32 s6, s12, s10
	v_alignbit_b32 v6, v7, v6, 16
	v_alignbit_b32 v7, v8, v7, 16
	v_alignbit_b32 v8, v9, v8, 16
	v_alignbit_b32 v9, v2, v9, 16
	v_alignbit_b32 v2, v3, v2, 16
	v_alignbit_b32 v3, v4, v3, 16
	v_alignbit_b32 v4, v5, v4, 16
	v_alignbit_b32 v5, v18, v5, 16
	s_addc_u32 s7, s13, s11
	v_pk_add_u16 v7, v17, v7
	v_pk_add_u16 v6, v16, v6
	;; [unrolled: 1-line block ×8, first 2 shown]
	s_and_b64 vcc, exec, s[0:1]
	v_mul_u32_u24_e32 v12, 34, v0
	v_lshlrev_b32_e32 v13, 5, v0
	s_waitcnt lgkmcnt(0)
	; wave barrier
	s_cbranch_vccz .LBB561_93
; %bb.60:
	v_sub_u32_e32 v10, v12, v13
	ds_write_b16 v12, v19
	ds_write_b128 v12, v[6:9] offset:2
	ds_write_b128 v12, v[2:5] offset:18
	s_waitcnt lgkmcnt(0)
	; wave barrier
	s_waitcnt lgkmcnt(0)
	ds_read_u16 v30, v10 offset:128
	ds_read_u16 v29, v10 offset:256
	ds_read_u16 v28, v10 offset:384
	ds_read_u16 v27, v10 offset:512
	ds_read_u16 v26, v10 offset:640
	ds_read_u16 v25, v10 offset:768
	ds_read_u16 v24, v10 offset:896
	ds_read_u16 v23, v10 offset:1024
	ds_read_u16 v22, v10 offset:1152
	ds_read_u16 v21, v10 offset:1280
	s_waitcnt vmcnt(0)
	ds_read_u16 v20, v10 offset:1408
	ds_read_u16 v18, v10 offset:1536
	;; [unrolled: 1-line block ×6, first 2 shown]
	s_mov_b32 s5, 0
	s_add_i32 s15, s15, s14
	s_lshl_b64 s[0:1], s[4:5], 1
	s_add_u32 s0, s6, s0
	s_addc_u32 s1, s7, s1
	v_mov_b32_e32 v11, s1
	v_add_co_u32_e32 v10, vcc, s0, v1
	v_addc_co_u32_e32 v11, vcc, 0, v11, vcc
	v_cmp_gt_u32_e32 vcc, s15, v0
	s_and_saveexec_b64 s[0:1], vcc
	s_cbranch_execz .LBB561_62
; %bb.61:
	v_sub_u32_e32 v31, 0, v13
	v_add_u32_e32 v31, v12, v31
	ds_read_u16 v31, v31
	s_waitcnt lgkmcnt(0)
	global_store_short v[10:11], v31, off
.LBB561_62:
	s_or_b64 exec, exec, s[0:1]
	v_or_b32_e32 v31, 64, v0
	v_cmp_gt_u32_e32 vcc, s15, v31
	s_and_saveexec_b64 s[0:1], vcc
	s_cbranch_execz .LBB561_64
; %bb.63:
	s_waitcnt lgkmcnt(14)
	global_store_short v[10:11], v30, off offset:128
.LBB561_64:
	s_or_b64 exec, exec, s[0:1]
	s_waitcnt lgkmcnt(14)
	v_or_b32_e32 v30, 0x80, v0
	v_cmp_gt_u32_e32 vcc, s15, v30
	s_and_saveexec_b64 s[0:1], vcc
	s_cbranch_execz .LBB561_66
; %bb.65:
	global_store_short v[10:11], v29, off offset:256
.LBB561_66:
	s_or_b64 exec, exec, s[0:1]
	v_or_b32_e32 v29, 0xc0, v0
	v_cmp_gt_u32_e32 vcc, s15, v29
	s_and_saveexec_b64 s[0:1], vcc
	s_cbranch_execz .LBB561_68
; %bb.67:
	s_waitcnt lgkmcnt(13)
	global_store_short v[10:11], v28, off offset:384
.LBB561_68:
	s_or_b64 exec, exec, s[0:1]
	s_waitcnt lgkmcnt(13)
	v_or_b32_e32 v28, 0x100, v0
	v_cmp_gt_u32_e32 vcc, s15, v28
	s_and_saveexec_b64 s[0:1], vcc
	s_cbranch_execz .LBB561_70
; %bb.69:
	s_waitcnt lgkmcnt(12)
	global_store_short v[10:11], v27, off offset:512
.LBB561_70:
	s_or_b64 exec, exec, s[0:1]
	s_waitcnt lgkmcnt(12)
	;; [unrolled: 10-line block ×12, first 2 shown]
	v_or_b32_e32 v16, 0x3c0, v0
	v_cmp_gt_u32_e32 vcc, s15, v16
	s_and_saveexec_b64 s[0:1], vcc
	s_cbranch_execz .LBB561_92
; %bb.91:
	s_waitcnt lgkmcnt(1)
	global_store_short v[10:11], v15, off offset:1920
.LBB561_92:
	s_or_b64 exec, exec, s[0:1]
	v_or_b32_e32 v0, 0x400, v0
	v_cmp_gt_u32_e64 s[0:1], s15, v0
	s_branch .LBB561_95
.LBB561_93:
	s_mov_b64 s[0:1], 0
                                        ; implicit-def: $vgpr14
                                        ; implicit-def: $vgpr10_vgpr11
	s_cbranch_execz .LBB561_95
; %bb.94:
	s_mov_b32 s5, 0
	s_lshl_b64 s[2:3], s[4:5], 1
	v_sub_u32_e32 v0, v12, v13
	s_add_u32 s2, s6, s2
	ds_write_b16 v12, v19
	ds_write_b128 v12, v[6:9] offset:2
	ds_write_b128 v12, v[2:5] offset:18
	s_waitcnt lgkmcnt(0)
	; wave barrier
	s_waitcnt lgkmcnt(0)
	ds_read_u16 v2, v0
	ds_read_u16 v3, v0 offset:128
	ds_read_u16 v4, v0 offset:256
	;; [unrolled: 1-line block ×14, first 2 shown]
	s_waitcnt vmcnt(0)
	ds_read_u16 v20, v0 offset:1920
	ds_read_u16 v14, v0 offset:2048
	s_addc_u32 s3, s7, s3
	v_mov_b32_e32 v0, s3
	v_add_co_u32_e32 v10, vcc, s2, v1
	v_addc_co_u32_e32 v11, vcc, 0, v0, vcc
	s_or_b64 s[0:1], s[0:1], exec
	s_waitcnt lgkmcnt(14)
	global_store_short v1, v2, s[2:3]
	global_store_short v1, v3, s[2:3] offset:128
	global_store_short v1, v4, s[2:3] offset:256
	s_waitcnt lgkmcnt(13)
	global_store_short v1, v5, s[2:3] offset:384
	s_waitcnt lgkmcnt(12)
	;; [unrolled: 2-line block ×13, first 2 shown]
	global_store_short v1, v20, s[2:3] offset:1920
.LBB561_95:
	s_and_saveexec_b64 s[2:3], s[0:1]
	s_cbranch_execnz .LBB561_97
; %bb.96:
	s_endpgm
.LBB561_97:
	s_waitcnt lgkmcnt(0)
	global_store_short v[10:11], v14, off offset:2048
	s_endpgm
	.section	.rodata,"a",@progbits
	.p2align	6, 0x0
	.amdhsa_kernel _ZN7rocprim17ROCPRIM_400000_NS6detail17trampoline_kernelINS0_14default_configENS1_35adjacent_difference_config_selectorILb1EtEEZNS1_24adjacent_difference_implIS3_Lb1ELb0EPKtPtN6thrust23THRUST_200600_302600_NS4plusItEEEE10hipError_tPvRmT2_T3_mT4_P12ihipStream_tbEUlT_E_NS1_11comp_targetILNS1_3genE4ELNS1_11target_archE910ELNS1_3gpuE8ELNS1_3repE0EEENS1_30default_config_static_selectorELNS0_4arch9wavefront6targetE1EEEvT1_
		.amdhsa_group_segment_fixed_size 2176
		.amdhsa_private_segment_fixed_size 0
		.amdhsa_kernarg_size 56
		.amdhsa_user_sgpr_count 6
		.amdhsa_user_sgpr_private_segment_buffer 1
		.amdhsa_user_sgpr_dispatch_ptr 0
		.amdhsa_user_sgpr_queue_ptr 0
		.amdhsa_user_sgpr_kernarg_segment_ptr 1
		.amdhsa_user_sgpr_dispatch_id 0
		.amdhsa_user_sgpr_flat_scratch_init 0
		.amdhsa_user_sgpr_kernarg_preload_length 0
		.amdhsa_user_sgpr_kernarg_preload_offset 0
		.amdhsa_user_sgpr_private_segment_size 0
		.amdhsa_uses_dynamic_stack 0
		.amdhsa_system_sgpr_private_segment_wavefront_offset 0
		.amdhsa_system_sgpr_workgroup_id_x 1
		.amdhsa_system_sgpr_workgroup_id_y 0
		.amdhsa_system_sgpr_workgroup_id_z 0
		.amdhsa_system_sgpr_workgroup_info 0
		.amdhsa_system_vgpr_workitem_id 0
		.amdhsa_next_free_vgpr 32
		.amdhsa_next_free_sgpr 29
		.amdhsa_accum_offset 32
		.amdhsa_reserve_vcc 1
		.amdhsa_reserve_flat_scratch 0
		.amdhsa_float_round_mode_32 0
		.amdhsa_float_round_mode_16_64 0
		.amdhsa_float_denorm_mode_32 3
		.amdhsa_float_denorm_mode_16_64 3
		.amdhsa_dx10_clamp 1
		.amdhsa_ieee_mode 1
		.amdhsa_fp16_overflow 0
		.amdhsa_tg_split 0
		.amdhsa_exception_fp_ieee_invalid_op 0
		.amdhsa_exception_fp_denorm_src 0
		.amdhsa_exception_fp_ieee_div_zero 0
		.amdhsa_exception_fp_ieee_overflow 0
		.amdhsa_exception_fp_ieee_underflow 0
		.amdhsa_exception_fp_ieee_inexact 0
		.amdhsa_exception_int_div_zero 0
	.end_amdhsa_kernel
	.section	.text._ZN7rocprim17ROCPRIM_400000_NS6detail17trampoline_kernelINS0_14default_configENS1_35adjacent_difference_config_selectorILb1EtEEZNS1_24adjacent_difference_implIS3_Lb1ELb0EPKtPtN6thrust23THRUST_200600_302600_NS4plusItEEEE10hipError_tPvRmT2_T3_mT4_P12ihipStream_tbEUlT_E_NS1_11comp_targetILNS1_3genE4ELNS1_11target_archE910ELNS1_3gpuE8ELNS1_3repE0EEENS1_30default_config_static_selectorELNS0_4arch9wavefront6targetE1EEEvT1_,"axG",@progbits,_ZN7rocprim17ROCPRIM_400000_NS6detail17trampoline_kernelINS0_14default_configENS1_35adjacent_difference_config_selectorILb1EtEEZNS1_24adjacent_difference_implIS3_Lb1ELb0EPKtPtN6thrust23THRUST_200600_302600_NS4plusItEEEE10hipError_tPvRmT2_T3_mT4_P12ihipStream_tbEUlT_E_NS1_11comp_targetILNS1_3genE4ELNS1_11target_archE910ELNS1_3gpuE8ELNS1_3repE0EEENS1_30default_config_static_selectorELNS0_4arch9wavefront6targetE1EEEvT1_,comdat
.Lfunc_end561:
	.size	_ZN7rocprim17ROCPRIM_400000_NS6detail17trampoline_kernelINS0_14default_configENS1_35adjacent_difference_config_selectorILb1EtEEZNS1_24adjacent_difference_implIS3_Lb1ELb0EPKtPtN6thrust23THRUST_200600_302600_NS4plusItEEEE10hipError_tPvRmT2_T3_mT4_P12ihipStream_tbEUlT_E_NS1_11comp_targetILNS1_3genE4ELNS1_11target_archE910ELNS1_3gpuE8ELNS1_3repE0EEENS1_30default_config_static_selectorELNS0_4arch9wavefront6targetE1EEEvT1_, .Lfunc_end561-_ZN7rocprim17ROCPRIM_400000_NS6detail17trampoline_kernelINS0_14default_configENS1_35adjacent_difference_config_selectorILb1EtEEZNS1_24adjacent_difference_implIS3_Lb1ELb0EPKtPtN6thrust23THRUST_200600_302600_NS4plusItEEEE10hipError_tPvRmT2_T3_mT4_P12ihipStream_tbEUlT_E_NS1_11comp_targetILNS1_3genE4ELNS1_11target_archE910ELNS1_3gpuE8ELNS1_3repE0EEENS1_30default_config_static_selectorELNS0_4arch9wavefront6targetE1EEEvT1_
                                        ; -- End function
	.section	.AMDGPU.csdata,"",@progbits
; Kernel info:
; codeLenInByte = 4224
; NumSgprs: 33
; NumVgprs: 32
; NumAgprs: 0
; TotalNumVgprs: 32
; ScratchSize: 0
; MemoryBound: 0
; FloatMode: 240
; IeeeMode: 1
; LDSByteSize: 2176 bytes/workgroup (compile time only)
; SGPRBlocks: 4
; VGPRBlocks: 3
; NumSGPRsForWavesPerEU: 33
; NumVGPRsForWavesPerEU: 32
; AccumOffset: 32
; Occupancy: 8
; WaveLimiterHint : 1
; COMPUTE_PGM_RSRC2:SCRATCH_EN: 0
; COMPUTE_PGM_RSRC2:USER_SGPR: 6
; COMPUTE_PGM_RSRC2:TRAP_HANDLER: 0
; COMPUTE_PGM_RSRC2:TGID_X_EN: 1
; COMPUTE_PGM_RSRC2:TGID_Y_EN: 0
; COMPUTE_PGM_RSRC2:TGID_Z_EN: 0
; COMPUTE_PGM_RSRC2:TIDIG_COMP_CNT: 0
; COMPUTE_PGM_RSRC3_GFX90A:ACCUM_OFFSET: 7
; COMPUTE_PGM_RSRC3_GFX90A:TG_SPLIT: 0
	.section	.text._ZN7rocprim17ROCPRIM_400000_NS6detail17trampoline_kernelINS0_14default_configENS1_35adjacent_difference_config_selectorILb1EtEEZNS1_24adjacent_difference_implIS3_Lb1ELb0EPKtPtN6thrust23THRUST_200600_302600_NS4plusItEEEE10hipError_tPvRmT2_T3_mT4_P12ihipStream_tbEUlT_E_NS1_11comp_targetILNS1_3genE3ELNS1_11target_archE908ELNS1_3gpuE7ELNS1_3repE0EEENS1_30default_config_static_selectorELNS0_4arch9wavefront6targetE1EEEvT1_,"axG",@progbits,_ZN7rocprim17ROCPRIM_400000_NS6detail17trampoline_kernelINS0_14default_configENS1_35adjacent_difference_config_selectorILb1EtEEZNS1_24adjacent_difference_implIS3_Lb1ELb0EPKtPtN6thrust23THRUST_200600_302600_NS4plusItEEEE10hipError_tPvRmT2_T3_mT4_P12ihipStream_tbEUlT_E_NS1_11comp_targetILNS1_3genE3ELNS1_11target_archE908ELNS1_3gpuE7ELNS1_3repE0EEENS1_30default_config_static_selectorELNS0_4arch9wavefront6targetE1EEEvT1_,comdat
	.protected	_ZN7rocprim17ROCPRIM_400000_NS6detail17trampoline_kernelINS0_14default_configENS1_35adjacent_difference_config_selectorILb1EtEEZNS1_24adjacent_difference_implIS3_Lb1ELb0EPKtPtN6thrust23THRUST_200600_302600_NS4plusItEEEE10hipError_tPvRmT2_T3_mT4_P12ihipStream_tbEUlT_E_NS1_11comp_targetILNS1_3genE3ELNS1_11target_archE908ELNS1_3gpuE7ELNS1_3repE0EEENS1_30default_config_static_selectorELNS0_4arch9wavefront6targetE1EEEvT1_ ; -- Begin function _ZN7rocprim17ROCPRIM_400000_NS6detail17trampoline_kernelINS0_14default_configENS1_35adjacent_difference_config_selectorILb1EtEEZNS1_24adjacent_difference_implIS3_Lb1ELb0EPKtPtN6thrust23THRUST_200600_302600_NS4plusItEEEE10hipError_tPvRmT2_T3_mT4_P12ihipStream_tbEUlT_E_NS1_11comp_targetILNS1_3genE3ELNS1_11target_archE908ELNS1_3gpuE7ELNS1_3repE0EEENS1_30default_config_static_selectorELNS0_4arch9wavefront6targetE1EEEvT1_
	.globl	_ZN7rocprim17ROCPRIM_400000_NS6detail17trampoline_kernelINS0_14default_configENS1_35adjacent_difference_config_selectorILb1EtEEZNS1_24adjacent_difference_implIS3_Lb1ELb0EPKtPtN6thrust23THRUST_200600_302600_NS4plusItEEEE10hipError_tPvRmT2_T3_mT4_P12ihipStream_tbEUlT_E_NS1_11comp_targetILNS1_3genE3ELNS1_11target_archE908ELNS1_3gpuE7ELNS1_3repE0EEENS1_30default_config_static_selectorELNS0_4arch9wavefront6targetE1EEEvT1_
	.p2align	8
	.type	_ZN7rocprim17ROCPRIM_400000_NS6detail17trampoline_kernelINS0_14default_configENS1_35adjacent_difference_config_selectorILb1EtEEZNS1_24adjacent_difference_implIS3_Lb1ELb0EPKtPtN6thrust23THRUST_200600_302600_NS4plusItEEEE10hipError_tPvRmT2_T3_mT4_P12ihipStream_tbEUlT_E_NS1_11comp_targetILNS1_3genE3ELNS1_11target_archE908ELNS1_3gpuE7ELNS1_3repE0EEENS1_30default_config_static_selectorELNS0_4arch9wavefront6targetE1EEEvT1_,@function
_ZN7rocprim17ROCPRIM_400000_NS6detail17trampoline_kernelINS0_14default_configENS1_35adjacent_difference_config_selectorILb1EtEEZNS1_24adjacent_difference_implIS3_Lb1ELb0EPKtPtN6thrust23THRUST_200600_302600_NS4plusItEEEE10hipError_tPvRmT2_T3_mT4_P12ihipStream_tbEUlT_E_NS1_11comp_targetILNS1_3genE3ELNS1_11target_archE908ELNS1_3gpuE7ELNS1_3repE0EEENS1_30default_config_static_selectorELNS0_4arch9wavefront6targetE1EEEvT1_: ; @_ZN7rocprim17ROCPRIM_400000_NS6detail17trampoline_kernelINS0_14default_configENS1_35adjacent_difference_config_selectorILb1EtEEZNS1_24adjacent_difference_implIS3_Lb1ELb0EPKtPtN6thrust23THRUST_200600_302600_NS4plusItEEEE10hipError_tPvRmT2_T3_mT4_P12ihipStream_tbEUlT_E_NS1_11comp_targetILNS1_3genE3ELNS1_11target_archE908ELNS1_3gpuE7ELNS1_3repE0EEENS1_30default_config_static_selectorELNS0_4arch9wavefront6targetE1EEEvT1_
; %bb.0:
	.section	.rodata,"a",@progbits
	.p2align	6, 0x0
	.amdhsa_kernel _ZN7rocprim17ROCPRIM_400000_NS6detail17trampoline_kernelINS0_14default_configENS1_35adjacent_difference_config_selectorILb1EtEEZNS1_24adjacent_difference_implIS3_Lb1ELb0EPKtPtN6thrust23THRUST_200600_302600_NS4plusItEEEE10hipError_tPvRmT2_T3_mT4_P12ihipStream_tbEUlT_E_NS1_11comp_targetILNS1_3genE3ELNS1_11target_archE908ELNS1_3gpuE7ELNS1_3repE0EEENS1_30default_config_static_selectorELNS0_4arch9wavefront6targetE1EEEvT1_
		.amdhsa_group_segment_fixed_size 0
		.amdhsa_private_segment_fixed_size 0
		.amdhsa_kernarg_size 56
		.amdhsa_user_sgpr_count 6
		.amdhsa_user_sgpr_private_segment_buffer 1
		.amdhsa_user_sgpr_dispatch_ptr 0
		.amdhsa_user_sgpr_queue_ptr 0
		.amdhsa_user_sgpr_kernarg_segment_ptr 1
		.amdhsa_user_sgpr_dispatch_id 0
		.amdhsa_user_sgpr_flat_scratch_init 0
		.amdhsa_user_sgpr_kernarg_preload_length 0
		.amdhsa_user_sgpr_kernarg_preload_offset 0
		.amdhsa_user_sgpr_private_segment_size 0
		.amdhsa_uses_dynamic_stack 0
		.amdhsa_system_sgpr_private_segment_wavefront_offset 0
		.amdhsa_system_sgpr_workgroup_id_x 1
		.amdhsa_system_sgpr_workgroup_id_y 0
		.amdhsa_system_sgpr_workgroup_id_z 0
		.amdhsa_system_sgpr_workgroup_info 0
		.amdhsa_system_vgpr_workitem_id 0
		.amdhsa_next_free_vgpr 1
		.amdhsa_next_free_sgpr 0
		.amdhsa_accum_offset 4
		.amdhsa_reserve_vcc 0
		.amdhsa_reserve_flat_scratch 0
		.amdhsa_float_round_mode_32 0
		.amdhsa_float_round_mode_16_64 0
		.amdhsa_float_denorm_mode_32 3
		.amdhsa_float_denorm_mode_16_64 3
		.amdhsa_dx10_clamp 1
		.amdhsa_ieee_mode 1
		.amdhsa_fp16_overflow 0
		.amdhsa_tg_split 0
		.amdhsa_exception_fp_ieee_invalid_op 0
		.amdhsa_exception_fp_denorm_src 0
		.amdhsa_exception_fp_ieee_div_zero 0
		.amdhsa_exception_fp_ieee_overflow 0
		.amdhsa_exception_fp_ieee_underflow 0
		.amdhsa_exception_fp_ieee_inexact 0
		.amdhsa_exception_int_div_zero 0
	.end_amdhsa_kernel
	.section	.text._ZN7rocprim17ROCPRIM_400000_NS6detail17trampoline_kernelINS0_14default_configENS1_35adjacent_difference_config_selectorILb1EtEEZNS1_24adjacent_difference_implIS3_Lb1ELb0EPKtPtN6thrust23THRUST_200600_302600_NS4plusItEEEE10hipError_tPvRmT2_T3_mT4_P12ihipStream_tbEUlT_E_NS1_11comp_targetILNS1_3genE3ELNS1_11target_archE908ELNS1_3gpuE7ELNS1_3repE0EEENS1_30default_config_static_selectorELNS0_4arch9wavefront6targetE1EEEvT1_,"axG",@progbits,_ZN7rocprim17ROCPRIM_400000_NS6detail17trampoline_kernelINS0_14default_configENS1_35adjacent_difference_config_selectorILb1EtEEZNS1_24adjacent_difference_implIS3_Lb1ELb0EPKtPtN6thrust23THRUST_200600_302600_NS4plusItEEEE10hipError_tPvRmT2_T3_mT4_P12ihipStream_tbEUlT_E_NS1_11comp_targetILNS1_3genE3ELNS1_11target_archE908ELNS1_3gpuE7ELNS1_3repE0EEENS1_30default_config_static_selectorELNS0_4arch9wavefront6targetE1EEEvT1_,comdat
.Lfunc_end562:
	.size	_ZN7rocprim17ROCPRIM_400000_NS6detail17trampoline_kernelINS0_14default_configENS1_35adjacent_difference_config_selectorILb1EtEEZNS1_24adjacent_difference_implIS3_Lb1ELb0EPKtPtN6thrust23THRUST_200600_302600_NS4plusItEEEE10hipError_tPvRmT2_T3_mT4_P12ihipStream_tbEUlT_E_NS1_11comp_targetILNS1_3genE3ELNS1_11target_archE908ELNS1_3gpuE7ELNS1_3repE0EEENS1_30default_config_static_selectorELNS0_4arch9wavefront6targetE1EEEvT1_, .Lfunc_end562-_ZN7rocprim17ROCPRIM_400000_NS6detail17trampoline_kernelINS0_14default_configENS1_35adjacent_difference_config_selectorILb1EtEEZNS1_24adjacent_difference_implIS3_Lb1ELb0EPKtPtN6thrust23THRUST_200600_302600_NS4plusItEEEE10hipError_tPvRmT2_T3_mT4_P12ihipStream_tbEUlT_E_NS1_11comp_targetILNS1_3genE3ELNS1_11target_archE908ELNS1_3gpuE7ELNS1_3repE0EEENS1_30default_config_static_selectorELNS0_4arch9wavefront6targetE1EEEvT1_
                                        ; -- End function
	.section	.AMDGPU.csdata,"",@progbits
; Kernel info:
; codeLenInByte = 0
; NumSgprs: 4
; NumVgprs: 0
; NumAgprs: 0
; TotalNumVgprs: 0
; ScratchSize: 0
; MemoryBound: 0
; FloatMode: 240
; IeeeMode: 1
; LDSByteSize: 0 bytes/workgroup (compile time only)
; SGPRBlocks: 0
; VGPRBlocks: 0
; NumSGPRsForWavesPerEU: 4
; NumVGPRsForWavesPerEU: 1
; AccumOffset: 4
; Occupancy: 8
; WaveLimiterHint : 0
; COMPUTE_PGM_RSRC2:SCRATCH_EN: 0
; COMPUTE_PGM_RSRC2:USER_SGPR: 6
; COMPUTE_PGM_RSRC2:TRAP_HANDLER: 0
; COMPUTE_PGM_RSRC2:TGID_X_EN: 1
; COMPUTE_PGM_RSRC2:TGID_Y_EN: 0
; COMPUTE_PGM_RSRC2:TGID_Z_EN: 0
; COMPUTE_PGM_RSRC2:TIDIG_COMP_CNT: 0
; COMPUTE_PGM_RSRC3_GFX90A:ACCUM_OFFSET: 0
; COMPUTE_PGM_RSRC3_GFX90A:TG_SPLIT: 0
	.section	.text._ZN7rocprim17ROCPRIM_400000_NS6detail17trampoline_kernelINS0_14default_configENS1_35adjacent_difference_config_selectorILb1EtEEZNS1_24adjacent_difference_implIS3_Lb1ELb0EPKtPtN6thrust23THRUST_200600_302600_NS4plusItEEEE10hipError_tPvRmT2_T3_mT4_P12ihipStream_tbEUlT_E_NS1_11comp_targetILNS1_3genE2ELNS1_11target_archE906ELNS1_3gpuE6ELNS1_3repE0EEENS1_30default_config_static_selectorELNS0_4arch9wavefront6targetE1EEEvT1_,"axG",@progbits,_ZN7rocprim17ROCPRIM_400000_NS6detail17trampoline_kernelINS0_14default_configENS1_35adjacent_difference_config_selectorILb1EtEEZNS1_24adjacent_difference_implIS3_Lb1ELb0EPKtPtN6thrust23THRUST_200600_302600_NS4plusItEEEE10hipError_tPvRmT2_T3_mT4_P12ihipStream_tbEUlT_E_NS1_11comp_targetILNS1_3genE2ELNS1_11target_archE906ELNS1_3gpuE6ELNS1_3repE0EEENS1_30default_config_static_selectorELNS0_4arch9wavefront6targetE1EEEvT1_,comdat
	.protected	_ZN7rocprim17ROCPRIM_400000_NS6detail17trampoline_kernelINS0_14default_configENS1_35adjacent_difference_config_selectorILb1EtEEZNS1_24adjacent_difference_implIS3_Lb1ELb0EPKtPtN6thrust23THRUST_200600_302600_NS4plusItEEEE10hipError_tPvRmT2_T3_mT4_P12ihipStream_tbEUlT_E_NS1_11comp_targetILNS1_3genE2ELNS1_11target_archE906ELNS1_3gpuE6ELNS1_3repE0EEENS1_30default_config_static_selectorELNS0_4arch9wavefront6targetE1EEEvT1_ ; -- Begin function _ZN7rocprim17ROCPRIM_400000_NS6detail17trampoline_kernelINS0_14default_configENS1_35adjacent_difference_config_selectorILb1EtEEZNS1_24adjacent_difference_implIS3_Lb1ELb0EPKtPtN6thrust23THRUST_200600_302600_NS4plusItEEEE10hipError_tPvRmT2_T3_mT4_P12ihipStream_tbEUlT_E_NS1_11comp_targetILNS1_3genE2ELNS1_11target_archE906ELNS1_3gpuE6ELNS1_3repE0EEENS1_30default_config_static_selectorELNS0_4arch9wavefront6targetE1EEEvT1_
	.globl	_ZN7rocprim17ROCPRIM_400000_NS6detail17trampoline_kernelINS0_14default_configENS1_35adjacent_difference_config_selectorILb1EtEEZNS1_24adjacent_difference_implIS3_Lb1ELb0EPKtPtN6thrust23THRUST_200600_302600_NS4plusItEEEE10hipError_tPvRmT2_T3_mT4_P12ihipStream_tbEUlT_E_NS1_11comp_targetILNS1_3genE2ELNS1_11target_archE906ELNS1_3gpuE6ELNS1_3repE0EEENS1_30default_config_static_selectorELNS0_4arch9wavefront6targetE1EEEvT1_
	.p2align	8
	.type	_ZN7rocprim17ROCPRIM_400000_NS6detail17trampoline_kernelINS0_14default_configENS1_35adjacent_difference_config_selectorILb1EtEEZNS1_24adjacent_difference_implIS3_Lb1ELb0EPKtPtN6thrust23THRUST_200600_302600_NS4plusItEEEE10hipError_tPvRmT2_T3_mT4_P12ihipStream_tbEUlT_E_NS1_11comp_targetILNS1_3genE2ELNS1_11target_archE906ELNS1_3gpuE6ELNS1_3repE0EEENS1_30default_config_static_selectorELNS0_4arch9wavefront6targetE1EEEvT1_,@function
_ZN7rocprim17ROCPRIM_400000_NS6detail17trampoline_kernelINS0_14default_configENS1_35adjacent_difference_config_selectorILb1EtEEZNS1_24adjacent_difference_implIS3_Lb1ELb0EPKtPtN6thrust23THRUST_200600_302600_NS4plusItEEEE10hipError_tPvRmT2_T3_mT4_P12ihipStream_tbEUlT_E_NS1_11comp_targetILNS1_3genE2ELNS1_11target_archE906ELNS1_3gpuE6ELNS1_3repE0EEENS1_30default_config_static_selectorELNS0_4arch9wavefront6targetE1EEEvT1_: ; @_ZN7rocprim17ROCPRIM_400000_NS6detail17trampoline_kernelINS0_14default_configENS1_35adjacent_difference_config_selectorILb1EtEEZNS1_24adjacent_difference_implIS3_Lb1ELb0EPKtPtN6thrust23THRUST_200600_302600_NS4plusItEEEE10hipError_tPvRmT2_T3_mT4_P12ihipStream_tbEUlT_E_NS1_11comp_targetILNS1_3genE2ELNS1_11target_archE906ELNS1_3gpuE6ELNS1_3repE0EEENS1_30default_config_static_selectorELNS0_4arch9wavefront6targetE1EEEvT1_
; %bb.0:
	.section	.rodata,"a",@progbits
	.p2align	6, 0x0
	.amdhsa_kernel _ZN7rocprim17ROCPRIM_400000_NS6detail17trampoline_kernelINS0_14default_configENS1_35adjacent_difference_config_selectorILb1EtEEZNS1_24adjacent_difference_implIS3_Lb1ELb0EPKtPtN6thrust23THRUST_200600_302600_NS4plusItEEEE10hipError_tPvRmT2_T3_mT4_P12ihipStream_tbEUlT_E_NS1_11comp_targetILNS1_3genE2ELNS1_11target_archE906ELNS1_3gpuE6ELNS1_3repE0EEENS1_30default_config_static_selectorELNS0_4arch9wavefront6targetE1EEEvT1_
		.amdhsa_group_segment_fixed_size 0
		.amdhsa_private_segment_fixed_size 0
		.amdhsa_kernarg_size 56
		.amdhsa_user_sgpr_count 6
		.amdhsa_user_sgpr_private_segment_buffer 1
		.amdhsa_user_sgpr_dispatch_ptr 0
		.amdhsa_user_sgpr_queue_ptr 0
		.amdhsa_user_sgpr_kernarg_segment_ptr 1
		.amdhsa_user_sgpr_dispatch_id 0
		.amdhsa_user_sgpr_flat_scratch_init 0
		.amdhsa_user_sgpr_kernarg_preload_length 0
		.amdhsa_user_sgpr_kernarg_preload_offset 0
		.amdhsa_user_sgpr_private_segment_size 0
		.amdhsa_uses_dynamic_stack 0
		.amdhsa_system_sgpr_private_segment_wavefront_offset 0
		.amdhsa_system_sgpr_workgroup_id_x 1
		.amdhsa_system_sgpr_workgroup_id_y 0
		.amdhsa_system_sgpr_workgroup_id_z 0
		.amdhsa_system_sgpr_workgroup_info 0
		.amdhsa_system_vgpr_workitem_id 0
		.amdhsa_next_free_vgpr 1
		.amdhsa_next_free_sgpr 0
		.amdhsa_accum_offset 4
		.amdhsa_reserve_vcc 0
		.amdhsa_reserve_flat_scratch 0
		.amdhsa_float_round_mode_32 0
		.amdhsa_float_round_mode_16_64 0
		.amdhsa_float_denorm_mode_32 3
		.amdhsa_float_denorm_mode_16_64 3
		.amdhsa_dx10_clamp 1
		.amdhsa_ieee_mode 1
		.amdhsa_fp16_overflow 0
		.amdhsa_tg_split 0
		.amdhsa_exception_fp_ieee_invalid_op 0
		.amdhsa_exception_fp_denorm_src 0
		.amdhsa_exception_fp_ieee_div_zero 0
		.amdhsa_exception_fp_ieee_overflow 0
		.amdhsa_exception_fp_ieee_underflow 0
		.amdhsa_exception_fp_ieee_inexact 0
		.amdhsa_exception_int_div_zero 0
	.end_amdhsa_kernel
	.section	.text._ZN7rocprim17ROCPRIM_400000_NS6detail17trampoline_kernelINS0_14default_configENS1_35adjacent_difference_config_selectorILb1EtEEZNS1_24adjacent_difference_implIS3_Lb1ELb0EPKtPtN6thrust23THRUST_200600_302600_NS4plusItEEEE10hipError_tPvRmT2_T3_mT4_P12ihipStream_tbEUlT_E_NS1_11comp_targetILNS1_3genE2ELNS1_11target_archE906ELNS1_3gpuE6ELNS1_3repE0EEENS1_30default_config_static_selectorELNS0_4arch9wavefront6targetE1EEEvT1_,"axG",@progbits,_ZN7rocprim17ROCPRIM_400000_NS6detail17trampoline_kernelINS0_14default_configENS1_35adjacent_difference_config_selectorILb1EtEEZNS1_24adjacent_difference_implIS3_Lb1ELb0EPKtPtN6thrust23THRUST_200600_302600_NS4plusItEEEE10hipError_tPvRmT2_T3_mT4_P12ihipStream_tbEUlT_E_NS1_11comp_targetILNS1_3genE2ELNS1_11target_archE906ELNS1_3gpuE6ELNS1_3repE0EEENS1_30default_config_static_selectorELNS0_4arch9wavefront6targetE1EEEvT1_,comdat
.Lfunc_end563:
	.size	_ZN7rocprim17ROCPRIM_400000_NS6detail17trampoline_kernelINS0_14default_configENS1_35adjacent_difference_config_selectorILb1EtEEZNS1_24adjacent_difference_implIS3_Lb1ELb0EPKtPtN6thrust23THRUST_200600_302600_NS4plusItEEEE10hipError_tPvRmT2_T3_mT4_P12ihipStream_tbEUlT_E_NS1_11comp_targetILNS1_3genE2ELNS1_11target_archE906ELNS1_3gpuE6ELNS1_3repE0EEENS1_30default_config_static_selectorELNS0_4arch9wavefront6targetE1EEEvT1_, .Lfunc_end563-_ZN7rocprim17ROCPRIM_400000_NS6detail17trampoline_kernelINS0_14default_configENS1_35adjacent_difference_config_selectorILb1EtEEZNS1_24adjacent_difference_implIS3_Lb1ELb0EPKtPtN6thrust23THRUST_200600_302600_NS4plusItEEEE10hipError_tPvRmT2_T3_mT4_P12ihipStream_tbEUlT_E_NS1_11comp_targetILNS1_3genE2ELNS1_11target_archE906ELNS1_3gpuE6ELNS1_3repE0EEENS1_30default_config_static_selectorELNS0_4arch9wavefront6targetE1EEEvT1_
                                        ; -- End function
	.section	.AMDGPU.csdata,"",@progbits
; Kernel info:
; codeLenInByte = 0
; NumSgprs: 4
; NumVgprs: 0
; NumAgprs: 0
; TotalNumVgprs: 0
; ScratchSize: 0
; MemoryBound: 0
; FloatMode: 240
; IeeeMode: 1
; LDSByteSize: 0 bytes/workgroup (compile time only)
; SGPRBlocks: 0
; VGPRBlocks: 0
; NumSGPRsForWavesPerEU: 4
; NumVGPRsForWavesPerEU: 1
; AccumOffset: 4
; Occupancy: 8
; WaveLimiterHint : 0
; COMPUTE_PGM_RSRC2:SCRATCH_EN: 0
; COMPUTE_PGM_RSRC2:USER_SGPR: 6
; COMPUTE_PGM_RSRC2:TRAP_HANDLER: 0
; COMPUTE_PGM_RSRC2:TGID_X_EN: 1
; COMPUTE_PGM_RSRC2:TGID_Y_EN: 0
; COMPUTE_PGM_RSRC2:TGID_Z_EN: 0
; COMPUTE_PGM_RSRC2:TIDIG_COMP_CNT: 0
; COMPUTE_PGM_RSRC3_GFX90A:ACCUM_OFFSET: 0
; COMPUTE_PGM_RSRC3_GFX90A:TG_SPLIT: 0
	.section	.text._ZN7rocprim17ROCPRIM_400000_NS6detail17trampoline_kernelINS0_14default_configENS1_35adjacent_difference_config_selectorILb1EtEEZNS1_24adjacent_difference_implIS3_Lb1ELb0EPKtPtN6thrust23THRUST_200600_302600_NS4plusItEEEE10hipError_tPvRmT2_T3_mT4_P12ihipStream_tbEUlT_E_NS1_11comp_targetILNS1_3genE9ELNS1_11target_archE1100ELNS1_3gpuE3ELNS1_3repE0EEENS1_30default_config_static_selectorELNS0_4arch9wavefront6targetE1EEEvT1_,"axG",@progbits,_ZN7rocprim17ROCPRIM_400000_NS6detail17trampoline_kernelINS0_14default_configENS1_35adjacent_difference_config_selectorILb1EtEEZNS1_24adjacent_difference_implIS3_Lb1ELb0EPKtPtN6thrust23THRUST_200600_302600_NS4plusItEEEE10hipError_tPvRmT2_T3_mT4_P12ihipStream_tbEUlT_E_NS1_11comp_targetILNS1_3genE9ELNS1_11target_archE1100ELNS1_3gpuE3ELNS1_3repE0EEENS1_30default_config_static_selectorELNS0_4arch9wavefront6targetE1EEEvT1_,comdat
	.protected	_ZN7rocprim17ROCPRIM_400000_NS6detail17trampoline_kernelINS0_14default_configENS1_35adjacent_difference_config_selectorILb1EtEEZNS1_24adjacent_difference_implIS3_Lb1ELb0EPKtPtN6thrust23THRUST_200600_302600_NS4plusItEEEE10hipError_tPvRmT2_T3_mT4_P12ihipStream_tbEUlT_E_NS1_11comp_targetILNS1_3genE9ELNS1_11target_archE1100ELNS1_3gpuE3ELNS1_3repE0EEENS1_30default_config_static_selectorELNS0_4arch9wavefront6targetE1EEEvT1_ ; -- Begin function _ZN7rocprim17ROCPRIM_400000_NS6detail17trampoline_kernelINS0_14default_configENS1_35adjacent_difference_config_selectorILb1EtEEZNS1_24adjacent_difference_implIS3_Lb1ELb0EPKtPtN6thrust23THRUST_200600_302600_NS4plusItEEEE10hipError_tPvRmT2_T3_mT4_P12ihipStream_tbEUlT_E_NS1_11comp_targetILNS1_3genE9ELNS1_11target_archE1100ELNS1_3gpuE3ELNS1_3repE0EEENS1_30default_config_static_selectorELNS0_4arch9wavefront6targetE1EEEvT1_
	.globl	_ZN7rocprim17ROCPRIM_400000_NS6detail17trampoline_kernelINS0_14default_configENS1_35adjacent_difference_config_selectorILb1EtEEZNS1_24adjacent_difference_implIS3_Lb1ELb0EPKtPtN6thrust23THRUST_200600_302600_NS4plusItEEEE10hipError_tPvRmT2_T3_mT4_P12ihipStream_tbEUlT_E_NS1_11comp_targetILNS1_3genE9ELNS1_11target_archE1100ELNS1_3gpuE3ELNS1_3repE0EEENS1_30default_config_static_selectorELNS0_4arch9wavefront6targetE1EEEvT1_
	.p2align	8
	.type	_ZN7rocprim17ROCPRIM_400000_NS6detail17trampoline_kernelINS0_14default_configENS1_35adjacent_difference_config_selectorILb1EtEEZNS1_24adjacent_difference_implIS3_Lb1ELb0EPKtPtN6thrust23THRUST_200600_302600_NS4plusItEEEE10hipError_tPvRmT2_T3_mT4_P12ihipStream_tbEUlT_E_NS1_11comp_targetILNS1_3genE9ELNS1_11target_archE1100ELNS1_3gpuE3ELNS1_3repE0EEENS1_30default_config_static_selectorELNS0_4arch9wavefront6targetE1EEEvT1_,@function
_ZN7rocprim17ROCPRIM_400000_NS6detail17trampoline_kernelINS0_14default_configENS1_35adjacent_difference_config_selectorILb1EtEEZNS1_24adjacent_difference_implIS3_Lb1ELb0EPKtPtN6thrust23THRUST_200600_302600_NS4plusItEEEE10hipError_tPvRmT2_T3_mT4_P12ihipStream_tbEUlT_E_NS1_11comp_targetILNS1_3genE9ELNS1_11target_archE1100ELNS1_3gpuE3ELNS1_3repE0EEENS1_30default_config_static_selectorELNS0_4arch9wavefront6targetE1EEEvT1_: ; @_ZN7rocprim17ROCPRIM_400000_NS6detail17trampoline_kernelINS0_14default_configENS1_35adjacent_difference_config_selectorILb1EtEEZNS1_24adjacent_difference_implIS3_Lb1ELb0EPKtPtN6thrust23THRUST_200600_302600_NS4plusItEEEE10hipError_tPvRmT2_T3_mT4_P12ihipStream_tbEUlT_E_NS1_11comp_targetILNS1_3genE9ELNS1_11target_archE1100ELNS1_3gpuE3ELNS1_3repE0EEENS1_30default_config_static_selectorELNS0_4arch9wavefront6targetE1EEEvT1_
; %bb.0:
	.section	.rodata,"a",@progbits
	.p2align	6, 0x0
	.amdhsa_kernel _ZN7rocprim17ROCPRIM_400000_NS6detail17trampoline_kernelINS0_14default_configENS1_35adjacent_difference_config_selectorILb1EtEEZNS1_24adjacent_difference_implIS3_Lb1ELb0EPKtPtN6thrust23THRUST_200600_302600_NS4plusItEEEE10hipError_tPvRmT2_T3_mT4_P12ihipStream_tbEUlT_E_NS1_11comp_targetILNS1_3genE9ELNS1_11target_archE1100ELNS1_3gpuE3ELNS1_3repE0EEENS1_30default_config_static_selectorELNS0_4arch9wavefront6targetE1EEEvT1_
		.amdhsa_group_segment_fixed_size 0
		.amdhsa_private_segment_fixed_size 0
		.amdhsa_kernarg_size 56
		.amdhsa_user_sgpr_count 6
		.amdhsa_user_sgpr_private_segment_buffer 1
		.amdhsa_user_sgpr_dispatch_ptr 0
		.amdhsa_user_sgpr_queue_ptr 0
		.amdhsa_user_sgpr_kernarg_segment_ptr 1
		.amdhsa_user_sgpr_dispatch_id 0
		.amdhsa_user_sgpr_flat_scratch_init 0
		.amdhsa_user_sgpr_kernarg_preload_length 0
		.amdhsa_user_sgpr_kernarg_preload_offset 0
		.amdhsa_user_sgpr_private_segment_size 0
		.amdhsa_uses_dynamic_stack 0
		.amdhsa_system_sgpr_private_segment_wavefront_offset 0
		.amdhsa_system_sgpr_workgroup_id_x 1
		.amdhsa_system_sgpr_workgroup_id_y 0
		.amdhsa_system_sgpr_workgroup_id_z 0
		.amdhsa_system_sgpr_workgroup_info 0
		.amdhsa_system_vgpr_workitem_id 0
		.amdhsa_next_free_vgpr 1
		.amdhsa_next_free_sgpr 0
		.amdhsa_accum_offset 4
		.amdhsa_reserve_vcc 0
		.amdhsa_reserve_flat_scratch 0
		.amdhsa_float_round_mode_32 0
		.amdhsa_float_round_mode_16_64 0
		.amdhsa_float_denorm_mode_32 3
		.amdhsa_float_denorm_mode_16_64 3
		.amdhsa_dx10_clamp 1
		.amdhsa_ieee_mode 1
		.amdhsa_fp16_overflow 0
		.amdhsa_tg_split 0
		.amdhsa_exception_fp_ieee_invalid_op 0
		.amdhsa_exception_fp_denorm_src 0
		.amdhsa_exception_fp_ieee_div_zero 0
		.amdhsa_exception_fp_ieee_overflow 0
		.amdhsa_exception_fp_ieee_underflow 0
		.amdhsa_exception_fp_ieee_inexact 0
		.amdhsa_exception_int_div_zero 0
	.end_amdhsa_kernel
	.section	.text._ZN7rocprim17ROCPRIM_400000_NS6detail17trampoline_kernelINS0_14default_configENS1_35adjacent_difference_config_selectorILb1EtEEZNS1_24adjacent_difference_implIS3_Lb1ELb0EPKtPtN6thrust23THRUST_200600_302600_NS4plusItEEEE10hipError_tPvRmT2_T3_mT4_P12ihipStream_tbEUlT_E_NS1_11comp_targetILNS1_3genE9ELNS1_11target_archE1100ELNS1_3gpuE3ELNS1_3repE0EEENS1_30default_config_static_selectorELNS0_4arch9wavefront6targetE1EEEvT1_,"axG",@progbits,_ZN7rocprim17ROCPRIM_400000_NS6detail17trampoline_kernelINS0_14default_configENS1_35adjacent_difference_config_selectorILb1EtEEZNS1_24adjacent_difference_implIS3_Lb1ELb0EPKtPtN6thrust23THRUST_200600_302600_NS4plusItEEEE10hipError_tPvRmT2_T3_mT4_P12ihipStream_tbEUlT_E_NS1_11comp_targetILNS1_3genE9ELNS1_11target_archE1100ELNS1_3gpuE3ELNS1_3repE0EEENS1_30default_config_static_selectorELNS0_4arch9wavefront6targetE1EEEvT1_,comdat
.Lfunc_end564:
	.size	_ZN7rocprim17ROCPRIM_400000_NS6detail17trampoline_kernelINS0_14default_configENS1_35adjacent_difference_config_selectorILb1EtEEZNS1_24adjacent_difference_implIS3_Lb1ELb0EPKtPtN6thrust23THRUST_200600_302600_NS4plusItEEEE10hipError_tPvRmT2_T3_mT4_P12ihipStream_tbEUlT_E_NS1_11comp_targetILNS1_3genE9ELNS1_11target_archE1100ELNS1_3gpuE3ELNS1_3repE0EEENS1_30default_config_static_selectorELNS0_4arch9wavefront6targetE1EEEvT1_, .Lfunc_end564-_ZN7rocprim17ROCPRIM_400000_NS6detail17trampoline_kernelINS0_14default_configENS1_35adjacent_difference_config_selectorILb1EtEEZNS1_24adjacent_difference_implIS3_Lb1ELb0EPKtPtN6thrust23THRUST_200600_302600_NS4plusItEEEE10hipError_tPvRmT2_T3_mT4_P12ihipStream_tbEUlT_E_NS1_11comp_targetILNS1_3genE9ELNS1_11target_archE1100ELNS1_3gpuE3ELNS1_3repE0EEENS1_30default_config_static_selectorELNS0_4arch9wavefront6targetE1EEEvT1_
                                        ; -- End function
	.section	.AMDGPU.csdata,"",@progbits
; Kernel info:
; codeLenInByte = 0
; NumSgprs: 4
; NumVgprs: 0
; NumAgprs: 0
; TotalNumVgprs: 0
; ScratchSize: 0
; MemoryBound: 0
; FloatMode: 240
; IeeeMode: 1
; LDSByteSize: 0 bytes/workgroup (compile time only)
; SGPRBlocks: 0
; VGPRBlocks: 0
; NumSGPRsForWavesPerEU: 4
; NumVGPRsForWavesPerEU: 1
; AccumOffset: 4
; Occupancy: 8
; WaveLimiterHint : 0
; COMPUTE_PGM_RSRC2:SCRATCH_EN: 0
; COMPUTE_PGM_RSRC2:USER_SGPR: 6
; COMPUTE_PGM_RSRC2:TRAP_HANDLER: 0
; COMPUTE_PGM_RSRC2:TGID_X_EN: 1
; COMPUTE_PGM_RSRC2:TGID_Y_EN: 0
; COMPUTE_PGM_RSRC2:TGID_Z_EN: 0
; COMPUTE_PGM_RSRC2:TIDIG_COMP_CNT: 0
; COMPUTE_PGM_RSRC3_GFX90A:ACCUM_OFFSET: 0
; COMPUTE_PGM_RSRC3_GFX90A:TG_SPLIT: 0
	.section	.text._ZN7rocprim17ROCPRIM_400000_NS6detail17trampoline_kernelINS0_14default_configENS1_35adjacent_difference_config_selectorILb1EtEEZNS1_24adjacent_difference_implIS3_Lb1ELb0EPKtPtN6thrust23THRUST_200600_302600_NS4plusItEEEE10hipError_tPvRmT2_T3_mT4_P12ihipStream_tbEUlT_E_NS1_11comp_targetILNS1_3genE8ELNS1_11target_archE1030ELNS1_3gpuE2ELNS1_3repE0EEENS1_30default_config_static_selectorELNS0_4arch9wavefront6targetE1EEEvT1_,"axG",@progbits,_ZN7rocprim17ROCPRIM_400000_NS6detail17trampoline_kernelINS0_14default_configENS1_35adjacent_difference_config_selectorILb1EtEEZNS1_24adjacent_difference_implIS3_Lb1ELb0EPKtPtN6thrust23THRUST_200600_302600_NS4plusItEEEE10hipError_tPvRmT2_T3_mT4_P12ihipStream_tbEUlT_E_NS1_11comp_targetILNS1_3genE8ELNS1_11target_archE1030ELNS1_3gpuE2ELNS1_3repE0EEENS1_30default_config_static_selectorELNS0_4arch9wavefront6targetE1EEEvT1_,comdat
	.protected	_ZN7rocprim17ROCPRIM_400000_NS6detail17trampoline_kernelINS0_14default_configENS1_35adjacent_difference_config_selectorILb1EtEEZNS1_24adjacent_difference_implIS3_Lb1ELb0EPKtPtN6thrust23THRUST_200600_302600_NS4plusItEEEE10hipError_tPvRmT2_T3_mT4_P12ihipStream_tbEUlT_E_NS1_11comp_targetILNS1_3genE8ELNS1_11target_archE1030ELNS1_3gpuE2ELNS1_3repE0EEENS1_30default_config_static_selectorELNS0_4arch9wavefront6targetE1EEEvT1_ ; -- Begin function _ZN7rocprim17ROCPRIM_400000_NS6detail17trampoline_kernelINS0_14default_configENS1_35adjacent_difference_config_selectorILb1EtEEZNS1_24adjacent_difference_implIS3_Lb1ELb0EPKtPtN6thrust23THRUST_200600_302600_NS4plusItEEEE10hipError_tPvRmT2_T3_mT4_P12ihipStream_tbEUlT_E_NS1_11comp_targetILNS1_3genE8ELNS1_11target_archE1030ELNS1_3gpuE2ELNS1_3repE0EEENS1_30default_config_static_selectorELNS0_4arch9wavefront6targetE1EEEvT1_
	.globl	_ZN7rocprim17ROCPRIM_400000_NS6detail17trampoline_kernelINS0_14default_configENS1_35adjacent_difference_config_selectorILb1EtEEZNS1_24adjacent_difference_implIS3_Lb1ELb0EPKtPtN6thrust23THRUST_200600_302600_NS4plusItEEEE10hipError_tPvRmT2_T3_mT4_P12ihipStream_tbEUlT_E_NS1_11comp_targetILNS1_3genE8ELNS1_11target_archE1030ELNS1_3gpuE2ELNS1_3repE0EEENS1_30default_config_static_selectorELNS0_4arch9wavefront6targetE1EEEvT1_
	.p2align	8
	.type	_ZN7rocprim17ROCPRIM_400000_NS6detail17trampoline_kernelINS0_14default_configENS1_35adjacent_difference_config_selectorILb1EtEEZNS1_24adjacent_difference_implIS3_Lb1ELb0EPKtPtN6thrust23THRUST_200600_302600_NS4plusItEEEE10hipError_tPvRmT2_T3_mT4_P12ihipStream_tbEUlT_E_NS1_11comp_targetILNS1_3genE8ELNS1_11target_archE1030ELNS1_3gpuE2ELNS1_3repE0EEENS1_30default_config_static_selectorELNS0_4arch9wavefront6targetE1EEEvT1_,@function
_ZN7rocprim17ROCPRIM_400000_NS6detail17trampoline_kernelINS0_14default_configENS1_35adjacent_difference_config_selectorILb1EtEEZNS1_24adjacent_difference_implIS3_Lb1ELb0EPKtPtN6thrust23THRUST_200600_302600_NS4plusItEEEE10hipError_tPvRmT2_T3_mT4_P12ihipStream_tbEUlT_E_NS1_11comp_targetILNS1_3genE8ELNS1_11target_archE1030ELNS1_3gpuE2ELNS1_3repE0EEENS1_30default_config_static_selectorELNS0_4arch9wavefront6targetE1EEEvT1_: ; @_ZN7rocprim17ROCPRIM_400000_NS6detail17trampoline_kernelINS0_14default_configENS1_35adjacent_difference_config_selectorILb1EtEEZNS1_24adjacent_difference_implIS3_Lb1ELb0EPKtPtN6thrust23THRUST_200600_302600_NS4plusItEEEE10hipError_tPvRmT2_T3_mT4_P12ihipStream_tbEUlT_E_NS1_11comp_targetILNS1_3genE8ELNS1_11target_archE1030ELNS1_3gpuE2ELNS1_3repE0EEENS1_30default_config_static_selectorELNS0_4arch9wavefront6targetE1EEEvT1_
; %bb.0:
	.section	.rodata,"a",@progbits
	.p2align	6, 0x0
	.amdhsa_kernel _ZN7rocprim17ROCPRIM_400000_NS6detail17trampoline_kernelINS0_14default_configENS1_35adjacent_difference_config_selectorILb1EtEEZNS1_24adjacent_difference_implIS3_Lb1ELb0EPKtPtN6thrust23THRUST_200600_302600_NS4plusItEEEE10hipError_tPvRmT2_T3_mT4_P12ihipStream_tbEUlT_E_NS1_11comp_targetILNS1_3genE8ELNS1_11target_archE1030ELNS1_3gpuE2ELNS1_3repE0EEENS1_30default_config_static_selectorELNS0_4arch9wavefront6targetE1EEEvT1_
		.amdhsa_group_segment_fixed_size 0
		.amdhsa_private_segment_fixed_size 0
		.amdhsa_kernarg_size 56
		.amdhsa_user_sgpr_count 6
		.amdhsa_user_sgpr_private_segment_buffer 1
		.amdhsa_user_sgpr_dispatch_ptr 0
		.amdhsa_user_sgpr_queue_ptr 0
		.amdhsa_user_sgpr_kernarg_segment_ptr 1
		.amdhsa_user_sgpr_dispatch_id 0
		.amdhsa_user_sgpr_flat_scratch_init 0
		.amdhsa_user_sgpr_kernarg_preload_length 0
		.amdhsa_user_sgpr_kernarg_preload_offset 0
		.amdhsa_user_sgpr_private_segment_size 0
		.amdhsa_uses_dynamic_stack 0
		.amdhsa_system_sgpr_private_segment_wavefront_offset 0
		.amdhsa_system_sgpr_workgroup_id_x 1
		.amdhsa_system_sgpr_workgroup_id_y 0
		.amdhsa_system_sgpr_workgroup_id_z 0
		.amdhsa_system_sgpr_workgroup_info 0
		.amdhsa_system_vgpr_workitem_id 0
		.amdhsa_next_free_vgpr 1
		.amdhsa_next_free_sgpr 0
		.amdhsa_accum_offset 4
		.amdhsa_reserve_vcc 0
		.amdhsa_reserve_flat_scratch 0
		.amdhsa_float_round_mode_32 0
		.amdhsa_float_round_mode_16_64 0
		.amdhsa_float_denorm_mode_32 3
		.amdhsa_float_denorm_mode_16_64 3
		.amdhsa_dx10_clamp 1
		.amdhsa_ieee_mode 1
		.amdhsa_fp16_overflow 0
		.amdhsa_tg_split 0
		.amdhsa_exception_fp_ieee_invalid_op 0
		.amdhsa_exception_fp_denorm_src 0
		.amdhsa_exception_fp_ieee_div_zero 0
		.amdhsa_exception_fp_ieee_overflow 0
		.amdhsa_exception_fp_ieee_underflow 0
		.amdhsa_exception_fp_ieee_inexact 0
		.amdhsa_exception_int_div_zero 0
	.end_amdhsa_kernel
	.section	.text._ZN7rocprim17ROCPRIM_400000_NS6detail17trampoline_kernelINS0_14default_configENS1_35adjacent_difference_config_selectorILb1EtEEZNS1_24adjacent_difference_implIS3_Lb1ELb0EPKtPtN6thrust23THRUST_200600_302600_NS4plusItEEEE10hipError_tPvRmT2_T3_mT4_P12ihipStream_tbEUlT_E_NS1_11comp_targetILNS1_3genE8ELNS1_11target_archE1030ELNS1_3gpuE2ELNS1_3repE0EEENS1_30default_config_static_selectorELNS0_4arch9wavefront6targetE1EEEvT1_,"axG",@progbits,_ZN7rocprim17ROCPRIM_400000_NS6detail17trampoline_kernelINS0_14default_configENS1_35adjacent_difference_config_selectorILb1EtEEZNS1_24adjacent_difference_implIS3_Lb1ELb0EPKtPtN6thrust23THRUST_200600_302600_NS4plusItEEEE10hipError_tPvRmT2_T3_mT4_P12ihipStream_tbEUlT_E_NS1_11comp_targetILNS1_3genE8ELNS1_11target_archE1030ELNS1_3gpuE2ELNS1_3repE0EEENS1_30default_config_static_selectorELNS0_4arch9wavefront6targetE1EEEvT1_,comdat
.Lfunc_end565:
	.size	_ZN7rocprim17ROCPRIM_400000_NS6detail17trampoline_kernelINS0_14default_configENS1_35adjacent_difference_config_selectorILb1EtEEZNS1_24adjacent_difference_implIS3_Lb1ELb0EPKtPtN6thrust23THRUST_200600_302600_NS4plusItEEEE10hipError_tPvRmT2_T3_mT4_P12ihipStream_tbEUlT_E_NS1_11comp_targetILNS1_3genE8ELNS1_11target_archE1030ELNS1_3gpuE2ELNS1_3repE0EEENS1_30default_config_static_selectorELNS0_4arch9wavefront6targetE1EEEvT1_, .Lfunc_end565-_ZN7rocprim17ROCPRIM_400000_NS6detail17trampoline_kernelINS0_14default_configENS1_35adjacent_difference_config_selectorILb1EtEEZNS1_24adjacent_difference_implIS3_Lb1ELb0EPKtPtN6thrust23THRUST_200600_302600_NS4plusItEEEE10hipError_tPvRmT2_T3_mT4_P12ihipStream_tbEUlT_E_NS1_11comp_targetILNS1_3genE8ELNS1_11target_archE1030ELNS1_3gpuE2ELNS1_3repE0EEENS1_30default_config_static_selectorELNS0_4arch9wavefront6targetE1EEEvT1_
                                        ; -- End function
	.section	.AMDGPU.csdata,"",@progbits
; Kernel info:
; codeLenInByte = 0
; NumSgprs: 4
; NumVgprs: 0
; NumAgprs: 0
; TotalNumVgprs: 0
; ScratchSize: 0
; MemoryBound: 0
; FloatMode: 240
; IeeeMode: 1
; LDSByteSize: 0 bytes/workgroup (compile time only)
; SGPRBlocks: 0
; VGPRBlocks: 0
; NumSGPRsForWavesPerEU: 4
; NumVGPRsForWavesPerEU: 1
; AccumOffset: 4
; Occupancy: 8
; WaveLimiterHint : 0
; COMPUTE_PGM_RSRC2:SCRATCH_EN: 0
; COMPUTE_PGM_RSRC2:USER_SGPR: 6
; COMPUTE_PGM_RSRC2:TRAP_HANDLER: 0
; COMPUTE_PGM_RSRC2:TGID_X_EN: 1
; COMPUTE_PGM_RSRC2:TGID_Y_EN: 0
; COMPUTE_PGM_RSRC2:TGID_Z_EN: 0
; COMPUTE_PGM_RSRC2:TIDIG_COMP_CNT: 0
; COMPUTE_PGM_RSRC3_GFX90A:ACCUM_OFFSET: 0
; COMPUTE_PGM_RSRC3_GFX90A:TG_SPLIT: 0
	.section	.text._ZN7rocprim17ROCPRIM_400000_NS6detail17trampoline_kernelINS0_14default_configENS1_35adjacent_difference_config_selectorILb0EiEEZNS1_24adjacent_difference_implIS3_Lb0ELb0EPKiPiN6thrust23THRUST_200600_302600_NS4plusIiEEEE10hipError_tPvRmT2_T3_mT4_P12ihipStream_tbEUlT_E_NS1_11comp_targetILNS1_3genE0ELNS1_11target_archE4294967295ELNS1_3gpuE0ELNS1_3repE0EEENS1_30default_config_static_selectorELNS0_4arch9wavefront6targetE1EEEvT1_,"axG",@progbits,_ZN7rocprim17ROCPRIM_400000_NS6detail17trampoline_kernelINS0_14default_configENS1_35adjacent_difference_config_selectorILb0EiEEZNS1_24adjacent_difference_implIS3_Lb0ELb0EPKiPiN6thrust23THRUST_200600_302600_NS4plusIiEEEE10hipError_tPvRmT2_T3_mT4_P12ihipStream_tbEUlT_E_NS1_11comp_targetILNS1_3genE0ELNS1_11target_archE4294967295ELNS1_3gpuE0ELNS1_3repE0EEENS1_30default_config_static_selectorELNS0_4arch9wavefront6targetE1EEEvT1_,comdat
	.protected	_ZN7rocprim17ROCPRIM_400000_NS6detail17trampoline_kernelINS0_14default_configENS1_35adjacent_difference_config_selectorILb0EiEEZNS1_24adjacent_difference_implIS3_Lb0ELb0EPKiPiN6thrust23THRUST_200600_302600_NS4plusIiEEEE10hipError_tPvRmT2_T3_mT4_P12ihipStream_tbEUlT_E_NS1_11comp_targetILNS1_3genE0ELNS1_11target_archE4294967295ELNS1_3gpuE0ELNS1_3repE0EEENS1_30default_config_static_selectorELNS0_4arch9wavefront6targetE1EEEvT1_ ; -- Begin function _ZN7rocprim17ROCPRIM_400000_NS6detail17trampoline_kernelINS0_14default_configENS1_35adjacent_difference_config_selectorILb0EiEEZNS1_24adjacent_difference_implIS3_Lb0ELb0EPKiPiN6thrust23THRUST_200600_302600_NS4plusIiEEEE10hipError_tPvRmT2_T3_mT4_P12ihipStream_tbEUlT_E_NS1_11comp_targetILNS1_3genE0ELNS1_11target_archE4294967295ELNS1_3gpuE0ELNS1_3repE0EEENS1_30default_config_static_selectorELNS0_4arch9wavefront6targetE1EEEvT1_
	.globl	_ZN7rocprim17ROCPRIM_400000_NS6detail17trampoline_kernelINS0_14default_configENS1_35adjacent_difference_config_selectorILb0EiEEZNS1_24adjacent_difference_implIS3_Lb0ELb0EPKiPiN6thrust23THRUST_200600_302600_NS4plusIiEEEE10hipError_tPvRmT2_T3_mT4_P12ihipStream_tbEUlT_E_NS1_11comp_targetILNS1_3genE0ELNS1_11target_archE4294967295ELNS1_3gpuE0ELNS1_3repE0EEENS1_30default_config_static_selectorELNS0_4arch9wavefront6targetE1EEEvT1_
	.p2align	8
	.type	_ZN7rocprim17ROCPRIM_400000_NS6detail17trampoline_kernelINS0_14default_configENS1_35adjacent_difference_config_selectorILb0EiEEZNS1_24adjacent_difference_implIS3_Lb0ELb0EPKiPiN6thrust23THRUST_200600_302600_NS4plusIiEEEE10hipError_tPvRmT2_T3_mT4_P12ihipStream_tbEUlT_E_NS1_11comp_targetILNS1_3genE0ELNS1_11target_archE4294967295ELNS1_3gpuE0ELNS1_3repE0EEENS1_30default_config_static_selectorELNS0_4arch9wavefront6targetE1EEEvT1_,@function
_ZN7rocprim17ROCPRIM_400000_NS6detail17trampoline_kernelINS0_14default_configENS1_35adjacent_difference_config_selectorILb0EiEEZNS1_24adjacent_difference_implIS3_Lb0ELb0EPKiPiN6thrust23THRUST_200600_302600_NS4plusIiEEEE10hipError_tPvRmT2_T3_mT4_P12ihipStream_tbEUlT_E_NS1_11comp_targetILNS1_3genE0ELNS1_11target_archE4294967295ELNS1_3gpuE0ELNS1_3repE0EEENS1_30default_config_static_selectorELNS0_4arch9wavefront6targetE1EEEvT1_: ; @_ZN7rocprim17ROCPRIM_400000_NS6detail17trampoline_kernelINS0_14default_configENS1_35adjacent_difference_config_selectorILb0EiEEZNS1_24adjacent_difference_implIS3_Lb0ELb0EPKiPiN6thrust23THRUST_200600_302600_NS4plusIiEEEE10hipError_tPvRmT2_T3_mT4_P12ihipStream_tbEUlT_E_NS1_11comp_targetILNS1_3genE0ELNS1_11target_archE4294967295ELNS1_3gpuE0ELNS1_3repE0EEENS1_30default_config_static_selectorELNS0_4arch9wavefront6targetE1EEEvT1_
; %bb.0:
	.section	.rodata,"a",@progbits
	.p2align	6, 0x0
	.amdhsa_kernel _ZN7rocprim17ROCPRIM_400000_NS6detail17trampoline_kernelINS0_14default_configENS1_35adjacent_difference_config_selectorILb0EiEEZNS1_24adjacent_difference_implIS3_Lb0ELb0EPKiPiN6thrust23THRUST_200600_302600_NS4plusIiEEEE10hipError_tPvRmT2_T3_mT4_P12ihipStream_tbEUlT_E_NS1_11comp_targetILNS1_3genE0ELNS1_11target_archE4294967295ELNS1_3gpuE0ELNS1_3repE0EEENS1_30default_config_static_selectorELNS0_4arch9wavefront6targetE1EEEvT1_
		.amdhsa_group_segment_fixed_size 0
		.amdhsa_private_segment_fixed_size 0
		.amdhsa_kernarg_size 56
		.amdhsa_user_sgpr_count 6
		.amdhsa_user_sgpr_private_segment_buffer 1
		.amdhsa_user_sgpr_dispatch_ptr 0
		.amdhsa_user_sgpr_queue_ptr 0
		.amdhsa_user_sgpr_kernarg_segment_ptr 1
		.amdhsa_user_sgpr_dispatch_id 0
		.amdhsa_user_sgpr_flat_scratch_init 0
		.amdhsa_user_sgpr_kernarg_preload_length 0
		.amdhsa_user_sgpr_kernarg_preload_offset 0
		.amdhsa_user_sgpr_private_segment_size 0
		.amdhsa_uses_dynamic_stack 0
		.amdhsa_system_sgpr_private_segment_wavefront_offset 0
		.amdhsa_system_sgpr_workgroup_id_x 1
		.amdhsa_system_sgpr_workgroup_id_y 0
		.amdhsa_system_sgpr_workgroup_id_z 0
		.amdhsa_system_sgpr_workgroup_info 0
		.amdhsa_system_vgpr_workitem_id 0
		.amdhsa_next_free_vgpr 1
		.amdhsa_next_free_sgpr 0
		.amdhsa_accum_offset 4
		.amdhsa_reserve_vcc 0
		.amdhsa_reserve_flat_scratch 0
		.amdhsa_float_round_mode_32 0
		.amdhsa_float_round_mode_16_64 0
		.amdhsa_float_denorm_mode_32 3
		.amdhsa_float_denorm_mode_16_64 3
		.amdhsa_dx10_clamp 1
		.amdhsa_ieee_mode 1
		.amdhsa_fp16_overflow 0
		.amdhsa_tg_split 0
		.amdhsa_exception_fp_ieee_invalid_op 0
		.amdhsa_exception_fp_denorm_src 0
		.amdhsa_exception_fp_ieee_div_zero 0
		.amdhsa_exception_fp_ieee_overflow 0
		.amdhsa_exception_fp_ieee_underflow 0
		.amdhsa_exception_fp_ieee_inexact 0
		.amdhsa_exception_int_div_zero 0
	.end_amdhsa_kernel
	.section	.text._ZN7rocprim17ROCPRIM_400000_NS6detail17trampoline_kernelINS0_14default_configENS1_35adjacent_difference_config_selectorILb0EiEEZNS1_24adjacent_difference_implIS3_Lb0ELb0EPKiPiN6thrust23THRUST_200600_302600_NS4plusIiEEEE10hipError_tPvRmT2_T3_mT4_P12ihipStream_tbEUlT_E_NS1_11comp_targetILNS1_3genE0ELNS1_11target_archE4294967295ELNS1_3gpuE0ELNS1_3repE0EEENS1_30default_config_static_selectorELNS0_4arch9wavefront6targetE1EEEvT1_,"axG",@progbits,_ZN7rocprim17ROCPRIM_400000_NS6detail17trampoline_kernelINS0_14default_configENS1_35adjacent_difference_config_selectorILb0EiEEZNS1_24adjacent_difference_implIS3_Lb0ELb0EPKiPiN6thrust23THRUST_200600_302600_NS4plusIiEEEE10hipError_tPvRmT2_T3_mT4_P12ihipStream_tbEUlT_E_NS1_11comp_targetILNS1_3genE0ELNS1_11target_archE4294967295ELNS1_3gpuE0ELNS1_3repE0EEENS1_30default_config_static_selectorELNS0_4arch9wavefront6targetE1EEEvT1_,comdat
.Lfunc_end566:
	.size	_ZN7rocprim17ROCPRIM_400000_NS6detail17trampoline_kernelINS0_14default_configENS1_35adjacent_difference_config_selectorILb0EiEEZNS1_24adjacent_difference_implIS3_Lb0ELb0EPKiPiN6thrust23THRUST_200600_302600_NS4plusIiEEEE10hipError_tPvRmT2_T3_mT4_P12ihipStream_tbEUlT_E_NS1_11comp_targetILNS1_3genE0ELNS1_11target_archE4294967295ELNS1_3gpuE0ELNS1_3repE0EEENS1_30default_config_static_selectorELNS0_4arch9wavefront6targetE1EEEvT1_, .Lfunc_end566-_ZN7rocprim17ROCPRIM_400000_NS6detail17trampoline_kernelINS0_14default_configENS1_35adjacent_difference_config_selectorILb0EiEEZNS1_24adjacent_difference_implIS3_Lb0ELb0EPKiPiN6thrust23THRUST_200600_302600_NS4plusIiEEEE10hipError_tPvRmT2_T3_mT4_P12ihipStream_tbEUlT_E_NS1_11comp_targetILNS1_3genE0ELNS1_11target_archE4294967295ELNS1_3gpuE0ELNS1_3repE0EEENS1_30default_config_static_selectorELNS0_4arch9wavefront6targetE1EEEvT1_
                                        ; -- End function
	.section	.AMDGPU.csdata,"",@progbits
; Kernel info:
; codeLenInByte = 0
; NumSgprs: 4
; NumVgprs: 0
; NumAgprs: 0
; TotalNumVgprs: 0
; ScratchSize: 0
; MemoryBound: 0
; FloatMode: 240
; IeeeMode: 1
; LDSByteSize: 0 bytes/workgroup (compile time only)
; SGPRBlocks: 0
; VGPRBlocks: 0
; NumSGPRsForWavesPerEU: 4
; NumVGPRsForWavesPerEU: 1
; AccumOffset: 4
; Occupancy: 8
; WaveLimiterHint : 0
; COMPUTE_PGM_RSRC2:SCRATCH_EN: 0
; COMPUTE_PGM_RSRC2:USER_SGPR: 6
; COMPUTE_PGM_RSRC2:TRAP_HANDLER: 0
; COMPUTE_PGM_RSRC2:TGID_X_EN: 1
; COMPUTE_PGM_RSRC2:TGID_Y_EN: 0
; COMPUTE_PGM_RSRC2:TGID_Z_EN: 0
; COMPUTE_PGM_RSRC2:TIDIG_COMP_CNT: 0
; COMPUTE_PGM_RSRC3_GFX90A:ACCUM_OFFSET: 0
; COMPUTE_PGM_RSRC3_GFX90A:TG_SPLIT: 0
	.section	.text._ZN7rocprim17ROCPRIM_400000_NS6detail17trampoline_kernelINS0_14default_configENS1_35adjacent_difference_config_selectorILb0EiEEZNS1_24adjacent_difference_implIS3_Lb0ELb0EPKiPiN6thrust23THRUST_200600_302600_NS4plusIiEEEE10hipError_tPvRmT2_T3_mT4_P12ihipStream_tbEUlT_E_NS1_11comp_targetILNS1_3genE10ELNS1_11target_archE1201ELNS1_3gpuE5ELNS1_3repE0EEENS1_30default_config_static_selectorELNS0_4arch9wavefront6targetE1EEEvT1_,"axG",@progbits,_ZN7rocprim17ROCPRIM_400000_NS6detail17trampoline_kernelINS0_14default_configENS1_35adjacent_difference_config_selectorILb0EiEEZNS1_24adjacent_difference_implIS3_Lb0ELb0EPKiPiN6thrust23THRUST_200600_302600_NS4plusIiEEEE10hipError_tPvRmT2_T3_mT4_P12ihipStream_tbEUlT_E_NS1_11comp_targetILNS1_3genE10ELNS1_11target_archE1201ELNS1_3gpuE5ELNS1_3repE0EEENS1_30default_config_static_selectorELNS0_4arch9wavefront6targetE1EEEvT1_,comdat
	.protected	_ZN7rocprim17ROCPRIM_400000_NS6detail17trampoline_kernelINS0_14default_configENS1_35adjacent_difference_config_selectorILb0EiEEZNS1_24adjacent_difference_implIS3_Lb0ELb0EPKiPiN6thrust23THRUST_200600_302600_NS4plusIiEEEE10hipError_tPvRmT2_T3_mT4_P12ihipStream_tbEUlT_E_NS1_11comp_targetILNS1_3genE10ELNS1_11target_archE1201ELNS1_3gpuE5ELNS1_3repE0EEENS1_30default_config_static_selectorELNS0_4arch9wavefront6targetE1EEEvT1_ ; -- Begin function _ZN7rocprim17ROCPRIM_400000_NS6detail17trampoline_kernelINS0_14default_configENS1_35adjacent_difference_config_selectorILb0EiEEZNS1_24adjacent_difference_implIS3_Lb0ELb0EPKiPiN6thrust23THRUST_200600_302600_NS4plusIiEEEE10hipError_tPvRmT2_T3_mT4_P12ihipStream_tbEUlT_E_NS1_11comp_targetILNS1_3genE10ELNS1_11target_archE1201ELNS1_3gpuE5ELNS1_3repE0EEENS1_30default_config_static_selectorELNS0_4arch9wavefront6targetE1EEEvT1_
	.globl	_ZN7rocprim17ROCPRIM_400000_NS6detail17trampoline_kernelINS0_14default_configENS1_35adjacent_difference_config_selectorILb0EiEEZNS1_24adjacent_difference_implIS3_Lb0ELb0EPKiPiN6thrust23THRUST_200600_302600_NS4plusIiEEEE10hipError_tPvRmT2_T3_mT4_P12ihipStream_tbEUlT_E_NS1_11comp_targetILNS1_3genE10ELNS1_11target_archE1201ELNS1_3gpuE5ELNS1_3repE0EEENS1_30default_config_static_selectorELNS0_4arch9wavefront6targetE1EEEvT1_
	.p2align	8
	.type	_ZN7rocprim17ROCPRIM_400000_NS6detail17trampoline_kernelINS0_14default_configENS1_35adjacent_difference_config_selectorILb0EiEEZNS1_24adjacent_difference_implIS3_Lb0ELb0EPKiPiN6thrust23THRUST_200600_302600_NS4plusIiEEEE10hipError_tPvRmT2_T3_mT4_P12ihipStream_tbEUlT_E_NS1_11comp_targetILNS1_3genE10ELNS1_11target_archE1201ELNS1_3gpuE5ELNS1_3repE0EEENS1_30default_config_static_selectorELNS0_4arch9wavefront6targetE1EEEvT1_,@function
_ZN7rocprim17ROCPRIM_400000_NS6detail17trampoline_kernelINS0_14default_configENS1_35adjacent_difference_config_selectorILb0EiEEZNS1_24adjacent_difference_implIS3_Lb0ELb0EPKiPiN6thrust23THRUST_200600_302600_NS4plusIiEEEE10hipError_tPvRmT2_T3_mT4_P12ihipStream_tbEUlT_E_NS1_11comp_targetILNS1_3genE10ELNS1_11target_archE1201ELNS1_3gpuE5ELNS1_3repE0EEENS1_30default_config_static_selectorELNS0_4arch9wavefront6targetE1EEEvT1_: ; @_ZN7rocprim17ROCPRIM_400000_NS6detail17trampoline_kernelINS0_14default_configENS1_35adjacent_difference_config_selectorILb0EiEEZNS1_24adjacent_difference_implIS3_Lb0ELb0EPKiPiN6thrust23THRUST_200600_302600_NS4plusIiEEEE10hipError_tPvRmT2_T3_mT4_P12ihipStream_tbEUlT_E_NS1_11comp_targetILNS1_3genE10ELNS1_11target_archE1201ELNS1_3gpuE5ELNS1_3repE0EEENS1_30default_config_static_selectorELNS0_4arch9wavefront6targetE1EEEvT1_
; %bb.0:
	.section	.rodata,"a",@progbits
	.p2align	6, 0x0
	.amdhsa_kernel _ZN7rocprim17ROCPRIM_400000_NS6detail17trampoline_kernelINS0_14default_configENS1_35adjacent_difference_config_selectorILb0EiEEZNS1_24adjacent_difference_implIS3_Lb0ELb0EPKiPiN6thrust23THRUST_200600_302600_NS4plusIiEEEE10hipError_tPvRmT2_T3_mT4_P12ihipStream_tbEUlT_E_NS1_11comp_targetILNS1_3genE10ELNS1_11target_archE1201ELNS1_3gpuE5ELNS1_3repE0EEENS1_30default_config_static_selectorELNS0_4arch9wavefront6targetE1EEEvT1_
		.amdhsa_group_segment_fixed_size 0
		.amdhsa_private_segment_fixed_size 0
		.amdhsa_kernarg_size 56
		.amdhsa_user_sgpr_count 6
		.amdhsa_user_sgpr_private_segment_buffer 1
		.amdhsa_user_sgpr_dispatch_ptr 0
		.amdhsa_user_sgpr_queue_ptr 0
		.amdhsa_user_sgpr_kernarg_segment_ptr 1
		.amdhsa_user_sgpr_dispatch_id 0
		.amdhsa_user_sgpr_flat_scratch_init 0
		.amdhsa_user_sgpr_kernarg_preload_length 0
		.amdhsa_user_sgpr_kernarg_preload_offset 0
		.amdhsa_user_sgpr_private_segment_size 0
		.amdhsa_uses_dynamic_stack 0
		.amdhsa_system_sgpr_private_segment_wavefront_offset 0
		.amdhsa_system_sgpr_workgroup_id_x 1
		.amdhsa_system_sgpr_workgroup_id_y 0
		.amdhsa_system_sgpr_workgroup_id_z 0
		.amdhsa_system_sgpr_workgroup_info 0
		.amdhsa_system_vgpr_workitem_id 0
		.amdhsa_next_free_vgpr 1
		.amdhsa_next_free_sgpr 0
		.amdhsa_accum_offset 4
		.amdhsa_reserve_vcc 0
		.amdhsa_reserve_flat_scratch 0
		.amdhsa_float_round_mode_32 0
		.amdhsa_float_round_mode_16_64 0
		.amdhsa_float_denorm_mode_32 3
		.amdhsa_float_denorm_mode_16_64 3
		.amdhsa_dx10_clamp 1
		.amdhsa_ieee_mode 1
		.amdhsa_fp16_overflow 0
		.amdhsa_tg_split 0
		.amdhsa_exception_fp_ieee_invalid_op 0
		.amdhsa_exception_fp_denorm_src 0
		.amdhsa_exception_fp_ieee_div_zero 0
		.amdhsa_exception_fp_ieee_overflow 0
		.amdhsa_exception_fp_ieee_underflow 0
		.amdhsa_exception_fp_ieee_inexact 0
		.amdhsa_exception_int_div_zero 0
	.end_amdhsa_kernel
	.section	.text._ZN7rocprim17ROCPRIM_400000_NS6detail17trampoline_kernelINS0_14default_configENS1_35adjacent_difference_config_selectorILb0EiEEZNS1_24adjacent_difference_implIS3_Lb0ELb0EPKiPiN6thrust23THRUST_200600_302600_NS4plusIiEEEE10hipError_tPvRmT2_T3_mT4_P12ihipStream_tbEUlT_E_NS1_11comp_targetILNS1_3genE10ELNS1_11target_archE1201ELNS1_3gpuE5ELNS1_3repE0EEENS1_30default_config_static_selectorELNS0_4arch9wavefront6targetE1EEEvT1_,"axG",@progbits,_ZN7rocprim17ROCPRIM_400000_NS6detail17trampoline_kernelINS0_14default_configENS1_35adjacent_difference_config_selectorILb0EiEEZNS1_24adjacent_difference_implIS3_Lb0ELb0EPKiPiN6thrust23THRUST_200600_302600_NS4plusIiEEEE10hipError_tPvRmT2_T3_mT4_P12ihipStream_tbEUlT_E_NS1_11comp_targetILNS1_3genE10ELNS1_11target_archE1201ELNS1_3gpuE5ELNS1_3repE0EEENS1_30default_config_static_selectorELNS0_4arch9wavefront6targetE1EEEvT1_,comdat
.Lfunc_end567:
	.size	_ZN7rocprim17ROCPRIM_400000_NS6detail17trampoline_kernelINS0_14default_configENS1_35adjacent_difference_config_selectorILb0EiEEZNS1_24adjacent_difference_implIS3_Lb0ELb0EPKiPiN6thrust23THRUST_200600_302600_NS4plusIiEEEE10hipError_tPvRmT2_T3_mT4_P12ihipStream_tbEUlT_E_NS1_11comp_targetILNS1_3genE10ELNS1_11target_archE1201ELNS1_3gpuE5ELNS1_3repE0EEENS1_30default_config_static_selectorELNS0_4arch9wavefront6targetE1EEEvT1_, .Lfunc_end567-_ZN7rocprim17ROCPRIM_400000_NS6detail17trampoline_kernelINS0_14default_configENS1_35adjacent_difference_config_selectorILb0EiEEZNS1_24adjacent_difference_implIS3_Lb0ELb0EPKiPiN6thrust23THRUST_200600_302600_NS4plusIiEEEE10hipError_tPvRmT2_T3_mT4_P12ihipStream_tbEUlT_E_NS1_11comp_targetILNS1_3genE10ELNS1_11target_archE1201ELNS1_3gpuE5ELNS1_3repE0EEENS1_30default_config_static_selectorELNS0_4arch9wavefront6targetE1EEEvT1_
                                        ; -- End function
	.section	.AMDGPU.csdata,"",@progbits
; Kernel info:
; codeLenInByte = 0
; NumSgprs: 4
; NumVgprs: 0
; NumAgprs: 0
; TotalNumVgprs: 0
; ScratchSize: 0
; MemoryBound: 0
; FloatMode: 240
; IeeeMode: 1
; LDSByteSize: 0 bytes/workgroup (compile time only)
; SGPRBlocks: 0
; VGPRBlocks: 0
; NumSGPRsForWavesPerEU: 4
; NumVGPRsForWavesPerEU: 1
; AccumOffset: 4
; Occupancy: 8
; WaveLimiterHint : 0
; COMPUTE_PGM_RSRC2:SCRATCH_EN: 0
; COMPUTE_PGM_RSRC2:USER_SGPR: 6
; COMPUTE_PGM_RSRC2:TRAP_HANDLER: 0
; COMPUTE_PGM_RSRC2:TGID_X_EN: 1
; COMPUTE_PGM_RSRC2:TGID_Y_EN: 0
; COMPUTE_PGM_RSRC2:TGID_Z_EN: 0
; COMPUTE_PGM_RSRC2:TIDIG_COMP_CNT: 0
; COMPUTE_PGM_RSRC3_GFX90A:ACCUM_OFFSET: 0
; COMPUTE_PGM_RSRC3_GFX90A:TG_SPLIT: 0
	.section	.text._ZN7rocprim17ROCPRIM_400000_NS6detail17trampoline_kernelINS0_14default_configENS1_35adjacent_difference_config_selectorILb0EiEEZNS1_24adjacent_difference_implIS3_Lb0ELb0EPKiPiN6thrust23THRUST_200600_302600_NS4plusIiEEEE10hipError_tPvRmT2_T3_mT4_P12ihipStream_tbEUlT_E_NS1_11comp_targetILNS1_3genE5ELNS1_11target_archE942ELNS1_3gpuE9ELNS1_3repE0EEENS1_30default_config_static_selectorELNS0_4arch9wavefront6targetE1EEEvT1_,"axG",@progbits,_ZN7rocprim17ROCPRIM_400000_NS6detail17trampoline_kernelINS0_14default_configENS1_35adjacent_difference_config_selectorILb0EiEEZNS1_24adjacent_difference_implIS3_Lb0ELb0EPKiPiN6thrust23THRUST_200600_302600_NS4plusIiEEEE10hipError_tPvRmT2_T3_mT4_P12ihipStream_tbEUlT_E_NS1_11comp_targetILNS1_3genE5ELNS1_11target_archE942ELNS1_3gpuE9ELNS1_3repE0EEENS1_30default_config_static_selectorELNS0_4arch9wavefront6targetE1EEEvT1_,comdat
	.protected	_ZN7rocprim17ROCPRIM_400000_NS6detail17trampoline_kernelINS0_14default_configENS1_35adjacent_difference_config_selectorILb0EiEEZNS1_24adjacent_difference_implIS3_Lb0ELb0EPKiPiN6thrust23THRUST_200600_302600_NS4plusIiEEEE10hipError_tPvRmT2_T3_mT4_P12ihipStream_tbEUlT_E_NS1_11comp_targetILNS1_3genE5ELNS1_11target_archE942ELNS1_3gpuE9ELNS1_3repE0EEENS1_30default_config_static_selectorELNS0_4arch9wavefront6targetE1EEEvT1_ ; -- Begin function _ZN7rocprim17ROCPRIM_400000_NS6detail17trampoline_kernelINS0_14default_configENS1_35adjacent_difference_config_selectorILb0EiEEZNS1_24adjacent_difference_implIS3_Lb0ELb0EPKiPiN6thrust23THRUST_200600_302600_NS4plusIiEEEE10hipError_tPvRmT2_T3_mT4_P12ihipStream_tbEUlT_E_NS1_11comp_targetILNS1_3genE5ELNS1_11target_archE942ELNS1_3gpuE9ELNS1_3repE0EEENS1_30default_config_static_selectorELNS0_4arch9wavefront6targetE1EEEvT1_
	.globl	_ZN7rocprim17ROCPRIM_400000_NS6detail17trampoline_kernelINS0_14default_configENS1_35adjacent_difference_config_selectorILb0EiEEZNS1_24adjacent_difference_implIS3_Lb0ELb0EPKiPiN6thrust23THRUST_200600_302600_NS4plusIiEEEE10hipError_tPvRmT2_T3_mT4_P12ihipStream_tbEUlT_E_NS1_11comp_targetILNS1_3genE5ELNS1_11target_archE942ELNS1_3gpuE9ELNS1_3repE0EEENS1_30default_config_static_selectorELNS0_4arch9wavefront6targetE1EEEvT1_
	.p2align	8
	.type	_ZN7rocprim17ROCPRIM_400000_NS6detail17trampoline_kernelINS0_14default_configENS1_35adjacent_difference_config_selectorILb0EiEEZNS1_24adjacent_difference_implIS3_Lb0ELb0EPKiPiN6thrust23THRUST_200600_302600_NS4plusIiEEEE10hipError_tPvRmT2_T3_mT4_P12ihipStream_tbEUlT_E_NS1_11comp_targetILNS1_3genE5ELNS1_11target_archE942ELNS1_3gpuE9ELNS1_3repE0EEENS1_30default_config_static_selectorELNS0_4arch9wavefront6targetE1EEEvT1_,@function
_ZN7rocprim17ROCPRIM_400000_NS6detail17trampoline_kernelINS0_14default_configENS1_35adjacent_difference_config_selectorILb0EiEEZNS1_24adjacent_difference_implIS3_Lb0ELb0EPKiPiN6thrust23THRUST_200600_302600_NS4plusIiEEEE10hipError_tPvRmT2_T3_mT4_P12ihipStream_tbEUlT_E_NS1_11comp_targetILNS1_3genE5ELNS1_11target_archE942ELNS1_3gpuE9ELNS1_3repE0EEENS1_30default_config_static_selectorELNS0_4arch9wavefront6targetE1EEEvT1_: ; @_ZN7rocprim17ROCPRIM_400000_NS6detail17trampoline_kernelINS0_14default_configENS1_35adjacent_difference_config_selectorILb0EiEEZNS1_24adjacent_difference_implIS3_Lb0ELb0EPKiPiN6thrust23THRUST_200600_302600_NS4plusIiEEEE10hipError_tPvRmT2_T3_mT4_P12ihipStream_tbEUlT_E_NS1_11comp_targetILNS1_3genE5ELNS1_11target_archE942ELNS1_3gpuE9ELNS1_3repE0EEENS1_30default_config_static_selectorELNS0_4arch9wavefront6targetE1EEEvT1_
; %bb.0:
	.section	.rodata,"a",@progbits
	.p2align	6, 0x0
	.amdhsa_kernel _ZN7rocprim17ROCPRIM_400000_NS6detail17trampoline_kernelINS0_14default_configENS1_35adjacent_difference_config_selectorILb0EiEEZNS1_24adjacent_difference_implIS3_Lb0ELb0EPKiPiN6thrust23THRUST_200600_302600_NS4plusIiEEEE10hipError_tPvRmT2_T3_mT4_P12ihipStream_tbEUlT_E_NS1_11comp_targetILNS1_3genE5ELNS1_11target_archE942ELNS1_3gpuE9ELNS1_3repE0EEENS1_30default_config_static_selectorELNS0_4arch9wavefront6targetE1EEEvT1_
		.amdhsa_group_segment_fixed_size 0
		.amdhsa_private_segment_fixed_size 0
		.amdhsa_kernarg_size 56
		.amdhsa_user_sgpr_count 6
		.amdhsa_user_sgpr_private_segment_buffer 1
		.amdhsa_user_sgpr_dispatch_ptr 0
		.amdhsa_user_sgpr_queue_ptr 0
		.amdhsa_user_sgpr_kernarg_segment_ptr 1
		.amdhsa_user_sgpr_dispatch_id 0
		.amdhsa_user_sgpr_flat_scratch_init 0
		.amdhsa_user_sgpr_kernarg_preload_length 0
		.amdhsa_user_sgpr_kernarg_preload_offset 0
		.amdhsa_user_sgpr_private_segment_size 0
		.amdhsa_uses_dynamic_stack 0
		.amdhsa_system_sgpr_private_segment_wavefront_offset 0
		.amdhsa_system_sgpr_workgroup_id_x 1
		.amdhsa_system_sgpr_workgroup_id_y 0
		.amdhsa_system_sgpr_workgroup_id_z 0
		.amdhsa_system_sgpr_workgroup_info 0
		.amdhsa_system_vgpr_workitem_id 0
		.amdhsa_next_free_vgpr 1
		.amdhsa_next_free_sgpr 0
		.amdhsa_accum_offset 4
		.amdhsa_reserve_vcc 0
		.amdhsa_reserve_flat_scratch 0
		.amdhsa_float_round_mode_32 0
		.amdhsa_float_round_mode_16_64 0
		.amdhsa_float_denorm_mode_32 3
		.amdhsa_float_denorm_mode_16_64 3
		.amdhsa_dx10_clamp 1
		.amdhsa_ieee_mode 1
		.amdhsa_fp16_overflow 0
		.amdhsa_tg_split 0
		.amdhsa_exception_fp_ieee_invalid_op 0
		.amdhsa_exception_fp_denorm_src 0
		.amdhsa_exception_fp_ieee_div_zero 0
		.amdhsa_exception_fp_ieee_overflow 0
		.amdhsa_exception_fp_ieee_underflow 0
		.amdhsa_exception_fp_ieee_inexact 0
		.amdhsa_exception_int_div_zero 0
	.end_amdhsa_kernel
	.section	.text._ZN7rocprim17ROCPRIM_400000_NS6detail17trampoline_kernelINS0_14default_configENS1_35adjacent_difference_config_selectorILb0EiEEZNS1_24adjacent_difference_implIS3_Lb0ELb0EPKiPiN6thrust23THRUST_200600_302600_NS4plusIiEEEE10hipError_tPvRmT2_T3_mT4_P12ihipStream_tbEUlT_E_NS1_11comp_targetILNS1_3genE5ELNS1_11target_archE942ELNS1_3gpuE9ELNS1_3repE0EEENS1_30default_config_static_selectorELNS0_4arch9wavefront6targetE1EEEvT1_,"axG",@progbits,_ZN7rocprim17ROCPRIM_400000_NS6detail17trampoline_kernelINS0_14default_configENS1_35adjacent_difference_config_selectorILb0EiEEZNS1_24adjacent_difference_implIS3_Lb0ELb0EPKiPiN6thrust23THRUST_200600_302600_NS4plusIiEEEE10hipError_tPvRmT2_T3_mT4_P12ihipStream_tbEUlT_E_NS1_11comp_targetILNS1_3genE5ELNS1_11target_archE942ELNS1_3gpuE9ELNS1_3repE0EEENS1_30default_config_static_selectorELNS0_4arch9wavefront6targetE1EEEvT1_,comdat
.Lfunc_end568:
	.size	_ZN7rocprim17ROCPRIM_400000_NS6detail17trampoline_kernelINS0_14default_configENS1_35adjacent_difference_config_selectorILb0EiEEZNS1_24adjacent_difference_implIS3_Lb0ELb0EPKiPiN6thrust23THRUST_200600_302600_NS4plusIiEEEE10hipError_tPvRmT2_T3_mT4_P12ihipStream_tbEUlT_E_NS1_11comp_targetILNS1_3genE5ELNS1_11target_archE942ELNS1_3gpuE9ELNS1_3repE0EEENS1_30default_config_static_selectorELNS0_4arch9wavefront6targetE1EEEvT1_, .Lfunc_end568-_ZN7rocprim17ROCPRIM_400000_NS6detail17trampoline_kernelINS0_14default_configENS1_35adjacent_difference_config_selectorILb0EiEEZNS1_24adjacent_difference_implIS3_Lb0ELb0EPKiPiN6thrust23THRUST_200600_302600_NS4plusIiEEEE10hipError_tPvRmT2_T3_mT4_P12ihipStream_tbEUlT_E_NS1_11comp_targetILNS1_3genE5ELNS1_11target_archE942ELNS1_3gpuE9ELNS1_3repE0EEENS1_30default_config_static_selectorELNS0_4arch9wavefront6targetE1EEEvT1_
                                        ; -- End function
	.section	.AMDGPU.csdata,"",@progbits
; Kernel info:
; codeLenInByte = 0
; NumSgprs: 4
; NumVgprs: 0
; NumAgprs: 0
; TotalNumVgprs: 0
; ScratchSize: 0
; MemoryBound: 0
; FloatMode: 240
; IeeeMode: 1
; LDSByteSize: 0 bytes/workgroup (compile time only)
; SGPRBlocks: 0
; VGPRBlocks: 0
; NumSGPRsForWavesPerEU: 4
; NumVGPRsForWavesPerEU: 1
; AccumOffset: 4
; Occupancy: 8
; WaveLimiterHint : 0
; COMPUTE_PGM_RSRC2:SCRATCH_EN: 0
; COMPUTE_PGM_RSRC2:USER_SGPR: 6
; COMPUTE_PGM_RSRC2:TRAP_HANDLER: 0
; COMPUTE_PGM_RSRC2:TGID_X_EN: 1
; COMPUTE_PGM_RSRC2:TGID_Y_EN: 0
; COMPUTE_PGM_RSRC2:TGID_Z_EN: 0
; COMPUTE_PGM_RSRC2:TIDIG_COMP_CNT: 0
; COMPUTE_PGM_RSRC3_GFX90A:ACCUM_OFFSET: 0
; COMPUTE_PGM_RSRC3_GFX90A:TG_SPLIT: 0
	.section	.text._ZN7rocprim17ROCPRIM_400000_NS6detail17trampoline_kernelINS0_14default_configENS1_35adjacent_difference_config_selectorILb0EiEEZNS1_24adjacent_difference_implIS3_Lb0ELb0EPKiPiN6thrust23THRUST_200600_302600_NS4plusIiEEEE10hipError_tPvRmT2_T3_mT4_P12ihipStream_tbEUlT_E_NS1_11comp_targetILNS1_3genE4ELNS1_11target_archE910ELNS1_3gpuE8ELNS1_3repE0EEENS1_30default_config_static_selectorELNS0_4arch9wavefront6targetE1EEEvT1_,"axG",@progbits,_ZN7rocprim17ROCPRIM_400000_NS6detail17trampoline_kernelINS0_14default_configENS1_35adjacent_difference_config_selectorILb0EiEEZNS1_24adjacent_difference_implIS3_Lb0ELb0EPKiPiN6thrust23THRUST_200600_302600_NS4plusIiEEEE10hipError_tPvRmT2_T3_mT4_P12ihipStream_tbEUlT_E_NS1_11comp_targetILNS1_3genE4ELNS1_11target_archE910ELNS1_3gpuE8ELNS1_3repE0EEENS1_30default_config_static_selectorELNS0_4arch9wavefront6targetE1EEEvT1_,comdat
	.protected	_ZN7rocprim17ROCPRIM_400000_NS6detail17trampoline_kernelINS0_14default_configENS1_35adjacent_difference_config_selectorILb0EiEEZNS1_24adjacent_difference_implIS3_Lb0ELb0EPKiPiN6thrust23THRUST_200600_302600_NS4plusIiEEEE10hipError_tPvRmT2_T3_mT4_P12ihipStream_tbEUlT_E_NS1_11comp_targetILNS1_3genE4ELNS1_11target_archE910ELNS1_3gpuE8ELNS1_3repE0EEENS1_30default_config_static_selectorELNS0_4arch9wavefront6targetE1EEEvT1_ ; -- Begin function _ZN7rocprim17ROCPRIM_400000_NS6detail17trampoline_kernelINS0_14default_configENS1_35adjacent_difference_config_selectorILb0EiEEZNS1_24adjacent_difference_implIS3_Lb0ELb0EPKiPiN6thrust23THRUST_200600_302600_NS4plusIiEEEE10hipError_tPvRmT2_T3_mT4_P12ihipStream_tbEUlT_E_NS1_11comp_targetILNS1_3genE4ELNS1_11target_archE910ELNS1_3gpuE8ELNS1_3repE0EEENS1_30default_config_static_selectorELNS0_4arch9wavefront6targetE1EEEvT1_
	.globl	_ZN7rocprim17ROCPRIM_400000_NS6detail17trampoline_kernelINS0_14default_configENS1_35adjacent_difference_config_selectorILb0EiEEZNS1_24adjacent_difference_implIS3_Lb0ELb0EPKiPiN6thrust23THRUST_200600_302600_NS4plusIiEEEE10hipError_tPvRmT2_T3_mT4_P12ihipStream_tbEUlT_E_NS1_11comp_targetILNS1_3genE4ELNS1_11target_archE910ELNS1_3gpuE8ELNS1_3repE0EEENS1_30default_config_static_selectorELNS0_4arch9wavefront6targetE1EEEvT1_
	.p2align	8
	.type	_ZN7rocprim17ROCPRIM_400000_NS6detail17trampoline_kernelINS0_14default_configENS1_35adjacent_difference_config_selectorILb0EiEEZNS1_24adjacent_difference_implIS3_Lb0ELb0EPKiPiN6thrust23THRUST_200600_302600_NS4plusIiEEEE10hipError_tPvRmT2_T3_mT4_P12ihipStream_tbEUlT_E_NS1_11comp_targetILNS1_3genE4ELNS1_11target_archE910ELNS1_3gpuE8ELNS1_3repE0EEENS1_30default_config_static_selectorELNS0_4arch9wavefront6targetE1EEEvT1_,@function
_ZN7rocprim17ROCPRIM_400000_NS6detail17trampoline_kernelINS0_14default_configENS1_35adjacent_difference_config_selectorILb0EiEEZNS1_24adjacent_difference_implIS3_Lb0ELb0EPKiPiN6thrust23THRUST_200600_302600_NS4plusIiEEEE10hipError_tPvRmT2_T3_mT4_P12ihipStream_tbEUlT_E_NS1_11comp_targetILNS1_3genE4ELNS1_11target_archE910ELNS1_3gpuE8ELNS1_3repE0EEENS1_30default_config_static_selectorELNS0_4arch9wavefront6targetE1EEEvT1_: ; @_ZN7rocprim17ROCPRIM_400000_NS6detail17trampoline_kernelINS0_14default_configENS1_35adjacent_difference_config_selectorILb0EiEEZNS1_24adjacent_difference_implIS3_Lb0ELb0EPKiPiN6thrust23THRUST_200600_302600_NS4plusIiEEEE10hipError_tPvRmT2_T3_mT4_P12ihipStream_tbEUlT_E_NS1_11comp_targetILNS1_3genE4ELNS1_11target_archE910ELNS1_3gpuE8ELNS1_3repE0EEENS1_30default_config_static_selectorELNS0_4arch9wavefront6targetE1EEEvT1_
; %bb.0:
	s_load_dwordx8 s[8:15], s[4:5], 0x0
	s_mov_b32 s2, 0x59999780
	s_movk_i32 s7, 0xa00
	s_load_dwordx2 s[0:1], s[4:5], 0x30
	s_mul_i32 s4, s6, 0xa00
	s_waitcnt lgkmcnt(0)
	s_lshl_b64 s[10:11], s[10:11], 2
	s_add_u32 s20, s8, s10
	s_addc_u32 s21, s9, s11
	s_add_u32 s2, 0xe0, s2
	s_addc_u32 s8, 0, 0
	v_add_co_u32_e64 v1, s[2:3], s2, 2.0
	s_cmp_lg_u64 s[2:3], 0
	s_addc_u32 s2, s8, 0x199999
	v_readfirstlane_b32 s8, v1
	s_mul_hi_u32 s9, s8, 0xfffff600
	s_mul_i32 s3, s2, 0xfffff600
	s_sub_i32 s9, s9, s8
	s_add_i32 s9, s9, s3
	s_mul_i32 s17, s8, 0xfffff600
	s_mul_hi_u32 s3, s8, s9
	s_mul_i32 s16, s8, s9
	s_mul_hi_u32 s8, s8, s17
	s_add_u32 s8, s8, s16
	s_addc_u32 s3, 0, s3
	s_mul_hi_u32 s18, s2, s17
	s_mul_i32 s17, s2, s17
	s_add_u32 s8, s8, s17
	s_mul_hi_u32 s16, s2, s9
	s_addc_u32 s3, s3, s18
	s_addc_u32 s8, s16, 0
	s_mul_i32 s9, s2, s9
	s_add_u32 s3, s3, s9
	s_addc_u32 s8, 0, s8
	v_add_co_u32_e32 v1, vcc, s3, v1
	s_cmp_lg_u64 vcc, 0
	s_addc_u32 s2, s2, s8
	v_readfirstlane_b32 s9, v1
	s_mul_i32 s8, s14, s2
	s_mul_hi_u32 s16, s14, s9
	s_mul_hi_u32 s3, s14, s2
	s_add_u32 s8, s16, s8
	s_addc_u32 s3, 0, s3
	s_mul_hi_u32 s17, s15, s9
	s_mul_i32 s9, s15, s9
	s_add_u32 s8, s8, s9
	s_mul_hi_u32 s16, s15, s2
	s_addc_u32 s3, s3, s17
	s_addc_u32 s8, s16, 0
	s_mul_i32 s2, s15, s2
	s_add_u32 s2, s3, s2
	s_addc_u32 s3, 0, s8
	s_add_u32 s8, s2, 1
	s_addc_u32 s9, s3, 0
	s_add_u32 s16, s2, 2
	s_mul_i32 s18, s3, 0xa00
	s_mul_hi_u32 s19, s2, 0xa00
	s_addc_u32 s17, s3, 0
	s_add_i32 s19, s19, s18
	s_mul_i32 s18, s2, 0xa00
	v_mov_b32_e32 v1, s18
	v_sub_co_u32_e32 v1, vcc, s14, v1
	s_cmp_lg_u64 vcc, 0
	s_subb_u32 s18, s15, s19
	v_subrev_co_u32_e32 v2, vcc, s7, v1
	s_cmp_lg_u64 vcc, 0
	s_subb_u32 s7, s18, 0
	v_readfirstlane_b32 s19, v2
	s_cmpk_gt_u32 s19, 0x9ff
	s_cselect_b32 s19, -1, 0
	s_cmp_eq_u32 s7, 0
	s_cselect_b32 s7, s19, -1
	s_cmp_lg_u32 s7, 0
	s_cselect_b32 s7, s16, s8
	s_cselect_b32 s8, s17, s9
	v_readfirstlane_b32 s9, v1
	s_cmpk_gt_u32 s9, 0x9ff
	s_cselect_b32 s9, -1, 0
	s_cmp_eq_u32 s18, 0
	s_cselect_b32 s9, s9, -1
	s_cmp_lg_u32 s9, 0
	s_cselect_b32 s8, s8, s3
	s_cselect_b32 s7, s7, s2
	s_mul_i32 s2, s8, 0xa00
	s_mul_hi_u32 s3, s7, 0xa00
	s_add_i32 s3, s3, s2
	s_mul_i32 s2, s7, 0xa00
	s_sub_u32 s2, s14, s2
	s_subb_u32 s3, s15, s3
	s_cmp_lg_u64 s[2:3], 0
	s_cselect_b64 s[2:3], -1, 0
	v_cndmask_b32_e64 v1, 0, 1, s[2:3]
	v_readfirstlane_b32 s2, v1
	s_add_u32 s2, s7, s2
	s_addc_u32 s3, s8, 0
	s_add_u32 s6, s0, s6
	s_addc_u32 s7, s1, 0
	s_add_u32 s8, s2, -1
	s_addc_u32 s9, s3, -1
	v_pk_mov_b32 v[2:3], s[8:9], s[8:9] op_sel:[0,1]
	v_cmp_ge_u64_e64 s[0:1], s[6:7], v[2:3]
	s_mov_b32 s5, 0
	s_mov_b64 s[16:17], -1
	s_and_b64 vcc, exec, s[0:1]
	s_mul_i32 s15, s8, 0xfffff600
	s_cbranch_vccz .LBB569_12
; %bb.1:
	s_add_i32 s22, s15, s14
	s_lshl_b64 s[16:17], s[4:5], 2
	s_add_u32 s16, s20, s16
	s_addc_u32 s17, s21, s17
	v_cmp_gt_u32_e32 vcc, s22, v0
                                        ; implicit-def: $vgpr2_vgpr3_vgpr4_vgpr5_vgpr6
	s_and_saveexec_b64 s[18:19], vcc
	s_cbranch_execz .LBB569_3
; %bb.2:
	v_lshlrev_b32_e32 v1, 2, v0
	global_load_dword v2, v1, s[16:17]
.LBB569_3:
	s_or_b64 exec, exec, s[18:19]
	v_or_b32_e32 v1, 0x200, v0
	v_cmp_gt_u32_e32 vcc, s22, v1
	s_and_saveexec_b64 s[18:19], vcc
	s_cbranch_execz .LBB569_5
; %bb.4:
	v_lshlrev_b32_e32 v1, 2, v0
	global_load_dword v3, v1, s[16:17] offset:2048
.LBB569_5:
	s_or_b64 exec, exec, s[18:19]
	v_or_b32_e32 v1, 0x400, v0
	v_cmp_gt_u32_e32 vcc, s22, v1
	s_and_saveexec_b64 s[18:19], vcc
	s_cbranch_execz .LBB569_7
; %bb.6:
	v_lshlrev_b32_e32 v1, 2, v1
	global_load_dword v4, v1, s[16:17]
.LBB569_7:
	s_or_b64 exec, exec, s[18:19]
	v_or_b32_e32 v1, 0x600, v0
	v_cmp_gt_u32_e32 vcc, s22, v1
	s_and_saveexec_b64 s[18:19], vcc
	s_cbranch_execz .LBB569_9
; %bb.8:
	v_lshlrev_b32_e32 v1, 2, v1
	global_load_dword v5, v1, s[16:17]
.LBB569_9:
	;; [unrolled: 9-line block ×3, first 2 shown]
	s_or_b64 exec, exec, s[18:19]
	v_lshlrev_b32_e32 v1, 2, v0
	s_mov_b64 s[16:17], 0
	s_waitcnt vmcnt(0)
	ds_write2st64_b32 v1, v2, v3 offset1:8
	ds_write2st64_b32 v1, v4, v5 offset0:16 offset1:24
	ds_write_b32 v1, v6 offset:8192
	s_waitcnt lgkmcnt(0)
	s_barrier
.LBB569_12:
	s_and_b64 vcc, exec, s[16:17]
	v_lshlrev_b32_e32 v1, 2, v0
	s_cbranch_vccz .LBB569_14
; %bb.13:
	s_lshl_b64 s[16:17], s[4:5], 2
	s_add_u32 s16, s20, s16
	s_addc_u32 s17, s21, s17
	v_mov_b32_e32 v2, s17
	v_add_co_u32_e32 v4, vcc, s16, v1
	v_addc_co_u32_e32 v5, vcc, 0, v2, vcc
	v_add_co_u32_e32 v2, vcc, 0x1000, v4
	v_addc_co_u32_e32 v3, vcc, 0, v5, vcc
	global_load_dword v6, v1, s[16:17]
	global_load_dword v7, v1, s[16:17] offset:2048
	global_load_dword v8, v[2:3], off
	global_load_dword v9, v[2:3], off offset:2048
	v_add_co_u32_e32 v2, vcc, 0x2000, v4
	v_addc_co_u32_e32 v3, vcc, 0, v5, vcc
	global_load_dword v2, v[2:3], off
	s_waitcnt vmcnt(3)
	ds_write2st64_b32 v1, v6, v7 offset1:8
	s_waitcnt vmcnt(1)
	ds_write2st64_b32 v1, v8, v9 offset0:16 offset1:24
	s_waitcnt vmcnt(0)
	ds_write_b32 v1, v2 offset:8192
	s_waitcnt lgkmcnt(0)
	s_barrier
.LBB569_14:
	v_mul_u32_u24_e32 v2, 5, v0
	v_lshlrev_b32_e32 v3, 2, v2
	ds_read_b32 v2, v3
	ds_read2_b32 v[20:21], v3 offset0:1 offset1:2
	ds_read2_b32 v[22:23], v3 offset0:3 offset1:4
	s_cmp_eq_u64 s[6:7], 0
	s_waitcnt lgkmcnt(0)
	s_barrier
	s_cbranch_scc1 .LBB569_19
; %bb.15:
	s_lshl_b64 s[16:17], s[4:5], 2
	s_add_u32 s5, s20, s16
	s_addc_u32 s17, s21, s17
	s_add_u32 s16, s5, -4
	s_addc_u32 s17, s17, -1
	s_load_dword s5, s[16:17], 0x0
	s_cmp_eq_u64 s[6:7], s[8:9]
	s_cbranch_scc1 .LBB569_20
; %bb.16:
	v_cmp_ne_u32_e32 vcc, 0, v0
	s_waitcnt lgkmcnt(0)
	v_mov_b32_e32 v3, s5
	ds_write_b32 v1, v23
	s_waitcnt lgkmcnt(0)
	s_barrier
	s_and_saveexec_b64 s[8:9], vcc
	s_cbranch_execz .LBB569_18
; %bb.17:
	v_add_u32_e32 v3, -4, v1
	ds_read_b32 v3, v3
.LBB569_18:
	s_or_b64 exec, exec, s[8:9]
	v_add_u32_e32 v8, v23, v22
	v_add_u32_e32 v9, v22, v21
	;; [unrolled: 1-line block ×4, first 2 shown]
	s_cbranch_execz .LBB569_21
	s_branch .LBB569_24
.LBB569_19:
                                        ; implicit-def: $vgpr14_vgpr15_vgpr16_vgpr17_vgpr18
                                        ; implicit-def: $vgpr10_vgpr11_vgpr12_vgpr13_vgpr14
	s_mov_b64 s[6:7], 0
                                        ; implicit-def: $vgpr6_vgpr7_vgpr8_vgpr9_vgpr10
                                        ; implicit-def: $vgpr3
                                        ; implicit-def: $vgpr4_vgpr5_vgpr6_vgpr7_vgpr8
	s_branch .LBB569_25
.LBB569_20:
                                        ; implicit-def: $vgpr14_vgpr15_vgpr16_vgpr17_vgpr18
                                        ; implicit-def: $vgpr10_vgpr11_vgpr12_vgpr13_vgpr14
                                        ; implicit-def: $vgpr3
                                        ; implicit-def: $vgpr6_vgpr7_vgpr8_vgpr9_vgpr10
                                        ; implicit-def: $vgpr4_vgpr5_vgpr6_vgpr7_vgpr8
.LBB569_21:
	s_waitcnt lgkmcnt(0)
	v_mul_u32_u24_e32 v3, 5, v0
	v_cmp_ne_u32_e32 vcc, 0, v0
	v_mov_b32_e32 v4, s5
	ds_write_b32 v1, v23
	s_waitcnt lgkmcnt(0)
	s_barrier
	s_and_saveexec_b64 s[8:9], vcc
	s_cbranch_execz .LBB569_23
; %bb.22:
	v_add_u32_e32 v4, -4, v1
	ds_read_b32 v4, v4
.LBB569_23:
	s_or_b64 exec, exec, s[8:9]
	s_mul_i32 s5, s6, 0xfffff600
	s_add_i32 s5, s5, s14
	v_add_u32_e32 v5, 4, v3
	v_add_u32_e32 v6, v23, v22
	v_cmp_gt_u32_e32 vcc, s5, v5
	v_add_u32_e32 v5, 3, v3
	v_cndmask_b32_e32 v8, v23, v6, vcc
	v_add_u32_e32 v6, v22, v21
	v_cmp_gt_u32_e32 vcc, s5, v5
	v_add_u32_e32 v5, 2, v3
	v_cndmask_b32_e32 v9, v22, v6, vcc
	v_add_u32_e32 v6, v21, v20
	v_cmp_gt_u32_e32 vcc, s5, v5
	v_add_u32_e32 v5, 1, v3
	v_cndmask_b32_e32 v12, v21, v6, vcc
	v_add_u32_e32 v6, v20, v2
	v_cmp_gt_u32_e32 vcc, s5, v5
	v_cndmask_b32_e32 v15, v20, v6, vcc
	v_cmp_gt_u32_e32 vcc, s5, v3
	s_waitcnt lgkmcnt(0)
	v_cndmask_b32_e32 v3, 0, v4, vcc
.LBB569_24:
	s_mov_b64 s[6:7], -1
	s_cbranch_execnz .LBB569_33
.LBB569_25:
	s_cmp_lg_u64 s[2:3], 1
	v_add_u32_e32 v9, v22, v21
	v_add_u32_e32 v8, v23, v22
	;; [unrolled: 1-line block ×4, first 2 shown]
	v_cmp_ne_u32_e32 vcc, 0, v0
	s_cbranch_scc0 .LBB569_29
; %bb.26:
	ds_write_b32 v1, v23
	s_waitcnt lgkmcnt(0)
	s_barrier
	s_waitcnt lgkmcnt(0)
                                        ; implicit-def: $vgpr3
	s_and_saveexec_b64 s[2:3], vcc
	s_cbranch_execz .LBB569_28
; %bb.27:
	v_add_u32_e32 v3, -4, v1
	ds_read_b32 v3, v3
	s_or_b64 s[6:7], s[6:7], exec
.LBB569_28:
	s_or_b64 exec, exec, s[2:3]
	s_branch .LBB569_33
.LBB569_29:
                                        ; implicit-def: $vgpr3
	s_cbranch_execz .LBB569_33
; %bb.30:
	v_mad_u32_u24 v4, v0, 5, 4
	v_cmp_gt_u32_e32 vcc, s14, v4
	v_mad_u32_u24 v4, v0, 5, 3
	v_cndmask_b32_e32 v8, v23, v8, vcc
	v_cmp_gt_u32_e32 vcc, s14, v4
	v_mad_u32_u24 v4, v0, 5, 2
	v_cndmask_b32_e32 v9, v22, v9, vcc
	v_cmp_gt_u32_e32 vcc, s14, v4
	v_mad_u32_u24 v4, v0, 5, 1
	s_waitcnt lgkmcnt(0)
	v_mul_u32_u24_e32 v3, 5, v0
	v_cndmask_b32_e32 v12, v21, v12, vcc
	v_cmp_gt_u32_e32 vcc, s14, v4
	v_cndmask_b32_e32 v15, v20, v15, vcc
	v_cmp_ne_u32_e32 vcc, 0, v0
	v_cmp_gt_u32_e64 s[2:3], s14, v3
	s_and_b64 s[8:9], vcc, s[2:3]
	ds_write_b32 v1, v23
	s_waitcnt lgkmcnt(0)
	s_barrier
	s_waitcnt lgkmcnt(0)
                                        ; implicit-def: $vgpr3
	s_and_saveexec_b64 s[2:3], s[8:9]
	s_cbranch_execz .LBB569_32
; %bb.31:
	v_add_u32_e32 v3, -4, v1
	ds_read_b32 v3, v3
	s_or_b64 s[6:7], s[6:7], exec
.LBB569_32:
	s_or_b64 exec, exec, s[2:3]
.LBB569_33:
	s_and_saveexec_b64 s[2:3], s[6:7]
	s_cbranch_execz .LBB569_35
; %bb.34:
	s_waitcnt lgkmcnt(0)
	v_add_u32_e32 v2, v3, v2
.LBB569_35:
	s_or_b64 exec, exec, s[2:3]
	s_add_u32 s6, s12, s10
	s_addc_u32 s7, s13, s11
	s_and_b64 vcc, exec, s[0:1]
	s_waitcnt lgkmcnt(0)
	v_mul_u32_u24_e32 v3, 20, v0
	v_lshlrev_b32_e32 v13, 4, v0
	s_barrier
	s_cbranch_vccz .LBB569_45
; %bb.36:
	s_mov_b32 s5, 0
	s_add_i32 s15, s15, s14
	s_lshl_b64 s[0:1], s[4:5], 2
	v_sub_u32_e32 v4, v3, v13
	s_add_u32 s0, s6, s0
	ds_write2_b32 v3, v2, v15 offset1:1
	ds_write2_b32 v3, v12, v9 offset0:2 offset1:3
	ds_write_b32 v3, v8 offset:16
	s_waitcnt lgkmcnt(0)
	s_barrier
	ds_read2st64_b32 v[10:11], v4 offset0:8 offset1:16
	ds_read2st64_b32 v[4:5], v4 offset0:24 offset1:32
	s_addc_u32 s1, s7, s1
	v_mov_b32_e32 v7, s1
	v_add_co_u32_e32 v6, vcc, s0, v1
	v_addc_co_u32_e32 v7, vcc, 0, v7, vcc
	v_cmp_gt_u32_e32 vcc, s15, v0
	s_and_saveexec_b64 s[0:1], vcc
	s_cbranch_execz .LBB569_38
; %bb.37:
	v_sub_u32_e32 v14, 0, v13
	v_add_u32_e32 v14, v3, v14
	ds_read_b32 v14, v14
	s_waitcnt lgkmcnt(0)
	global_store_dword v[6:7], v14, off
.LBB569_38:
	s_or_b64 exec, exec, s[0:1]
	v_or_b32_e32 v14, 0x200, v0
	v_cmp_gt_u32_e32 vcc, s15, v14
	s_and_saveexec_b64 s[0:1], vcc
	s_cbranch_execz .LBB569_40
; %bb.39:
	s_waitcnt lgkmcnt(1)
	global_store_dword v[6:7], v10, off offset:2048
.LBB569_40:
	s_or_b64 exec, exec, s[0:1]
	s_waitcnt lgkmcnt(1)
	v_or_b32_e32 v10, 0x400, v0
	v_cmp_gt_u32_e32 vcc, s15, v10
	s_and_saveexec_b64 s[0:1], vcc
	s_cbranch_execz .LBB569_42
; %bb.41:
	v_add_co_u32_e32 v16, vcc, 0x1000, v6
	v_addc_co_u32_e32 v17, vcc, 0, v7, vcc
	global_store_dword v[16:17], v11, off
.LBB569_42:
	s_or_b64 exec, exec, s[0:1]
	v_or_b32_e32 v10, 0x600, v0
	v_cmp_gt_u32_e32 vcc, s15, v10
	s_and_saveexec_b64 s[0:1], vcc
	s_cbranch_execz .LBB569_44
; %bb.43:
	v_add_co_u32_e32 v10, vcc, 0x1000, v6
	v_addc_co_u32_e32 v11, vcc, 0, v7, vcc
	s_waitcnt lgkmcnt(0)
	global_store_dword v[10:11], v4, off offset:2048
.LBB569_44:
	s_or_b64 exec, exec, s[0:1]
	v_or_b32_e32 v0, 0x800, v0
	v_cmp_gt_u32_e64 s[0:1], s15, v0
	s_branch .LBB569_47
.LBB569_45:
	s_mov_b64 s[0:1], 0
                                        ; implicit-def: $vgpr5
                                        ; implicit-def: $vgpr6_vgpr7
	s_cbranch_execz .LBB569_47
; %bb.46:
	s_mov_b32 s5, 0
	s_lshl_b64 s[2:3], s[4:5], 2
	s_add_u32 s2, s6, s2
	s_addc_u32 s3, s7, s3
	v_sub_u32_e32 v0, v3, v13
	ds_write2_b32 v3, v2, v15 offset1:1
	ds_write2_b32 v3, v12, v9 offset0:2 offset1:3
	ds_write_b32 v3, v8 offset:16
	s_waitcnt lgkmcnt(0)
	s_barrier
	ds_read2st64_b32 v[2:3], v0 offset1:8
	ds_read2st64_b32 v[8:9], v0 offset0:16 offset1:24
	ds_read_b32 v5, v0 offset:8192
	v_mov_b32_e32 v0, s3
	v_add_co_u32_e32 v6, vcc, s2, v1
	v_addc_co_u32_e32 v7, vcc, 0, v0, vcc
	v_add_co_u32_e32 v0, vcc, 0x1000, v6
	s_waitcnt lgkmcnt(2)
	global_store_dword v1, v2, s[2:3]
	global_store_dword v1, v3, s[2:3] offset:2048
	v_addc_co_u32_e32 v1, vcc, 0, v7, vcc
	s_or_b64 s[0:1], s[0:1], exec
	s_waitcnt lgkmcnt(1)
	global_store_dword v[0:1], v8, off
	global_store_dword v[0:1], v9, off offset:2048
.LBB569_47:
	s_and_saveexec_b64 s[2:3], s[0:1]
	s_cbranch_execnz .LBB569_49
; %bb.48:
	s_endpgm
.LBB569_49:
	v_add_co_u32_e32 v0, vcc, 0x2000, v6
	v_addc_co_u32_e32 v1, vcc, 0, v7, vcc
	s_waitcnt lgkmcnt(0)
	global_store_dword v[0:1], v5, off
	s_endpgm
	.section	.rodata,"a",@progbits
	.p2align	6, 0x0
	.amdhsa_kernel _ZN7rocprim17ROCPRIM_400000_NS6detail17trampoline_kernelINS0_14default_configENS1_35adjacent_difference_config_selectorILb0EiEEZNS1_24adjacent_difference_implIS3_Lb0ELb0EPKiPiN6thrust23THRUST_200600_302600_NS4plusIiEEEE10hipError_tPvRmT2_T3_mT4_P12ihipStream_tbEUlT_E_NS1_11comp_targetILNS1_3genE4ELNS1_11target_archE910ELNS1_3gpuE8ELNS1_3repE0EEENS1_30default_config_static_selectorELNS0_4arch9wavefront6targetE1EEEvT1_
		.amdhsa_group_segment_fixed_size 10240
		.amdhsa_private_segment_fixed_size 0
		.amdhsa_kernarg_size 56
		.amdhsa_user_sgpr_count 6
		.amdhsa_user_sgpr_private_segment_buffer 1
		.amdhsa_user_sgpr_dispatch_ptr 0
		.amdhsa_user_sgpr_queue_ptr 0
		.amdhsa_user_sgpr_kernarg_segment_ptr 1
		.amdhsa_user_sgpr_dispatch_id 0
		.amdhsa_user_sgpr_flat_scratch_init 0
		.amdhsa_user_sgpr_kernarg_preload_length 0
		.amdhsa_user_sgpr_kernarg_preload_offset 0
		.amdhsa_user_sgpr_private_segment_size 0
		.amdhsa_uses_dynamic_stack 0
		.amdhsa_system_sgpr_private_segment_wavefront_offset 0
		.amdhsa_system_sgpr_workgroup_id_x 1
		.amdhsa_system_sgpr_workgroup_id_y 0
		.amdhsa_system_sgpr_workgroup_id_z 0
		.amdhsa_system_sgpr_workgroup_info 0
		.amdhsa_system_vgpr_workitem_id 0
		.amdhsa_next_free_vgpr 24
		.amdhsa_next_free_sgpr 23
		.amdhsa_accum_offset 24
		.amdhsa_reserve_vcc 1
		.amdhsa_reserve_flat_scratch 0
		.amdhsa_float_round_mode_32 0
		.amdhsa_float_round_mode_16_64 0
		.amdhsa_float_denorm_mode_32 3
		.amdhsa_float_denorm_mode_16_64 3
		.amdhsa_dx10_clamp 1
		.amdhsa_ieee_mode 1
		.amdhsa_fp16_overflow 0
		.amdhsa_tg_split 0
		.amdhsa_exception_fp_ieee_invalid_op 0
		.amdhsa_exception_fp_denorm_src 0
		.amdhsa_exception_fp_ieee_div_zero 0
		.amdhsa_exception_fp_ieee_overflow 0
		.amdhsa_exception_fp_ieee_underflow 0
		.amdhsa_exception_fp_ieee_inexact 0
		.amdhsa_exception_int_div_zero 0
	.end_amdhsa_kernel
	.section	.text._ZN7rocprim17ROCPRIM_400000_NS6detail17trampoline_kernelINS0_14default_configENS1_35adjacent_difference_config_selectorILb0EiEEZNS1_24adjacent_difference_implIS3_Lb0ELb0EPKiPiN6thrust23THRUST_200600_302600_NS4plusIiEEEE10hipError_tPvRmT2_T3_mT4_P12ihipStream_tbEUlT_E_NS1_11comp_targetILNS1_3genE4ELNS1_11target_archE910ELNS1_3gpuE8ELNS1_3repE0EEENS1_30default_config_static_selectorELNS0_4arch9wavefront6targetE1EEEvT1_,"axG",@progbits,_ZN7rocprim17ROCPRIM_400000_NS6detail17trampoline_kernelINS0_14default_configENS1_35adjacent_difference_config_selectorILb0EiEEZNS1_24adjacent_difference_implIS3_Lb0ELb0EPKiPiN6thrust23THRUST_200600_302600_NS4plusIiEEEE10hipError_tPvRmT2_T3_mT4_P12ihipStream_tbEUlT_E_NS1_11comp_targetILNS1_3genE4ELNS1_11target_archE910ELNS1_3gpuE8ELNS1_3repE0EEENS1_30default_config_static_selectorELNS0_4arch9wavefront6targetE1EEEvT1_,comdat
.Lfunc_end569:
	.size	_ZN7rocprim17ROCPRIM_400000_NS6detail17trampoline_kernelINS0_14default_configENS1_35adjacent_difference_config_selectorILb0EiEEZNS1_24adjacent_difference_implIS3_Lb0ELb0EPKiPiN6thrust23THRUST_200600_302600_NS4plusIiEEEE10hipError_tPvRmT2_T3_mT4_P12ihipStream_tbEUlT_E_NS1_11comp_targetILNS1_3genE4ELNS1_11target_archE910ELNS1_3gpuE8ELNS1_3repE0EEENS1_30default_config_static_selectorELNS0_4arch9wavefront6targetE1EEEvT1_, .Lfunc_end569-_ZN7rocprim17ROCPRIM_400000_NS6detail17trampoline_kernelINS0_14default_configENS1_35adjacent_difference_config_selectorILb0EiEEZNS1_24adjacent_difference_implIS3_Lb0ELb0EPKiPiN6thrust23THRUST_200600_302600_NS4plusIiEEEE10hipError_tPvRmT2_T3_mT4_P12ihipStream_tbEUlT_E_NS1_11comp_targetILNS1_3genE4ELNS1_11target_archE910ELNS1_3gpuE8ELNS1_3repE0EEENS1_30default_config_static_selectorELNS0_4arch9wavefront6targetE1EEEvT1_
                                        ; -- End function
	.section	.AMDGPU.csdata,"",@progbits
; Kernel info:
; codeLenInByte = 1944
; NumSgprs: 27
; NumVgprs: 24
; NumAgprs: 0
; TotalNumVgprs: 24
; ScratchSize: 0
; MemoryBound: 0
; FloatMode: 240
; IeeeMode: 1
; LDSByteSize: 10240 bytes/workgroup (compile time only)
; SGPRBlocks: 3
; VGPRBlocks: 2
; NumSGPRsForWavesPerEU: 27
; NumVGPRsForWavesPerEU: 24
; AccumOffset: 24
; Occupancy: 8
; WaveLimiterHint : 1
; COMPUTE_PGM_RSRC2:SCRATCH_EN: 0
; COMPUTE_PGM_RSRC2:USER_SGPR: 6
; COMPUTE_PGM_RSRC2:TRAP_HANDLER: 0
; COMPUTE_PGM_RSRC2:TGID_X_EN: 1
; COMPUTE_PGM_RSRC2:TGID_Y_EN: 0
; COMPUTE_PGM_RSRC2:TGID_Z_EN: 0
; COMPUTE_PGM_RSRC2:TIDIG_COMP_CNT: 0
; COMPUTE_PGM_RSRC3_GFX90A:ACCUM_OFFSET: 5
; COMPUTE_PGM_RSRC3_GFX90A:TG_SPLIT: 0
	.section	.text._ZN7rocprim17ROCPRIM_400000_NS6detail17trampoline_kernelINS0_14default_configENS1_35adjacent_difference_config_selectorILb0EiEEZNS1_24adjacent_difference_implIS3_Lb0ELb0EPKiPiN6thrust23THRUST_200600_302600_NS4plusIiEEEE10hipError_tPvRmT2_T3_mT4_P12ihipStream_tbEUlT_E_NS1_11comp_targetILNS1_3genE3ELNS1_11target_archE908ELNS1_3gpuE7ELNS1_3repE0EEENS1_30default_config_static_selectorELNS0_4arch9wavefront6targetE1EEEvT1_,"axG",@progbits,_ZN7rocprim17ROCPRIM_400000_NS6detail17trampoline_kernelINS0_14default_configENS1_35adjacent_difference_config_selectorILb0EiEEZNS1_24adjacent_difference_implIS3_Lb0ELb0EPKiPiN6thrust23THRUST_200600_302600_NS4plusIiEEEE10hipError_tPvRmT2_T3_mT4_P12ihipStream_tbEUlT_E_NS1_11comp_targetILNS1_3genE3ELNS1_11target_archE908ELNS1_3gpuE7ELNS1_3repE0EEENS1_30default_config_static_selectorELNS0_4arch9wavefront6targetE1EEEvT1_,comdat
	.protected	_ZN7rocprim17ROCPRIM_400000_NS6detail17trampoline_kernelINS0_14default_configENS1_35adjacent_difference_config_selectorILb0EiEEZNS1_24adjacent_difference_implIS3_Lb0ELb0EPKiPiN6thrust23THRUST_200600_302600_NS4plusIiEEEE10hipError_tPvRmT2_T3_mT4_P12ihipStream_tbEUlT_E_NS1_11comp_targetILNS1_3genE3ELNS1_11target_archE908ELNS1_3gpuE7ELNS1_3repE0EEENS1_30default_config_static_selectorELNS0_4arch9wavefront6targetE1EEEvT1_ ; -- Begin function _ZN7rocprim17ROCPRIM_400000_NS6detail17trampoline_kernelINS0_14default_configENS1_35adjacent_difference_config_selectorILb0EiEEZNS1_24adjacent_difference_implIS3_Lb0ELb0EPKiPiN6thrust23THRUST_200600_302600_NS4plusIiEEEE10hipError_tPvRmT2_T3_mT4_P12ihipStream_tbEUlT_E_NS1_11comp_targetILNS1_3genE3ELNS1_11target_archE908ELNS1_3gpuE7ELNS1_3repE0EEENS1_30default_config_static_selectorELNS0_4arch9wavefront6targetE1EEEvT1_
	.globl	_ZN7rocprim17ROCPRIM_400000_NS6detail17trampoline_kernelINS0_14default_configENS1_35adjacent_difference_config_selectorILb0EiEEZNS1_24adjacent_difference_implIS3_Lb0ELb0EPKiPiN6thrust23THRUST_200600_302600_NS4plusIiEEEE10hipError_tPvRmT2_T3_mT4_P12ihipStream_tbEUlT_E_NS1_11comp_targetILNS1_3genE3ELNS1_11target_archE908ELNS1_3gpuE7ELNS1_3repE0EEENS1_30default_config_static_selectorELNS0_4arch9wavefront6targetE1EEEvT1_
	.p2align	8
	.type	_ZN7rocprim17ROCPRIM_400000_NS6detail17trampoline_kernelINS0_14default_configENS1_35adjacent_difference_config_selectorILb0EiEEZNS1_24adjacent_difference_implIS3_Lb0ELb0EPKiPiN6thrust23THRUST_200600_302600_NS4plusIiEEEE10hipError_tPvRmT2_T3_mT4_P12ihipStream_tbEUlT_E_NS1_11comp_targetILNS1_3genE3ELNS1_11target_archE908ELNS1_3gpuE7ELNS1_3repE0EEENS1_30default_config_static_selectorELNS0_4arch9wavefront6targetE1EEEvT1_,@function
_ZN7rocprim17ROCPRIM_400000_NS6detail17trampoline_kernelINS0_14default_configENS1_35adjacent_difference_config_selectorILb0EiEEZNS1_24adjacent_difference_implIS3_Lb0ELb0EPKiPiN6thrust23THRUST_200600_302600_NS4plusIiEEEE10hipError_tPvRmT2_T3_mT4_P12ihipStream_tbEUlT_E_NS1_11comp_targetILNS1_3genE3ELNS1_11target_archE908ELNS1_3gpuE7ELNS1_3repE0EEENS1_30default_config_static_selectorELNS0_4arch9wavefront6targetE1EEEvT1_: ; @_ZN7rocprim17ROCPRIM_400000_NS6detail17trampoline_kernelINS0_14default_configENS1_35adjacent_difference_config_selectorILb0EiEEZNS1_24adjacent_difference_implIS3_Lb0ELb0EPKiPiN6thrust23THRUST_200600_302600_NS4plusIiEEEE10hipError_tPvRmT2_T3_mT4_P12ihipStream_tbEUlT_E_NS1_11comp_targetILNS1_3genE3ELNS1_11target_archE908ELNS1_3gpuE7ELNS1_3repE0EEENS1_30default_config_static_selectorELNS0_4arch9wavefront6targetE1EEEvT1_
; %bb.0:
	.section	.rodata,"a",@progbits
	.p2align	6, 0x0
	.amdhsa_kernel _ZN7rocprim17ROCPRIM_400000_NS6detail17trampoline_kernelINS0_14default_configENS1_35adjacent_difference_config_selectorILb0EiEEZNS1_24adjacent_difference_implIS3_Lb0ELb0EPKiPiN6thrust23THRUST_200600_302600_NS4plusIiEEEE10hipError_tPvRmT2_T3_mT4_P12ihipStream_tbEUlT_E_NS1_11comp_targetILNS1_3genE3ELNS1_11target_archE908ELNS1_3gpuE7ELNS1_3repE0EEENS1_30default_config_static_selectorELNS0_4arch9wavefront6targetE1EEEvT1_
		.amdhsa_group_segment_fixed_size 0
		.amdhsa_private_segment_fixed_size 0
		.amdhsa_kernarg_size 56
		.amdhsa_user_sgpr_count 6
		.amdhsa_user_sgpr_private_segment_buffer 1
		.amdhsa_user_sgpr_dispatch_ptr 0
		.amdhsa_user_sgpr_queue_ptr 0
		.amdhsa_user_sgpr_kernarg_segment_ptr 1
		.amdhsa_user_sgpr_dispatch_id 0
		.amdhsa_user_sgpr_flat_scratch_init 0
		.amdhsa_user_sgpr_kernarg_preload_length 0
		.amdhsa_user_sgpr_kernarg_preload_offset 0
		.amdhsa_user_sgpr_private_segment_size 0
		.amdhsa_uses_dynamic_stack 0
		.amdhsa_system_sgpr_private_segment_wavefront_offset 0
		.amdhsa_system_sgpr_workgroup_id_x 1
		.amdhsa_system_sgpr_workgroup_id_y 0
		.amdhsa_system_sgpr_workgroup_id_z 0
		.amdhsa_system_sgpr_workgroup_info 0
		.amdhsa_system_vgpr_workitem_id 0
		.amdhsa_next_free_vgpr 1
		.amdhsa_next_free_sgpr 0
		.amdhsa_accum_offset 4
		.amdhsa_reserve_vcc 0
		.amdhsa_reserve_flat_scratch 0
		.amdhsa_float_round_mode_32 0
		.amdhsa_float_round_mode_16_64 0
		.amdhsa_float_denorm_mode_32 3
		.amdhsa_float_denorm_mode_16_64 3
		.amdhsa_dx10_clamp 1
		.amdhsa_ieee_mode 1
		.amdhsa_fp16_overflow 0
		.amdhsa_tg_split 0
		.amdhsa_exception_fp_ieee_invalid_op 0
		.amdhsa_exception_fp_denorm_src 0
		.amdhsa_exception_fp_ieee_div_zero 0
		.amdhsa_exception_fp_ieee_overflow 0
		.amdhsa_exception_fp_ieee_underflow 0
		.amdhsa_exception_fp_ieee_inexact 0
		.amdhsa_exception_int_div_zero 0
	.end_amdhsa_kernel
	.section	.text._ZN7rocprim17ROCPRIM_400000_NS6detail17trampoline_kernelINS0_14default_configENS1_35adjacent_difference_config_selectorILb0EiEEZNS1_24adjacent_difference_implIS3_Lb0ELb0EPKiPiN6thrust23THRUST_200600_302600_NS4plusIiEEEE10hipError_tPvRmT2_T3_mT4_P12ihipStream_tbEUlT_E_NS1_11comp_targetILNS1_3genE3ELNS1_11target_archE908ELNS1_3gpuE7ELNS1_3repE0EEENS1_30default_config_static_selectorELNS0_4arch9wavefront6targetE1EEEvT1_,"axG",@progbits,_ZN7rocprim17ROCPRIM_400000_NS6detail17trampoline_kernelINS0_14default_configENS1_35adjacent_difference_config_selectorILb0EiEEZNS1_24adjacent_difference_implIS3_Lb0ELb0EPKiPiN6thrust23THRUST_200600_302600_NS4plusIiEEEE10hipError_tPvRmT2_T3_mT4_P12ihipStream_tbEUlT_E_NS1_11comp_targetILNS1_3genE3ELNS1_11target_archE908ELNS1_3gpuE7ELNS1_3repE0EEENS1_30default_config_static_selectorELNS0_4arch9wavefront6targetE1EEEvT1_,comdat
.Lfunc_end570:
	.size	_ZN7rocprim17ROCPRIM_400000_NS6detail17trampoline_kernelINS0_14default_configENS1_35adjacent_difference_config_selectorILb0EiEEZNS1_24adjacent_difference_implIS3_Lb0ELb0EPKiPiN6thrust23THRUST_200600_302600_NS4plusIiEEEE10hipError_tPvRmT2_T3_mT4_P12ihipStream_tbEUlT_E_NS1_11comp_targetILNS1_3genE3ELNS1_11target_archE908ELNS1_3gpuE7ELNS1_3repE0EEENS1_30default_config_static_selectorELNS0_4arch9wavefront6targetE1EEEvT1_, .Lfunc_end570-_ZN7rocprim17ROCPRIM_400000_NS6detail17trampoline_kernelINS0_14default_configENS1_35adjacent_difference_config_selectorILb0EiEEZNS1_24adjacent_difference_implIS3_Lb0ELb0EPKiPiN6thrust23THRUST_200600_302600_NS4plusIiEEEE10hipError_tPvRmT2_T3_mT4_P12ihipStream_tbEUlT_E_NS1_11comp_targetILNS1_3genE3ELNS1_11target_archE908ELNS1_3gpuE7ELNS1_3repE0EEENS1_30default_config_static_selectorELNS0_4arch9wavefront6targetE1EEEvT1_
                                        ; -- End function
	.section	.AMDGPU.csdata,"",@progbits
; Kernel info:
; codeLenInByte = 0
; NumSgprs: 4
; NumVgprs: 0
; NumAgprs: 0
; TotalNumVgprs: 0
; ScratchSize: 0
; MemoryBound: 0
; FloatMode: 240
; IeeeMode: 1
; LDSByteSize: 0 bytes/workgroup (compile time only)
; SGPRBlocks: 0
; VGPRBlocks: 0
; NumSGPRsForWavesPerEU: 4
; NumVGPRsForWavesPerEU: 1
; AccumOffset: 4
; Occupancy: 8
; WaveLimiterHint : 0
; COMPUTE_PGM_RSRC2:SCRATCH_EN: 0
; COMPUTE_PGM_RSRC2:USER_SGPR: 6
; COMPUTE_PGM_RSRC2:TRAP_HANDLER: 0
; COMPUTE_PGM_RSRC2:TGID_X_EN: 1
; COMPUTE_PGM_RSRC2:TGID_Y_EN: 0
; COMPUTE_PGM_RSRC2:TGID_Z_EN: 0
; COMPUTE_PGM_RSRC2:TIDIG_COMP_CNT: 0
; COMPUTE_PGM_RSRC3_GFX90A:ACCUM_OFFSET: 0
; COMPUTE_PGM_RSRC3_GFX90A:TG_SPLIT: 0
	.section	.text._ZN7rocprim17ROCPRIM_400000_NS6detail17trampoline_kernelINS0_14default_configENS1_35adjacent_difference_config_selectorILb0EiEEZNS1_24adjacent_difference_implIS3_Lb0ELb0EPKiPiN6thrust23THRUST_200600_302600_NS4plusIiEEEE10hipError_tPvRmT2_T3_mT4_P12ihipStream_tbEUlT_E_NS1_11comp_targetILNS1_3genE2ELNS1_11target_archE906ELNS1_3gpuE6ELNS1_3repE0EEENS1_30default_config_static_selectorELNS0_4arch9wavefront6targetE1EEEvT1_,"axG",@progbits,_ZN7rocprim17ROCPRIM_400000_NS6detail17trampoline_kernelINS0_14default_configENS1_35adjacent_difference_config_selectorILb0EiEEZNS1_24adjacent_difference_implIS3_Lb0ELb0EPKiPiN6thrust23THRUST_200600_302600_NS4plusIiEEEE10hipError_tPvRmT2_T3_mT4_P12ihipStream_tbEUlT_E_NS1_11comp_targetILNS1_3genE2ELNS1_11target_archE906ELNS1_3gpuE6ELNS1_3repE0EEENS1_30default_config_static_selectorELNS0_4arch9wavefront6targetE1EEEvT1_,comdat
	.protected	_ZN7rocprim17ROCPRIM_400000_NS6detail17trampoline_kernelINS0_14default_configENS1_35adjacent_difference_config_selectorILb0EiEEZNS1_24adjacent_difference_implIS3_Lb0ELb0EPKiPiN6thrust23THRUST_200600_302600_NS4plusIiEEEE10hipError_tPvRmT2_T3_mT4_P12ihipStream_tbEUlT_E_NS1_11comp_targetILNS1_3genE2ELNS1_11target_archE906ELNS1_3gpuE6ELNS1_3repE0EEENS1_30default_config_static_selectorELNS0_4arch9wavefront6targetE1EEEvT1_ ; -- Begin function _ZN7rocprim17ROCPRIM_400000_NS6detail17trampoline_kernelINS0_14default_configENS1_35adjacent_difference_config_selectorILb0EiEEZNS1_24adjacent_difference_implIS3_Lb0ELb0EPKiPiN6thrust23THRUST_200600_302600_NS4plusIiEEEE10hipError_tPvRmT2_T3_mT4_P12ihipStream_tbEUlT_E_NS1_11comp_targetILNS1_3genE2ELNS1_11target_archE906ELNS1_3gpuE6ELNS1_3repE0EEENS1_30default_config_static_selectorELNS0_4arch9wavefront6targetE1EEEvT1_
	.globl	_ZN7rocprim17ROCPRIM_400000_NS6detail17trampoline_kernelINS0_14default_configENS1_35adjacent_difference_config_selectorILb0EiEEZNS1_24adjacent_difference_implIS3_Lb0ELb0EPKiPiN6thrust23THRUST_200600_302600_NS4plusIiEEEE10hipError_tPvRmT2_T3_mT4_P12ihipStream_tbEUlT_E_NS1_11comp_targetILNS1_3genE2ELNS1_11target_archE906ELNS1_3gpuE6ELNS1_3repE0EEENS1_30default_config_static_selectorELNS0_4arch9wavefront6targetE1EEEvT1_
	.p2align	8
	.type	_ZN7rocprim17ROCPRIM_400000_NS6detail17trampoline_kernelINS0_14default_configENS1_35adjacent_difference_config_selectorILb0EiEEZNS1_24adjacent_difference_implIS3_Lb0ELb0EPKiPiN6thrust23THRUST_200600_302600_NS4plusIiEEEE10hipError_tPvRmT2_T3_mT4_P12ihipStream_tbEUlT_E_NS1_11comp_targetILNS1_3genE2ELNS1_11target_archE906ELNS1_3gpuE6ELNS1_3repE0EEENS1_30default_config_static_selectorELNS0_4arch9wavefront6targetE1EEEvT1_,@function
_ZN7rocprim17ROCPRIM_400000_NS6detail17trampoline_kernelINS0_14default_configENS1_35adjacent_difference_config_selectorILb0EiEEZNS1_24adjacent_difference_implIS3_Lb0ELb0EPKiPiN6thrust23THRUST_200600_302600_NS4plusIiEEEE10hipError_tPvRmT2_T3_mT4_P12ihipStream_tbEUlT_E_NS1_11comp_targetILNS1_3genE2ELNS1_11target_archE906ELNS1_3gpuE6ELNS1_3repE0EEENS1_30default_config_static_selectorELNS0_4arch9wavefront6targetE1EEEvT1_: ; @_ZN7rocprim17ROCPRIM_400000_NS6detail17trampoline_kernelINS0_14default_configENS1_35adjacent_difference_config_selectorILb0EiEEZNS1_24adjacent_difference_implIS3_Lb0ELb0EPKiPiN6thrust23THRUST_200600_302600_NS4plusIiEEEE10hipError_tPvRmT2_T3_mT4_P12ihipStream_tbEUlT_E_NS1_11comp_targetILNS1_3genE2ELNS1_11target_archE906ELNS1_3gpuE6ELNS1_3repE0EEENS1_30default_config_static_selectorELNS0_4arch9wavefront6targetE1EEEvT1_
; %bb.0:
	.section	.rodata,"a",@progbits
	.p2align	6, 0x0
	.amdhsa_kernel _ZN7rocprim17ROCPRIM_400000_NS6detail17trampoline_kernelINS0_14default_configENS1_35adjacent_difference_config_selectorILb0EiEEZNS1_24adjacent_difference_implIS3_Lb0ELb0EPKiPiN6thrust23THRUST_200600_302600_NS4plusIiEEEE10hipError_tPvRmT2_T3_mT4_P12ihipStream_tbEUlT_E_NS1_11comp_targetILNS1_3genE2ELNS1_11target_archE906ELNS1_3gpuE6ELNS1_3repE0EEENS1_30default_config_static_selectorELNS0_4arch9wavefront6targetE1EEEvT1_
		.amdhsa_group_segment_fixed_size 0
		.amdhsa_private_segment_fixed_size 0
		.amdhsa_kernarg_size 56
		.amdhsa_user_sgpr_count 6
		.amdhsa_user_sgpr_private_segment_buffer 1
		.amdhsa_user_sgpr_dispatch_ptr 0
		.amdhsa_user_sgpr_queue_ptr 0
		.amdhsa_user_sgpr_kernarg_segment_ptr 1
		.amdhsa_user_sgpr_dispatch_id 0
		.amdhsa_user_sgpr_flat_scratch_init 0
		.amdhsa_user_sgpr_kernarg_preload_length 0
		.amdhsa_user_sgpr_kernarg_preload_offset 0
		.amdhsa_user_sgpr_private_segment_size 0
		.amdhsa_uses_dynamic_stack 0
		.amdhsa_system_sgpr_private_segment_wavefront_offset 0
		.amdhsa_system_sgpr_workgroup_id_x 1
		.amdhsa_system_sgpr_workgroup_id_y 0
		.amdhsa_system_sgpr_workgroup_id_z 0
		.amdhsa_system_sgpr_workgroup_info 0
		.amdhsa_system_vgpr_workitem_id 0
		.amdhsa_next_free_vgpr 1
		.amdhsa_next_free_sgpr 0
		.amdhsa_accum_offset 4
		.amdhsa_reserve_vcc 0
		.amdhsa_reserve_flat_scratch 0
		.amdhsa_float_round_mode_32 0
		.amdhsa_float_round_mode_16_64 0
		.amdhsa_float_denorm_mode_32 3
		.amdhsa_float_denorm_mode_16_64 3
		.amdhsa_dx10_clamp 1
		.amdhsa_ieee_mode 1
		.amdhsa_fp16_overflow 0
		.amdhsa_tg_split 0
		.amdhsa_exception_fp_ieee_invalid_op 0
		.amdhsa_exception_fp_denorm_src 0
		.amdhsa_exception_fp_ieee_div_zero 0
		.amdhsa_exception_fp_ieee_overflow 0
		.amdhsa_exception_fp_ieee_underflow 0
		.amdhsa_exception_fp_ieee_inexact 0
		.amdhsa_exception_int_div_zero 0
	.end_amdhsa_kernel
	.section	.text._ZN7rocprim17ROCPRIM_400000_NS6detail17trampoline_kernelINS0_14default_configENS1_35adjacent_difference_config_selectorILb0EiEEZNS1_24adjacent_difference_implIS3_Lb0ELb0EPKiPiN6thrust23THRUST_200600_302600_NS4plusIiEEEE10hipError_tPvRmT2_T3_mT4_P12ihipStream_tbEUlT_E_NS1_11comp_targetILNS1_3genE2ELNS1_11target_archE906ELNS1_3gpuE6ELNS1_3repE0EEENS1_30default_config_static_selectorELNS0_4arch9wavefront6targetE1EEEvT1_,"axG",@progbits,_ZN7rocprim17ROCPRIM_400000_NS6detail17trampoline_kernelINS0_14default_configENS1_35adjacent_difference_config_selectorILb0EiEEZNS1_24adjacent_difference_implIS3_Lb0ELb0EPKiPiN6thrust23THRUST_200600_302600_NS4plusIiEEEE10hipError_tPvRmT2_T3_mT4_P12ihipStream_tbEUlT_E_NS1_11comp_targetILNS1_3genE2ELNS1_11target_archE906ELNS1_3gpuE6ELNS1_3repE0EEENS1_30default_config_static_selectorELNS0_4arch9wavefront6targetE1EEEvT1_,comdat
.Lfunc_end571:
	.size	_ZN7rocprim17ROCPRIM_400000_NS6detail17trampoline_kernelINS0_14default_configENS1_35adjacent_difference_config_selectorILb0EiEEZNS1_24adjacent_difference_implIS3_Lb0ELb0EPKiPiN6thrust23THRUST_200600_302600_NS4plusIiEEEE10hipError_tPvRmT2_T3_mT4_P12ihipStream_tbEUlT_E_NS1_11comp_targetILNS1_3genE2ELNS1_11target_archE906ELNS1_3gpuE6ELNS1_3repE0EEENS1_30default_config_static_selectorELNS0_4arch9wavefront6targetE1EEEvT1_, .Lfunc_end571-_ZN7rocprim17ROCPRIM_400000_NS6detail17trampoline_kernelINS0_14default_configENS1_35adjacent_difference_config_selectorILb0EiEEZNS1_24adjacent_difference_implIS3_Lb0ELb0EPKiPiN6thrust23THRUST_200600_302600_NS4plusIiEEEE10hipError_tPvRmT2_T3_mT4_P12ihipStream_tbEUlT_E_NS1_11comp_targetILNS1_3genE2ELNS1_11target_archE906ELNS1_3gpuE6ELNS1_3repE0EEENS1_30default_config_static_selectorELNS0_4arch9wavefront6targetE1EEEvT1_
                                        ; -- End function
	.section	.AMDGPU.csdata,"",@progbits
; Kernel info:
; codeLenInByte = 0
; NumSgprs: 4
; NumVgprs: 0
; NumAgprs: 0
; TotalNumVgprs: 0
; ScratchSize: 0
; MemoryBound: 0
; FloatMode: 240
; IeeeMode: 1
; LDSByteSize: 0 bytes/workgroup (compile time only)
; SGPRBlocks: 0
; VGPRBlocks: 0
; NumSGPRsForWavesPerEU: 4
; NumVGPRsForWavesPerEU: 1
; AccumOffset: 4
; Occupancy: 8
; WaveLimiterHint : 0
; COMPUTE_PGM_RSRC2:SCRATCH_EN: 0
; COMPUTE_PGM_RSRC2:USER_SGPR: 6
; COMPUTE_PGM_RSRC2:TRAP_HANDLER: 0
; COMPUTE_PGM_RSRC2:TGID_X_EN: 1
; COMPUTE_PGM_RSRC2:TGID_Y_EN: 0
; COMPUTE_PGM_RSRC2:TGID_Z_EN: 0
; COMPUTE_PGM_RSRC2:TIDIG_COMP_CNT: 0
; COMPUTE_PGM_RSRC3_GFX90A:ACCUM_OFFSET: 0
; COMPUTE_PGM_RSRC3_GFX90A:TG_SPLIT: 0
	.section	.text._ZN7rocprim17ROCPRIM_400000_NS6detail17trampoline_kernelINS0_14default_configENS1_35adjacent_difference_config_selectorILb0EiEEZNS1_24adjacent_difference_implIS3_Lb0ELb0EPKiPiN6thrust23THRUST_200600_302600_NS4plusIiEEEE10hipError_tPvRmT2_T3_mT4_P12ihipStream_tbEUlT_E_NS1_11comp_targetILNS1_3genE9ELNS1_11target_archE1100ELNS1_3gpuE3ELNS1_3repE0EEENS1_30default_config_static_selectorELNS0_4arch9wavefront6targetE1EEEvT1_,"axG",@progbits,_ZN7rocprim17ROCPRIM_400000_NS6detail17trampoline_kernelINS0_14default_configENS1_35adjacent_difference_config_selectorILb0EiEEZNS1_24adjacent_difference_implIS3_Lb0ELb0EPKiPiN6thrust23THRUST_200600_302600_NS4plusIiEEEE10hipError_tPvRmT2_T3_mT4_P12ihipStream_tbEUlT_E_NS1_11comp_targetILNS1_3genE9ELNS1_11target_archE1100ELNS1_3gpuE3ELNS1_3repE0EEENS1_30default_config_static_selectorELNS0_4arch9wavefront6targetE1EEEvT1_,comdat
	.protected	_ZN7rocprim17ROCPRIM_400000_NS6detail17trampoline_kernelINS0_14default_configENS1_35adjacent_difference_config_selectorILb0EiEEZNS1_24adjacent_difference_implIS3_Lb0ELb0EPKiPiN6thrust23THRUST_200600_302600_NS4plusIiEEEE10hipError_tPvRmT2_T3_mT4_P12ihipStream_tbEUlT_E_NS1_11comp_targetILNS1_3genE9ELNS1_11target_archE1100ELNS1_3gpuE3ELNS1_3repE0EEENS1_30default_config_static_selectorELNS0_4arch9wavefront6targetE1EEEvT1_ ; -- Begin function _ZN7rocprim17ROCPRIM_400000_NS6detail17trampoline_kernelINS0_14default_configENS1_35adjacent_difference_config_selectorILb0EiEEZNS1_24adjacent_difference_implIS3_Lb0ELb0EPKiPiN6thrust23THRUST_200600_302600_NS4plusIiEEEE10hipError_tPvRmT2_T3_mT4_P12ihipStream_tbEUlT_E_NS1_11comp_targetILNS1_3genE9ELNS1_11target_archE1100ELNS1_3gpuE3ELNS1_3repE0EEENS1_30default_config_static_selectorELNS0_4arch9wavefront6targetE1EEEvT1_
	.globl	_ZN7rocprim17ROCPRIM_400000_NS6detail17trampoline_kernelINS0_14default_configENS1_35adjacent_difference_config_selectorILb0EiEEZNS1_24adjacent_difference_implIS3_Lb0ELb0EPKiPiN6thrust23THRUST_200600_302600_NS4plusIiEEEE10hipError_tPvRmT2_T3_mT4_P12ihipStream_tbEUlT_E_NS1_11comp_targetILNS1_3genE9ELNS1_11target_archE1100ELNS1_3gpuE3ELNS1_3repE0EEENS1_30default_config_static_selectorELNS0_4arch9wavefront6targetE1EEEvT1_
	.p2align	8
	.type	_ZN7rocprim17ROCPRIM_400000_NS6detail17trampoline_kernelINS0_14default_configENS1_35adjacent_difference_config_selectorILb0EiEEZNS1_24adjacent_difference_implIS3_Lb0ELb0EPKiPiN6thrust23THRUST_200600_302600_NS4plusIiEEEE10hipError_tPvRmT2_T3_mT4_P12ihipStream_tbEUlT_E_NS1_11comp_targetILNS1_3genE9ELNS1_11target_archE1100ELNS1_3gpuE3ELNS1_3repE0EEENS1_30default_config_static_selectorELNS0_4arch9wavefront6targetE1EEEvT1_,@function
_ZN7rocprim17ROCPRIM_400000_NS6detail17trampoline_kernelINS0_14default_configENS1_35adjacent_difference_config_selectorILb0EiEEZNS1_24adjacent_difference_implIS3_Lb0ELb0EPKiPiN6thrust23THRUST_200600_302600_NS4plusIiEEEE10hipError_tPvRmT2_T3_mT4_P12ihipStream_tbEUlT_E_NS1_11comp_targetILNS1_3genE9ELNS1_11target_archE1100ELNS1_3gpuE3ELNS1_3repE0EEENS1_30default_config_static_selectorELNS0_4arch9wavefront6targetE1EEEvT1_: ; @_ZN7rocprim17ROCPRIM_400000_NS6detail17trampoline_kernelINS0_14default_configENS1_35adjacent_difference_config_selectorILb0EiEEZNS1_24adjacent_difference_implIS3_Lb0ELb0EPKiPiN6thrust23THRUST_200600_302600_NS4plusIiEEEE10hipError_tPvRmT2_T3_mT4_P12ihipStream_tbEUlT_E_NS1_11comp_targetILNS1_3genE9ELNS1_11target_archE1100ELNS1_3gpuE3ELNS1_3repE0EEENS1_30default_config_static_selectorELNS0_4arch9wavefront6targetE1EEEvT1_
; %bb.0:
	.section	.rodata,"a",@progbits
	.p2align	6, 0x0
	.amdhsa_kernel _ZN7rocprim17ROCPRIM_400000_NS6detail17trampoline_kernelINS0_14default_configENS1_35adjacent_difference_config_selectorILb0EiEEZNS1_24adjacent_difference_implIS3_Lb0ELb0EPKiPiN6thrust23THRUST_200600_302600_NS4plusIiEEEE10hipError_tPvRmT2_T3_mT4_P12ihipStream_tbEUlT_E_NS1_11comp_targetILNS1_3genE9ELNS1_11target_archE1100ELNS1_3gpuE3ELNS1_3repE0EEENS1_30default_config_static_selectorELNS0_4arch9wavefront6targetE1EEEvT1_
		.amdhsa_group_segment_fixed_size 0
		.amdhsa_private_segment_fixed_size 0
		.amdhsa_kernarg_size 56
		.amdhsa_user_sgpr_count 6
		.amdhsa_user_sgpr_private_segment_buffer 1
		.amdhsa_user_sgpr_dispatch_ptr 0
		.amdhsa_user_sgpr_queue_ptr 0
		.amdhsa_user_sgpr_kernarg_segment_ptr 1
		.amdhsa_user_sgpr_dispatch_id 0
		.amdhsa_user_sgpr_flat_scratch_init 0
		.amdhsa_user_sgpr_kernarg_preload_length 0
		.amdhsa_user_sgpr_kernarg_preload_offset 0
		.amdhsa_user_sgpr_private_segment_size 0
		.amdhsa_uses_dynamic_stack 0
		.amdhsa_system_sgpr_private_segment_wavefront_offset 0
		.amdhsa_system_sgpr_workgroup_id_x 1
		.amdhsa_system_sgpr_workgroup_id_y 0
		.amdhsa_system_sgpr_workgroup_id_z 0
		.amdhsa_system_sgpr_workgroup_info 0
		.amdhsa_system_vgpr_workitem_id 0
		.amdhsa_next_free_vgpr 1
		.amdhsa_next_free_sgpr 0
		.amdhsa_accum_offset 4
		.amdhsa_reserve_vcc 0
		.amdhsa_reserve_flat_scratch 0
		.amdhsa_float_round_mode_32 0
		.amdhsa_float_round_mode_16_64 0
		.amdhsa_float_denorm_mode_32 3
		.amdhsa_float_denorm_mode_16_64 3
		.amdhsa_dx10_clamp 1
		.amdhsa_ieee_mode 1
		.amdhsa_fp16_overflow 0
		.amdhsa_tg_split 0
		.amdhsa_exception_fp_ieee_invalid_op 0
		.amdhsa_exception_fp_denorm_src 0
		.amdhsa_exception_fp_ieee_div_zero 0
		.amdhsa_exception_fp_ieee_overflow 0
		.amdhsa_exception_fp_ieee_underflow 0
		.amdhsa_exception_fp_ieee_inexact 0
		.amdhsa_exception_int_div_zero 0
	.end_amdhsa_kernel
	.section	.text._ZN7rocprim17ROCPRIM_400000_NS6detail17trampoline_kernelINS0_14default_configENS1_35adjacent_difference_config_selectorILb0EiEEZNS1_24adjacent_difference_implIS3_Lb0ELb0EPKiPiN6thrust23THRUST_200600_302600_NS4plusIiEEEE10hipError_tPvRmT2_T3_mT4_P12ihipStream_tbEUlT_E_NS1_11comp_targetILNS1_3genE9ELNS1_11target_archE1100ELNS1_3gpuE3ELNS1_3repE0EEENS1_30default_config_static_selectorELNS0_4arch9wavefront6targetE1EEEvT1_,"axG",@progbits,_ZN7rocprim17ROCPRIM_400000_NS6detail17trampoline_kernelINS0_14default_configENS1_35adjacent_difference_config_selectorILb0EiEEZNS1_24adjacent_difference_implIS3_Lb0ELb0EPKiPiN6thrust23THRUST_200600_302600_NS4plusIiEEEE10hipError_tPvRmT2_T3_mT4_P12ihipStream_tbEUlT_E_NS1_11comp_targetILNS1_3genE9ELNS1_11target_archE1100ELNS1_3gpuE3ELNS1_3repE0EEENS1_30default_config_static_selectorELNS0_4arch9wavefront6targetE1EEEvT1_,comdat
.Lfunc_end572:
	.size	_ZN7rocprim17ROCPRIM_400000_NS6detail17trampoline_kernelINS0_14default_configENS1_35adjacent_difference_config_selectorILb0EiEEZNS1_24adjacent_difference_implIS3_Lb0ELb0EPKiPiN6thrust23THRUST_200600_302600_NS4plusIiEEEE10hipError_tPvRmT2_T3_mT4_P12ihipStream_tbEUlT_E_NS1_11comp_targetILNS1_3genE9ELNS1_11target_archE1100ELNS1_3gpuE3ELNS1_3repE0EEENS1_30default_config_static_selectorELNS0_4arch9wavefront6targetE1EEEvT1_, .Lfunc_end572-_ZN7rocprim17ROCPRIM_400000_NS6detail17trampoline_kernelINS0_14default_configENS1_35adjacent_difference_config_selectorILb0EiEEZNS1_24adjacent_difference_implIS3_Lb0ELb0EPKiPiN6thrust23THRUST_200600_302600_NS4plusIiEEEE10hipError_tPvRmT2_T3_mT4_P12ihipStream_tbEUlT_E_NS1_11comp_targetILNS1_3genE9ELNS1_11target_archE1100ELNS1_3gpuE3ELNS1_3repE0EEENS1_30default_config_static_selectorELNS0_4arch9wavefront6targetE1EEEvT1_
                                        ; -- End function
	.section	.AMDGPU.csdata,"",@progbits
; Kernel info:
; codeLenInByte = 0
; NumSgprs: 4
; NumVgprs: 0
; NumAgprs: 0
; TotalNumVgprs: 0
; ScratchSize: 0
; MemoryBound: 0
; FloatMode: 240
; IeeeMode: 1
; LDSByteSize: 0 bytes/workgroup (compile time only)
; SGPRBlocks: 0
; VGPRBlocks: 0
; NumSGPRsForWavesPerEU: 4
; NumVGPRsForWavesPerEU: 1
; AccumOffset: 4
; Occupancy: 8
; WaveLimiterHint : 0
; COMPUTE_PGM_RSRC2:SCRATCH_EN: 0
; COMPUTE_PGM_RSRC2:USER_SGPR: 6
; COMPUTE_PGM_RSRC2:TRAP_HANDLER: 0
; COMPUTE_PGM_RSRC2:TGID_X_EN: 1
; COMPUTE_PGM_RSRC2:TGID_Y_EN: 0
; COMPUTE_PGM_RSRC2:TGID_Z_EN: 0
; COMPUTE_PGM_RSRC2:TIDIG_COMP_CNT: 0
; COMPUTE_PGM_RSRC3_GFX90A:ACCUM_OFFSET: 0
; COMPUTE_PGM_RSRC3_GFX90A:TG_SPLIT: 0
	.section	.text._ZN7rocprim17ROCPRIM_400000_NS6detail17trampoline_kernelINS0_14default_configENS1_35adjacent_difference_config_selectorILb0EiEEZNS1_24adjacent_difference_implIS3_Lb0ELb0EPKiPiN6thrust23THRUST_200600_302600_NS4plusIiEEEE10hipError_tPvRmT2_T3_mT4_P12ihipStream_tbEUlT_E_NS1_11comp_targetILNS1_3genE8ELNS1_11target_archE1030ELNS1_3gpuE2ELNS1_3repE0EEENS1_30default_config_static_selectorELNS0_4arch9wavefront6targetE1EEEvT1_,"axG",@progbits,_ZN7rocprim17ROCPRIM_400000_NS6detail17trampoline_kernelINS0_14default_configENS1_35adjacent_difference_config_selectorILb0EiEEZNS1_24adjacent_difference_implIS3_Lb0ELb0EPKiPiN6thrust23THRUST_200600_302600_NS4plusIiEEEE10hipError_tPvRmT2_T3_mT4_P12ihipStream_tbEUlT_E_NS1_11comp_targetILNS1_3genE8ELNS1_11target_archE1030ELNS1_3gpuE2ELNS1_3repE0EEENS1_30default_config_static_selectorELNS0_4arch9wavefront6targetE1EEEvT1_,comdat
	.protected	_ZN7rocprim17ROCPRIM_400000_NS6detail17trampoline_kernelINS0_14default_configENS1_35adjacent_difference_config_selectorILb0EiEEZNS1_24adjacent_difference_implIS3_Lb0ELb0EPKiPiN6thrust23THRUST_200600_302600_NS4plusIiEEEE10hipError_tPvRmT2_T3_mT4_P12ihipStream_tbEUlT_E_NS1_11comp_targetILNS1_3genE8ELNS1_11target_archE1030ELNS1_3gpuE2ELNS1_3repE0EEENS1_30default_config_static_selectorELNS0_4arch9wavefront6targetE1EEEvT1_ ; -- Begin function _ZN7rocprim17ROCPRIM_400000_NS6detail17trampoline_kernelINS0_14default_configENS1_35adjacent_difference_config_selectorILb0EiEEZNS1_24adjacent_difference_implIS3_Lb0ELb0EPKiPiN6thrust23THRUST_200600_302600_NS4plusIiEEEE10hipError_tPvRmT2_T3_mT4_P12ihipStream_tbEUlT_E_NS1_11comp_targetILNS1_3genE8ELNS1_11target_archE1030ELNS1_3gpuE2ELNS1_3repE0EEENS1_30default_config_static_selectorELNS0_4arch9wavefront6targetE1EEEvT1_
	.globl	_ZN7rocprim17ROCPRIM_400000_NS6detail17trampoline_kernelINS0_14default_configENS1_35adjacent_difference_config_selectorILb0EiEEZNS1_24adjacent_difference_implIS3_Lb0ELb0EPKiPiN6thrust23THRUST_200600_302600_NS4plusIiEEEE10hipError_tPvRmT2_T3_mT4_P12ihipStream_tbEUlT_E_NS1_11comp_targetILNS1_3genE8ELNS1_11target_archE1030ELNS1_3gpuE2ELNS1_3repE0EEENS1_30default_config_static_selectorELNS0_4arch9wavefront6targetE1EEEvT1_
	.p2align	8
	.type	_ZN7rocprim17ROCPRIM_400000_NS6detail17trampoline_kernelINS0_14default_configENS1_35adjacent_difference_config_selectorILb0EiEEZNS1_24adjacent_difference_implIS3_Lb0ELb0EPKiPiN6thrust23THRUST_200600_302600_NS4plusIiEEEE10hipError_tPvRmT2_T3_mT4_P12ihipStream_tbEUlT_E_NS1_11comp_targetILNS1_3genE8ELNS1_11target_archE1030ELNS1_3gpuE2ELNS1_3repE0EEENS1_30default_config_static_selectorELNS0_4arch9wavefront6targetE1EEEvT1_,@function
_ZN7rocprim17ROCPRIM_400000_NS6detail17trampoline_kernelINS0_14default_configENS1_35adjacent_difference_config_selectorILb0EiEEZNS1_24adjacent_difference_implIS3_Lb0ELb0EPKiPiN6thrust23THRUST_200600_302600_NS4plusIiEEEE10hipError_tPvRmT2_T3_mT4_P12ihipStream_tbEUlT_E_NS1_11comp_targetILNS1_3genE8ELNS1_11target_archE1030ELNS1_3gpuE2ELNS1_3repE0EEENS1_30default_config_static_selectorELNS0_4arch9wavefront6targetE1EEEvT1_: ; @_ZN7rocprim17ROCPRIM_400000_NS6detail17trampoline_kernelINS0_14default_configENS1_35adjacent_difference_config_selectorILb0EiEEZNS1_24adjacent_difference_implIS3_Lb0ELb0EPKiPiN6thrust23THRUST_200600_302600_NS4plusIiEEEE10hipError_tPvRmT2_T3_mT4_P12ihipStream_tbEUlT_E_NS1_11comp_targetILNS1_3genE8ELNS1_11target_archE1030ELNS1_3gpuE2ELNS1_3repE0EEENS1_30default_config_static_selectorELNS0_4arch9wavefront6targetE1EEEvT1_
; %bb.0:
	.section	.rodata,"a",@progbits
	.p2align	6, 0x0
	.amdhsa_kernel _ZN7rocprim17ROCPRIM_400000_NS6detail17trampoline_kernelINS0_14default_configENS1_35adjacent_difference_config_selectorILb0EiEEZNS1_24adjacent_difference_implIS3_Lb0ELb0EPKiPiN6thrust23THRUST_200600_302600_NS4plusIiEEEE10hipError_tPvRmT2_T3_mT4_P12ihipStream_tbEUlT_E_NS1_11comp_targetILNS1_3genE8ELNS1_11target_archE1030ELNS1_3gpuE2ELNS1_3repE0EEENS1_30default_config_static_selectorELNS0_4arch9wavefront6targetE1EEEvT1_
		.amdhsa_group_segment_fixed_size 0
		.amdhsa_private_segment_fixed_size 0
		.amdhsa_kernarg_size 56
		.amdhsa_user_sgpr_count 6
		.amdhsa_user_sgpr_private_segment_buffer 1
		.amdhsa_user_sgpr_dispatch_ptr 0
		.amdhsa_user_sgpr_queue_ptr 0
		.amdhsa_user_sgpr_kernarg_segment_ptr 1
		.amdhsa_user_sgpr_dispatch_id 0
		.amdhsa_user_sgpr_flat_scratch_init 0
		.amdhsa_user_sgpr_kernarg_preload_length 0
		.amdhsa_user_sgpr_kernarg_preload_offset 0
		.amdhsa_user_sgpr_private_segment_size 0
		.amdhsa_uses_dynamic_stack 0
		.amdhsa_system_sgpr_private_segment_wavefront_offset 0
		.amdhsa_system_sgpr_workgroup_id_x 1
		.amdhsa_system_sgpr_workgroup_id_y 0
		.amdhsa_system_sgpr_workgroup_id_z 0
		.amdhsa_system_sgpr_workgroup_info 0
		.amdhsa_system_vgpr_workitem_id 0
		.amdhsa_next_free_vgpr 1
		.amdhsa_next_free_sgpr 0
		.amdhsa_accum_offset 4
		.amdhsa_reserve_vcc 0
		.amdhsa_reserve_flat_scratch 0
		.amdhsa_float_round_mode_32 0
		.amdhsa_float_round_mode_16_64 0
		.amdhsa_float_denorm_mode_32 3
		.amdhsa_float_denorm_mode_16_64 3
		.amdhsa_dx10_clamp 1
		.amdhsa_ieee_mode 1
		.amdhsa_fp16_overflow 0
		.amdhsa_tg_split 0
		.amdhsa_exception_fp_ieee_invalid_op 0
		.amdhsa_exception_fp_denorm_src 0
		.amdhsa_exception_fp_ieee_div_zero 0
		.amdhsa_exception_fp_ieee_overflow 0
		.amdhsa_exception_fp_ieee_underflow 0
		.amdhsa_exception_fp_ieee_inexact 0
		.amdhsa_exception_int_div_zero 0
	.end_amdhsa_kernel
	.section	.text._ZN7rocprim17ROCPRIM_400000_NS6detail17trampoline_kernelINS0_14default_configENS1_35adjacent_difference_config_selectorILb0EiEEZNS1_24adjacent_difference_implIS3_Lb0ELb0EPKiPiN6thrust23THRUST_200600_302600_NS4plusIiEEEE10hipError_tPvRmT2_T3_mT4_P12ihipStream_tbEUlT_E_NS1_11comp_targetILNS1_3genE8ELNS1_11target_archE1030ELNS1_3gpuE2ELNS1_3repE0EEENS1_30default_config_static_selectorELNS0_4arch9wavefront6targetE1EEEvT1_,"axG",@progbits,_ZN7rocprim17ROCPRIM_400000_NS6detail17trampoline_kernelINS0_14default_configENS1_35adjacent_difference_config_selectorILb0EiEEZNS1_24adjacent_difference_implIS3_Lb0ELb0EPKiPiN6thrust23THRUST_200600_302600_NS4plusIiEEEE10hipError_tPvRmT2_T3_mT4_P12ihipStream_tbEUlT_E_NS1_11comp_targetILNS1_3genE8ELNS1_11target_archE1030ELNS1_3gpuE2ELNS1_3repE0EEENS1_30default_config_static_selectorELNS0_4arch9wavefront6targetE1EEEvT1_,comdat
.Lfunc_end573:
	.size	_ZN7rocprim17ROCPRIM_400000_NS6detail17trampoline_kernelINS0_14default_configENS1_35adjacent_difference_config_selectorILb0EiEEZNS1_24adjacent_difference_implIS3_Lb0ELb0EPKiPiN6thrust23THRUST_200600_302600_NS4plusIiEEEE10hipError_tPvRmT2_T3_mT4_P12ihipStream_tbEUlT_E_NS1_11comp_targetILNS1_3genE8ELNS1_11target_archE1030ELNS1_3gpuE2ELNS1_3repE0EEENS1_30default_config_static_selectorELNS0_4arch9wavefront6targetE1EEEvT1_, .Lfunc_end573-_ZN7rocprim17ROCPRIM_400000_NS6detail17trampoline_kernelINS0_14default_configENS1_35adjacent_difference_config_selectorILb0EiEEZNS1_24adjacent_difference_implIS3_Lb0ELb0EPKiPiN6thrust23THRUST_200600_302600_NS4plusIiEEEE10hipError_tPvRmT2_T3_mT4_P12ihipStream_tbEUlT_E_NS1_11comp_targetILNS1_3genE8ELNS1_11target_archE1030ELNS1_3gpuE2ELNS1_3repE0EEENS1_30default_config_static_selectorELNS0_4arch9wavefront6targetE1EEEvT1_
                                        ; -- End function
	.section	.AMDGPU.csdata,"",@progbits
; Kernel info:
; codeLenInByte = 0
; NumSgprs: 4
; NumVgprs: 0
; NumAgprs: 0
; TotalNumVgprs: 0
; ScratchSize: 0
; MemoryBound: 0
; FloatMode: 240
; IeeeMode: 1
; LDSByteSize: 0 bytes/workgroup (compile time only)
; SGPRBlocks: 0
; VGPRBlocks: 0
; NumSGPRsForWavesPerEU: 4
; NumVGPRsForWavesPerEU: 1
; AccumOffset: 4
; Occupancy: 8
; WaveLimiterHint : 0
; COMPUTE_PGM_RSRC2:SCRATCH_EN: 0
; COMPUTE_PGM_RSRC2:USER_SGPR: 6
; COMPUTE_PGM_RSRC2:TRAP_HANDLER: 0
; COMPUTE_PGM_RSRC2:TGID_X_EN: 1
; COMPUTE_PGM_RSRC2:TGID_Y_EN: 0
; COMPUTE_PGM_RSRC2:TGID_Z_EN: 0
; COMPUTE_PGM_RSRC2:TIDIG_COMP_CNT: 0
; COMPUTE_PGM_RSRC3_GFX90A:ACCUM_OFFSET: 0
; COMPUTE_PGM_RSRC3_GFX90A:TG_SPLIT: 0
	.section	.text._ZN7rocprim17ROCPRIM_400000_NS6detail17trampoline_kernelINS0_14default_configENS1_25transform_config_selectorIiLb0EEEZNS1_14transform_implILb0ES3_S5_NS0_18transform_iteratorINS0_17counting_iteratorImlEEZNS1_24adjacent_difference_implIS3_Lb1ELb0EPKiPiN6thrust23THRUST_200600_302600_NS4plusIiEEEE10hipError_tPvRmT2_T3_mT4_P12ihipStream_tbEUlmE_iEESD_NS0_8identityIvEEEESI_SL_SM_mSN_SP_bEUlT_E_NS1_11comp_targetILNS1_3genE0ELNS1_11target_archE4294967295ELNS1_3gpuE0ELNS1_3repE0EEENS1_30default_config_static_selectorELNS0_4arch9wavefront6targetE1EEEvT1_,"axG",@progbits,_ZN7rocprim17ROCPRIM_400000_NS6detail17trampoline_kernelINS0_14default_configENS1_25transform_config_selectorIiLb0EEEZNS1_14transform_implILb0ES3_S5_NS0_18transform_iteratorINS0_17counting_iteratorImlEEZNS1_24adjacent_difference_implIS3_Lb1ELb0EPKiPiN6thrust23THRUST_200600_302600_NS4plusIiEEEE10hipError_tPvRmT2_T3_mT4_P12ihipStream_tbEUlmE_iEESD_NS0_8identityIvEEEESI_SL_SM_mSN_SP_bEUlT_E_NS1_11comp_targetILNS1_3genE0ELNS1_11target_archE4294967295ELNS1_3gpuE0ELNS1_3repE0EEENS1_30default_config_static_selectorELNS0_4arch9wavefront6targetE1EEEvT1_,comdat
	.protected	_ZN7rocprim17ROCPRIM_400000_NS6detail17trampoline_kernelINS0_14default_configENS1_25transform_config_selectorIiLb0EEEZNS1_14transform_implILb0ES3_S5_NS0_18transform_iteratorINS0_17counting_iteratorImlEEZNS1_24adjacent_difference_implIS3_Lb1ELb0EPKiPiN6thrust23THRUST_200600_302600_NS4plusIiEEEE10hipError_tPvRmT2_T3_mT4_P12ihipStream_tbEUlmE_iEESD_NS0_8identityIvEEEESI_SL_SM_mSN_SP_bEUlT_E_NS1_11comp_targetILNS1_3genE0ELNS1_11target_archE4294967295ELNS1_3gpuE0ELNS1_3repE0EEENS1_30default_config_static_selectorELNS0_4arch9wavefront6targetE1EEEvT1_ ; -- Begin function _ZN7rocprim17ROCPRIM_400000_NS6detail17trampoline_kernelINS0_14default_configENS1_25transform_config_selectorIiLb0EEEZNS1_14transform_implILb0ES3_S5_NS0_18transform_iteratorINS0_17counting_iteratorImlEEZNS1_24adjacent_difference_implIS3_Lb1ELb0EPKiPiN6thrust23THRUST_200600_302600_NS4plusIiEEEE10hipError_tPvRmT2_T3_mT4_P12ihipStream_tbEUlmE_iEESD_NS0_8identityIvEEEESI_SL_SM_mSN_SP_bEUlT_E_NS1_11comp_targetILNS1_3genE0ELNS1_11target_archE4294967295ELNS1_3gpuE0ELNS1_3repE0EEENS1_30default_config_static_selectorELNS0_4arch9wavefront6targetE1EEEvT1_
	.globl	_ZN7rocprim17ROCPRIM_400000_NS6detail17trampoline_kernelINS0_14default_configENS1_25transform_config_selectorIiLb0EEEZNS1_14transform_implILb0ES3_S5_NS0_18transform_iteratorINS0_17counting_iteratorImlEEZNS1_24adjacent_difference_implIS3_Lb1ELb0EPKiPiN6thrust23THRUST_200600_302600_NS4plusIiEEEE10hipError_tPvRmT2_T3_mT4_P12ihipStream_tbEUlmE_iEESD_NS0_8identityIvEEEESI_SL_SM_mSN_SP_bEUlT_E_NS1_11comp_targetILNS1_3genE0ELNS1_11target_archE4294967295ELNS1_3gpuE0ELNS1_3repE0EEENS1_30default_config_static_selectorELNS0_4arch9wavefront6targetE1EEEvT1_
	.p2align	8
	.type	_ZN7rocprim17ROCPRIM_400000_NS6detail17trampoline_kernelINS0_14default_configENS1_25transform_config_selectorIiLb0EEEZNS1_14transform_implILb0ES3_S5_NS0_18transform_iteratorINS0_17counting_iteratorImlEEZNS1_24adjacent_difference_implIS3_Lb1ELb0EPKiPiN6thrust23THRUST_200600_302600_NS4plusIiEEEE10hipError_tPvRmT2_T3_mT4_P12ihipStream_tbEUlmE_iEESD_NS0_8identityIvEEEESI_SL_SM_mSN_SP_bEUlT_E_NS1_11comp_targetILNS1_3genE0ELNS1_11target_archE4294967295ELNS1_3gpuE0ELNS1_3repE0EEENS1_30default_config_static_selectorELNS0_4arch9wavefront6targetE1EEEvT1_,@function
_ZN7rocprim17ROCPRIM_400000_NS6detail17trampoline_kernelINS0_14default_configENS1_25transform_config_selectorIiLb0EEEZNS1_14transform_implILb0ES3_S5_NS0_18transform_iteratorINS0_17counting_iteratorImlEEZNS1_24adjacent_difference_implIS3_Lb1ELb0EPKiPiN6thrust23THRUST_200600_302600_NS4plusIiEEEE10hipError_tPvRmT2_T3_mT4_P12ihipStream_tbEUlmE_iEESD_NS0_8identityIvEEEESI_SL_SM_mSN_SP_bEUlT_E_NS1_11comp_targetILNS1_3genE0ELNS1_11target_archE4294967295ELNS1_3gpuE0ELNS1_3repE0EEENS1_30default_config_static_selectorELNS0_4arch9wavefront6targetE1EEEvT1_: ; @_ZN7rocprim17ROCPRIM_400000_NS6detail17trampoline_kernelINS0_14default_configENS1_25transform_config_selectorIiLb0EEEZNS1_14transform_implILb0ES3_S5_NS0_18transform_iteratorINS0_17counting_iteratorImlEEZNS1_24adjacent_difference_implIS3_Lb1ELb0EPKiPiN6thrust23THRUST_200600_302600_NS4plusIiEEEE10hipError_tPvRmT2_T3_mT4_P12ihipStream_tbEUlmE_iEESD_NS0_8identityIvEEEESI_SL_SM_mSN_SP_bEUlT_E_NS1_11comp_targetILNS1_3genE0ELNS1_11target_archE4294967295ELNS1_3gpuE0ELNS1_3repE0EEENS1_30default_config_static_selectorELNS0_4arch9wavefront6targetE1EEEvT1_
; %bb.0:
	.section	.rodata,"a",@progbits
	.p2align	6, 0x0
	.amdhsa_kernel _ZN7rocprim17ROCPRIM_400000_NS6detail17trampoline_kernelINS0_14default_configENS1_25transform_config_selectorIiLb0EEEZNS1_14transform_implILb0ES3_S5_NS0_18transform_iteratorINS0_17counting_iteratorImlEEZNS1_24adjacent_difference_implIS3_Lb1ELb0EPKiPiN6thrust23THRUST_200600_302600_NS4plusIiEEEE10hipError_tPvRmT2_T3_mT4_P12ihipStream_tbEUlmE_iEESD_NS0_8identityIvEEEESI_SL_SM_mSN_SP_bEUlT_E_NS1_11comp_targetILNS1_3genE0ELNS1_11target_archE4294967295ELNS1_3gpuE0ELNS1_3repE0EEENS1_30default_config_static_selectorELNS0_4arch9wavefront6targetE1EEEvT1_
		.amdhsa_group_segment_fixed_size 0
		.amdhsa_private_segment_fixed_size 0
		.amdhsa_kernarg_size 56
		.amdhsa_user_sgpr_count 6
		.amdhsa_user_sgpr_private_segment_buffer 1
		.amdhsa_user_sgpr_dispatch_ptr 0
		.amdhsa_user_sgpr_queue_ptr 0
		.amdhsa_user_sgpr_kernarg_segment_ptr 1
		.amdhsa_user_sgpr_dispatch_id 0
		.amdhsa_user_sgpr_flat_scratch_init 0
		.amdhsa_user_sgpr_kernarg_preload_length 0
		.amdhsa_user_sgpr_kernarg_preload_offset 0
		.amdhsa_user_sgpr_private_segment_size 0
		.amdhsa_uses_dynamic_stack 0
		.amdhsa_system_sgpr_private_segment_wavefront_offset 0
		.amdhsa_system_sgpr_workgroup_id_x 1
		.amdhsa_system_sgpr_workgroup_id_y 0
		.amdhsa_system_sgpr_workgroup_id_z 0
		.amdhsa_system_sgpr_workgroup_info 0
		.amdhsa_system_vgpr_workitem_id 0
		.amdhsa_next_free_vgpr 1
		.amdhsa_next_free_sgpr 0
		.amdhsa_accum_offset 4
		.amdhsa_reserve_vcc 0
		.amdhsa_reserve_flat_scratch 0
		.amdhsa_float_round_mode_32 0
		.amdhsa_float_round_mode_16_64 0
		.amdhsa_float_denorm_mode_32 3
		.amdhsa_float_denorm_mode_16_64 3
		.amdhsa_dx10_clamp 1
		.amdhsa_ieee_mode 1
		.amdhsa_fp16_overflow 0
		.amdhsa_tg_split 0
		.amdhsa_exception_fp_ieee_invalid_op 0
		.amdhsa_exception_fp_denorm_src 0
		.amdhsa_exception_fp_ieee_div_zero 0
		.amdhsa_exception_fp_ieee_overflow 0
		.amdhsa_exception_fp_ieee_underflow 0
		.amdhsa_exception_fp_ieee_inexact 0
		.amdhsa_exception_int_div_zero 0
	.end_amdhsa_kernel
	.section	.text._ZN7rocprim17ROCPRIM_400000_NS6detail17trampoline_kernelINS0_14default_configENS1_25transform_config_selectorIiLb0EEEZNS1_14transform_implILb0ES3_S5_NS0_18transform_iteratorINS0_17counting_iteratorImlEEZNS1_24adjacent_difference_implIS3_Lb1ELb0EPKiPiN6thrust23THRUST_200600_302600_NS4plusIiEEEE10hipError_tPvRmT2_T3_mT4_P12ihipStream_tbEUlmE_iEESD_NS0_8identityIvEEEESI_SL_SM_mSN_SP_bEUlT_E_NS1_11comp_targetILNS1_3genE0ELNS1_11target_archE4294967295ELNS1_3gpuE0ELNS1_3repE0EEENS1_30default_config_static_selectorELNS0_4arch9wavefront6targetE1EEEvT1_,"axG",@progbits,_ZN7rocprim17ROCPRIM_400000_NS6detail17trampoline_kernelINS0_14default_configENS1_25transform_config_selectorIiLb0EEEZNS1_14transform_implILb0ES3_S5_NS0_18transform_iteratorINS0_17counting_iteratorImlEEZNS1_24adjacent_difference_implIS3_Lb1ELb0EPKiPiN6thrust23THRUST_200600_302600_NS4plusIiEEEE10hipError_tPvRmT2_T3_mT4_P12ihipStream_tbEUlmE_iEESD_NS0_8identityIvEEEESI_SL_SM_mSN_SP_bEUlT_E_NS1_11comp_targetILNS1_3genE0ELNS1_11target_archE4294967295ELNS1_3gpuE0ELNS1_3repE0EEENS1_30default_config_static_selectorELNS0_4arch9wavefront6targetE1EEEvT1_,comdat
.Lfunc_end574:
	.size	_ZN7rocprim17ROCPRIM_400000_NS6detail17trampoline_kernelINS0_14default_configENS1_25transform_config_selectorIiLb0EEEZNS1_14transform_implILb0ES3_S5_NS0_18transform_iteratorINS0_17counting_iteratorImlEEZNS1_24adjacent_difference_implIS3_Lb1ELb0EPKiPiN6thrust23THRUST_200600_302600_NS4plusIiEEEE10hipError_tPvRmT2_T3_mT4_P12ihipStream_tbEUlmE_iEESD_NS0_8identityIvEEEESI_SL_SM_mSN_SP_bEUlT_E_NS1_11comp_targetILNS1_3genE0ELNS1_11target_archE4294967295ELNS1_3gpuE0ELNS1_3repE0EEENS1_30default_config_static_selectorELNS0_4arch9wavefront6targetE1EEEvT1_, .Lfunc_end574-_ZN7rocprim17ROCPRIM_400000_NS6detail17trampoline_kernelINS0_14default_configENS1_25transform_config_selectorIiLb0EEEZNS1_14transform_implILb0ES3_S5_NS0_18transform_iteratorINS0_17counting_iteratorImlEEZNS1_24adjacent_difference_implIS3_Lb1ELb0EPKiPiN6thrust23THRUST_200600_302600_NS4plusIiEEEE10hipError_tPvRmT2_T3_mT4_P12ihipStream_tbEUlmE_iEESD_NS0_8identityIvEEEESI_SL_SM_mSN_SP_bEUlT_E_NS1_11comp_targetILNS1_3genE0ELNS1_11target_archE4294967295ELNS1_3gpuE0ELNS1_3repE0EEENS1_30default_config_static_selectorELNS0_4arch9wavefront6targetE1EEEvT1_
                                        ; -- End function
	.section	.AMDGPU.csdata,"",@progbits
; Kernel info:
; codeLenInByte = 0
; NumSgprs: 4
; NumVgprs: 0
; NumAgprs: 0
; TotalNumVgprs: 0
; ScratchSize: 0
; MemoryBound: 0
; FloatMode: 240
; IeeeMode: 1
; LDSByteSize: 0 bytes/workgroup (compile time only)
; SGPRBlocks: 0
; VGPRBlocks: 0
; NumSGPRsForWavesPerEU: 4
; NumVGPRsForWavesPerEU: 1
; AccumOffset: 4
; Occupancy: 8
; WaveLimiterHint : 0
; COMPUTE_PGM_RSRC2:SCRATCH_EN: 0
; COMPUTE_PGM_RSRC2:USER_SGPR: 6
; COMPUTE_PGM_RSRC2:TRAP_HANDLER: 0
; COMPUTE_PGM_RSRC2:TGID_X_EN: 1
; COMPUTE_PGM_RSRC2:TGID_Y_EN: 0
; COMPUTE_PGM_RSRC2:TGID_Z_EN: 0
; COMPUTE_PGM_RSRC2:TIDIG_COMP_CNT: 0
; COMPUTE_PGM_RSRC3_GFX90A:ACCUM_OFFSET: 0
; COMPUTE_PGM_RSRC3_GFX90A:TG_SPLIT: 0
	.section	.text._ZN7rocprim17ROCPRIM_400000_NS6detail17trampoline_kernelINS0_14default_configENS1_25transform_config_selectorIiLb0EEEZNS1_14transform_implILb0ES3_S5_NS0_18transform_iteratorINS0_17counting_iteratorImlEEZNS1_24adjacent_difference_implIS3_Lb1ELb0EPKiPiN6thrust23THRUST_200600_302600_NS4plusIiEEEE10hipError_tPvRmT2_T3_mT4_P12ihipStream_tbEUlmE_iEESD_NS0_8identityIvEEEESI_SL_SM_mSN_SP_bEUlT_E_NS1_11comp_targetILNS1_3genE5ELNS1_11target_archE942ELNS1_3gpuE9ELNS1_3repE0EEENS1_30default_config_static_selectorELNS0_4arch9wavefront6targetE1EEEvT1_,"axG",@progbits,_ZN7rocprim17ROCPRIM_400000_NS6detail17trampoline_kernelINS0_14default_configENS1_25transform_config_selectorIiLb0EEEZNS1_14transform_implILb0ES3_S5_NS0_18transform_iteratorINS0_17counting_iteratorImlEEZNS1_24adjacent_difference_implIS3_Lb1ELb0EPKiPiN6thrust23THRUST_200600_302600_NS4plusIiEEEE10hipError_tPvRmT2_T3_mT4_P12ihipStream_tbEUlmE_iEESD_NS0_8identityIvEEEESI_SL_SM_mSN_SP_bEUlT_E_NS1_11comp_targetILNS1_3genE5ELNS1_11target_archE942ELNS1_3gpuE9ELNS1_3repE0EEENS1_30default_config_static_selectorELNS0_4arch9wavefront6targetE1EEEvT1_,comdat
	.protected	_ZN7rocprim17ROCPRIM_400000_NS6detail17trampoline_kernelINS0_14default_configENS1_25transform_config_selectorIiLb0EEEZNS1_14transform_implILb0ES3_S5_NS0_18transform_iteratorINS0_17counting_iteratorImlEEZNS1_24adjacent_difference_implIS3_Lb1ELb0EPKiPiN6thrust23THRUST_200600_302600_NS4plusIiEEEE10hipError_tPvRmT2_T3_mT4_P12ihipStream_tbEUlmE_iEESD_NS0_8identityIvEEEESI_SL_SM_mSN_SP_bEUlT_E_NS1_11comp_targetILNS1_3genE5ELNS1_11target_archE942ELNS1_3gpuE9ELNS1_3repE0EEENS1_30default_config_static_selectorELNS0_4arch9wavefront6targetE1EEEvT1_ ; -- Begin function _ZN7rocprim17ROCPRIM_400000_NS6detail17trampoline_kernelINS0_14default_configENS1_25transform_config_selectorIiLb0EEEZNS1_14transform_implILb0ES3_S5_NS0_18transform_iteratorINS0_17counting_iteratorImlEEZNS1_24adjacent_difference_implIS3_Lb1ELb0EPKiPiN6thrust23THRUST_200600_302600_NS4plusIiEEEE10hipError_tPvRmT2_T3_mT4_P12ihipStream_tbEUlmE_iEESD_NS0_8identityIvEEEESI_SL_SM_mSN_SP_bEUlT_E_NS1_11comp_targetILNS1_3genE5ELNS1_11target_archE942ELNS1_3gpuE9ELNS1_3repE0EEENS1_30default_config_static_selectorELNS0_4arch9wavefront6targetE1EEEvT1_
	.globl	_ZN7rocprim17ROCPRIM_400000_NS6detail17trampoline_kernelINS0_14default_configENS1_25transform_config_selectorIiLb0EEEZNS1_14transform_implILb0ES3_S5_NS0_18transform_iteratorINS0_17counting_iteratorImlEEZNS1_24adjacent_difference_implIS3_Lb1ELb0EPKiPiN6thrust23THRUST_200600_302600_NS4plusIiEEEE10hipError_tPvRmT2_T3_mT4_P12ihipStream_tbEUlmE_iEESD_NS0_8identityIvEEEESI_SL_SM_mSN_SP_bEUlT_E_NS1_11comp_targetILNS1_3genE5ELNS1_11target_archE942ELNS1_3gpuE9ELNS1_3repE0EEENS1_30default_config_static_selectorELNS0_4arch9wavefront6targetE1EEEvT1_
	.p2align	8
	.type	_ZN7rocprim17ROCPRIM_400000_NS6detail17trampoline_kernelINS0_14default_configENS1_25transform_config_selectorIiLb0EEEZNS1_14transform_implILb0ES3_S5_NS0_18transform_iteratorINS0_17counting_iteratorImlEEZNS1_24adjacent_difference_implIS3_Lb1ELb0EPKiPiN6thrust23THRUST_200600_302600_NS4plusIiEEEE10hipError_tPvRmT2_T3_mT4_P12ihipStream_tbEUlmE_iEESD_NS0_8identityIvEEEESI_SL_SM_mSN_SP_bEUlT_E_NS1_11comp_targetILNS1_3genE5ELNS1_11target_archE942ELNS1_3gpuE9ELNS1_3repE0EEENS1_30default_config_static_selectorELNS0_4arch9wavefront6targetE1EEEvT1_,@function
_ZN7rocprim17ROCPRIM_400000_NS6detail17trampoline_kernelINS0_14default_configENS1_25transform_config_selectorIiLb0EEEZNS1_14transform_implILb0ES3_S5_NS0_18transform_iteratorINS0_17counting_iteratorImlEEZNS1_24adjacent_difference_implIS3_Lb1ELb0EPKiPiN6thrust23THRUST_200600_302600_NS4plusIiEEEE10hipError_tPvRmT2_T3_mT4_P12ihipStream_tbEUlmE_iEESD_NS0_8identityIvEEEESI_SL_SM_mSN_SP_bEUlT_E_NS1_11comp_targetILNS1_3genE5ELNS1_11target_archE942ELNS1_3gpuE9ELNS1_3repE0EEENS1_30default_config_static_selectorELNS0_4arch9wavefront6targetE1EEEvT1_: ; @_ZN7rocprim17ROCPRIM_400000_NS6detail17trampoline_kernelINS0_14default_configENS1_25transform_config_selectorIiLb0EEEZNS1_14transform_implILb0ES3_S5_NS0_18transform_iteratorINS0_17counting_iteratorImlEEZNS1_24adjacent_difference_implIS3_Lb1ELb0EPKiPiN6thrust23THRUST_200600_302600_NS4plusIiEEEE10hipError_tPvRmT2_T3_mT4_P12ihipStream_tbEUlmE_iEESD_NS0_8identityIvEEEESI_SL_SM_mSN_SP_bEUlT_E_NS1_11comp_targetILNS1_3genE5ELNS1_11target_archE942ELNS1_3gpuE9ELNS1_3repE0EEENS1_30default_config_static_selectorELNS0_4arch9wavefront6targetE1EEEvT1_
; %bb.0:
	.section	.rodata,"a",@progbits
	.p2align	6, 0x0
	.amdhsa_kernel _ZN7rocprim17ROCPRIM_400000_NS6detail17trampoline_kernelINS0_14default_configENS1_25transform_config_selectorIiLb0EEEZNS1_14transform_implILb0ES3_S5_NS0_18transform_iteratorINS0_17counting_iteratorImlEEZNS1_24adjacent_difference_implIS3_Lb1ELb0EPKiPiN6thrust23THRUST_200600_302600_NS4plusIiEEEE10hipError_tPvRmT2_T3_mT4_P12ihipStream_tbEUlmE_iEESD_NS0_8identityIvEEEESI_SL_SM_mSN_SP_bEUlT_E_NS1_11comp_targetILNS1_3genE5ELNS1_11target_archE942ELNS1_3gpuE9ELNS1_3repE0EEENS1_30default_config_static_selectorELNS0_4arch9wavefront6targetE1EEEvT1_
		.amdhsa_group_segment_fixed_size 0
		.amdhsa_private_segment_fixed_size 0
		.amdhsa_kernarg_size 56
		.amdhsa_user_sgpr_count 6
		.amdhsa_user_sgpr_private_segment_buffer 1
		.amdhsa_user_sgpr_dispatch_ptr 0
		.amdhsa_user_sgpr_queue_ptr 0
		.amdhsa_user_sgpr_kernarg_segment_ptr 1
		.amdhsa_user_sgpr_dispatch_id 0
		.amdhsa_user_sgpr_flat_scratch_init 0
		.amdhsa_user_sgpr_kernarg_preload_length 0
		.amdhsa_user_sgpr_kernarg_preload_offset 0
		.amdhsa_user_sgpr_private_segment_size 0
		.amdhsa_uses_dynamic_stack 0
		.amdhsa_system_sgpr_private_segment_wavefront_offset 0
		.amdhsa_system_sgpr_workgroup_id_x 1
		.amdhsa_system_sgpr_workgroup_id_y 0
		.amdhsa_system_sgpr_workgroup_id_z 0
		.amdhsa_system_sgpr_workgroup_info 0
		.amdhsa_system_vgpr_workitem_id 0
		.amdhsa_next_free_vgpr 1
		.amdhsa_next_free_sgpr 0
		.amdhsa_accum_offset 4
		.amdhsa_reserve_vcc 0
		.amdhsa_reserve_flat_scratch 0
		.amdhsa_float_round_mode_32 0
		.amdhsa_float_round_mode_16_64 0
		.amdhsa_float_denorm_mode_32 3
		.amdhsa_float_denorm_mode_16_64 3
		.amdhsa_dx10_clamp 1
		.amdhsa_ieee_mode 1
		.amdhsa_fp16_overflow 0
		.amdhsa_tg_split 0
		.amdhsa_exception_fp_ieee_invalid_op 0
		.amdhsa_exception_fp_denorm_src 0
		.amdhsa_exception_fp_ieee_div_zero 0
		.amdhsa_exception_fp_ieee_overflow 0
		.amdhsa_exception_fp_ieee_underflow 0
		.amdhsa_exception_fp_ieee_inexact 0
		.amdhsa_exception_int_div_zero 0
	.end_amdhsa_kernel
	.section	.text._ZN7rocprim17ROCPRIM_400000_NS6detail17trampoline_kernelINS0_14default_configENS1_25transform_config_selectorIiLb0EEEZNS1_14transform_implILb0ES3_S5_NS0_18transform_iteratorINS0_17counting_iteratorImlEEZNS1_24adjacent_difference_implIS3_Lb1ELb0EPKiPiN6thrust23THRUST_200600_302600_NS4plusIiEEEE10hipError_tPvRmT2_T3_mT4_P12ihipStream_tbEUlmE_iEESD_NS0_8identityIvEEEESI_SL_SM_mSN_SP_bEUlT_E_NS1_11comp_targetILNS1_3genE5ELNS1_11target_archE942ELNS1_3gpuE9ELNS1_3repE0EEENS1_30default_config_static_selectorELNS0_4arch9wavefront6targetE1EEEvT1_,"axG",@progbits,_ZN7rocprim17ROCPRIM_400000_NS6detail17trampoline_kernelINS0_14default_configENS1_25transform_config_selectorIiLb0EEEZNS1_14transform_implILb0ES3_S5_NS0_18transform_iteratorINS0_17counting_iteratorImlEEZNS1_24adjacent_difference_implIS3_Lb1ELb0EPKiPiN6thrust23THRUST_200600_302600_NS4plusIiEEEE10hipError_tPvRmT2_T3_mT4_P12ihipStream_tbEUlmE_iEESD_NS0_8identityIvEEEESI_SL_SM_mSN_SP_bEUlT_E_NS1_11comp_targetILNS1_3genE5ELNS1_11target_archE942ELNS1_3gpuE9ELNS1_3repE0EEENS1_30default_config_static_selectorELNS0_4arch9wavefront6targetE1EEEvT1_,comdat
.Lfunc_end575:
	.size	_ZN7rocprim17ROCPRIM_400000_NS6detail17trampoline_kernelINS0_14default_configENS1_25transform_config_selectorIiLb0EEEZNS1_14transform_implILb0ES3_S5_NS0_18transform_iteratorINS0_17counting_iteratorImlEEZNS1_24adjacent_difference_implIS3_Lb1ELb0EPKiPiN6thrust23THRUST_200600_302600_NS4plusIiEEEE10hipError_tPvRmT2_T3_mT4_P12ihipStream_tbEUlmE_iEESD_NS0_8identityIvEEEESI_SL_SM_mSN_SP_bEUlT_E_NS1_11comp_targetILNS1_3genE5ELNS1_11target_archE942ELNS1_3gpuE9ELNS1_3repE0EEENS1_30default_config_static_selectorELNS0_4arch9wavefront6targetE1EEEvT1_, .Lfunc_end575-_ZN7rocprim17ROCPRIM_400000_NS6detail17trampoline_kernelINS0_14default_configENS1_25transform_config_selectorIiLb0EEEZNS1_14transform_implILb0ES3_S5_NS0_18transform_iteratorINS0_17counting_iteratorImlEEZNS1_24adjacent_difference_implIS3_Lb1ELb0EPKiPiN6thrust23THRUST_200600_302600_NS4plusIiEEEE10hipError_tPvRmT2_T3_mT4_P12ihipStream_tbEUlmE_iEESD_NS0_8identityIvEEEESI_SL_SM_mSN_SP_bEUlT_E_NS1_11comp_targetILNS1_3genE5ELNS1_11target_archE942ELNS1_3gpuE9ELNS1_3repE0EEENS1_30default_config_static_selectorELNS0_4arch9wavefront6targetE1EEEvT1_
                                        ; -- End function
	.section	.AMDGPU.csdata,"",@progbits
; Kernel info:
; codeLenInByte = 0
; NumSgprs: 4
; NumVgprs: 0
; NumAgprs: 0
; TotalNumVgprs: 0
; ScratchSize: 0
; MemoryBound: 0
; FloatMode: 240
; IeeeMode: 1
; LDSByteSize: 0 bytes/workgroup (compile time only)
; SGPRBlocks: 0
; VGPRBlocks: 0
; NumSGPRsForWavesPerEU: 4
; NumVGPRsForWavesPerEU: 1
; AccumOffset: 4
; Occupancy: 8
; WaveLimiterHint : 0
; COMPUTE_PGM_RSRC2:SCRATCH_EN: 0
; COMPUTE_PGM_RSRC2:USER_SGPR: 6
; COMPUTE_PGM_RSRC2:TRAP_HANDLER: 0
; COMPUTE_PGM_RSRC2:TGID_X_EN: 1
; COMPUTE_PGM_RSRC2:TGID_Y_EN: 0
; COMPUTE_PGM_RSRC2:TGID_Z_EN: 0
; COMPUTE_PGM_RSRC2:TIDIG_COMP_CNT: 0
; COMPUTE_PGM_RSRC3_GFX90A:ACCUM_OFFSET: 0
; COMPUTE_PGM_RSRC3_GFX90A:TG_SPLIT: 0
	.section	.text._ZN7rocprim17ROCPRIM_400000_NS6detail17trampoline_kernelINS0_14default_configENS1_25transform_config_selectorIiLb0EEEZNS1_14transform_implILb0ES3_S5_NS0_18transform_iteratorINS0_17counting_iteratorImlEEZNS1_24adjacent_difference_implIS3_Lb1ELb0EPKiPiN6thrust23THRUST_200600_302600_NS4plusIiEEEE10hipError_tPvRmT2_T3_mT4_P12ihipStream_tbEUlmE_iEESD_NS0_8identityIvEEEESI_SL_SM_mSN_SP_bEUlT_E_NS1_11comp_targetILNS1_3genE4ELNS1_11target_archE910ELNS1_3gpuE8ELNS1_3repE0EEENS1_30default_config_static_selectorELNS0_4arch9wavefront6targetE1EEEvT1_,"axG",@progbits,_ZN7rocprim17ROCPRIM_400000_NS6detail17trampoline_kernelINS0_14default_configENS1_25transform_config_selectorIiLb0EEEZNS1_14transform_implILb0ES3_S5_NS0_18transform_iteratorINS0_17counting_iteratorImlEEZNS1_24adjacent_difference_implIS3_Lb1ELb0EPKiPiN6thrust23THRUST_200600_302600_NS4plusIiEEEE10hipError_tPvRmT2_T3_mT4_P12ihipStream_tbEUlmE_iEESD_NS0_8identityIvEEEESI_SL_SM_mSN_SP_bEUlT_E_NS1_11comp_targetILNS1_3genE4ELNS1_11target_archE910ELNS1_3gpuE8ELNS1_3repE0EEENS1_30default_config_static_selectorELNS0_4arch9wavefront6targetE1EEEvT1_,comdat
	.protected	_ZN7rocprim17ROCPRIM_400000_NS6detail17trampoline_kernelINS0_14default_configENS1_25transform_config_selectorIiLb0EEEZNS1_14transform_implILb0ES3_S5_NS0_18transform_iteratorINS0_17counting_iteratorImlEEZNS1_24adjacent_difference_implIS3_Lb1ELb0EPKiPiN6thrust23THRUST_200600_302600_NS4plusIiEEEE10hipError_tPvRmT2_T3_mT4_P12ihipStream_tbEUlmE_iEESD_NS0_8identityIvEEEESI_SL_SM_mSN_SP_bEUlT_E_NS1_11comp_targetILNS1_3genE4ELNS1_11target_archE910ELNS1_3gpuE8ELNS1_3repE0EEENS1_30default_config_static_selectorELNS0_4arch9wavefront6targetE1EEEvT1_ ; -- Begin function _ZN7rocprim17ROCPRIM_400000_NS6detail17trampoline_kernelINS0_14default_configENS1_25transform_config_selectorIiLb0EEEZNS1_14transform_implILb0ES3_S5_NS0_18transform_iteratorINS0_17counting_iteratorImlEEZNS1_24adjacent_difference_implIS3_Lb1ELb0EPKiPiN6thrust23THRUST_200600_302600_NS4plusIiEEEE10hipError_tPvRmT2_T3_mT4_P12ihipStream_tbEUlmE_iEESD_NS0_8identityIvEEEESI_SL_SM_mSN_SP_bEUlT_E_NS1_11comp_targetILNS1_3genE4ELNS1_11target_archE910ELNS1_3gpuE8ELNS1_3repE0EEENS1_30default_config_static_selectorELNS0_4arch9wavefront6targetE1EEEvT1_
	.globl	_ZN7rocprim17ROCPRIM_400000_NS6detail17trampoline_kernelINS0_14default_configENS1_25transform_config_selectorIiLb0EEEZNS1_14transform_implILb0ES3_S5_NS0_18transform_iteratorINS0_17counting_iteratorImlEEZNS1_24adjacent_difference_implIS3_Lb1ELb0EPKiPiN6thrust23THRUST_200600_302600_NS4plusIiEEEE10hipError_tPvRmT2_T3_mT4_P12ihipStream_tbEUlmE_iEESD_NS0_8identityIvEEEESI_SL_SM_mSN_SP_bEUlT_E_NS1_11comp_targetILNS1_3genE4ELNS1_11target_archE910ELNS1_3gpuE8ELNS1_3repE0EEENS1_30default_config_static_selectorELNS0_4arch9wavefront6targetE1EEEvT1_
	.p2align	8
	.type	_ZN7rocprim17ROCPRIM_400000_NS6detail17trampoline_kernelINS0_14default_configENS1_25transform_config_selectorIiLb0EEEZNS1_14transform_implILb0ES3_S5_NS0_18transform_iteratorINS0_17counting_iteratorImlEEZNS1_24adjacent_difference_implIS3_Lb1ELb0EPKiPiN6thrust23THRUST_200600_302600_NS4plusIiEEEE10hipError_tPvRmT2_T3_mT4_P12ihipStream_tbEUlmE_iEESD_NS0_8identityIvEEEESI_SL_SM_mSN_SP_bEUlT_E_NS1_11comp_targetILNS1_3genE4ELNS1_11target_archE910ELNS1_3gpuE8ELNS1_3repE0EEENS1_30default_config_static_selectorELNS0_4arch9wavefront6targetE1EEEvT1_,@function
_ZN7rocprim17ROCPRIM_400000_NS6detail17trampoline_kernelINS0_14default_configENS1_25transform_config_selectorIiLb0EEEZNS1_14transform_implILb0ES3_S5_NS0_18transform_iteratorINS0_17counting_iteratorImlEEZNS1_24adjacent_difference_implIS3_Lb1ELb0EPKiPiN6thrust23THRUST_200600_302600_NS4plusIiEEEE10hipError_tPvRmT2_T3_mT4_P12ihipStream_tbEUlmE_iEESD_NS0_8identityIvEEEESI_SL_SM_mSN_SP_bEUlT_E_NS1_11comp_targetILNS1_3genE4ELNS1_11target_archE910ELNS1_3gpuE8ELNS1_3repE0EEENS1_30default_config_static_selectorELNS0_4arch9wavefront6targetE1EEEvT1_: ; @_ZN7rocprim17ROCPRIM_400000_NS6detail17trampoline_kernelINS0_14default_configENS1_25transform_config_selectorIiLb0EEEZNS1_14transform_implILb0ES3_S5_NS0_18transform_iteratorINS0_17counting_iteratorImlEEZNS1_24adjacent_difference_implIS3_Lb1ELb0EPKiPiN6thrust23THRUST_200600_302600_NS4plusIiEEEE10hipError_tPvRmT2_T3_mT4_P12ihipStream_tbEUlmE_iEESD_NS0_8identityIvEEEESI_SL_SM_mSN_SP_bEUlT_E_NS1_11comp_targetILNS1_3genE4ELNS1_11target_archE910ELNS1_3gpuE8ELNS1_3repE0EEENS1_30default_config_static_selectorELNS0_4arch9wavefront6targetE1EEEvT1_
; %bb.0:
	s_load_dwordx4 s[0:3], s[4:5], 0x18
	s_load_dwordx2 s[14:15], s[4:5], 0x28
	s_load_dwordx4 s[8:11], s[4:5], 0x0
	s_load_dword s12, s[4:5], 0x10
	s_waitcnt lgkmcnt(0)
	s_load_dword s3, s[4:5], 0x38
                                        ; kill: killed $sgpr4_sgpr5
	s_lshl_b64 s[4:5], s[0:1], 2
	s_add_u32 s14, s14, s4
	s_addc_u32 s15, s15, s5
	s_lshl_b32 s4, s6, 11
	s_waitcnt lgkmcnt(0)
	s_add_i32 s3, s3, -1
	s_add_u32 s7, s8, s4
	s_addc_u32 s8, s9, 0
	s_add_u32 s16, s7, s0
	s_addc_u32 s17, s8, s1
	s_mov_b32 s5, 0
	s_cmp_lg_u32 s6, s3
	v_lshlrev_b32_e32 v1, 2, v0
	s_cbranch_scc0 .LBB576_2
; %bb.1:
	v_mov_b32_e32 v2, s17
	v_add_co_u32_e32 v3, vcc, s16, v0
	v_addc_co_u32_e32 v5, vcc, 0, v2, vcc
	v_mad_u64_u32 v[2:3], s[0:1], v3, s12, 0
	v_mov_b32_e32 v4, v3
	v_mad_u64_u32 v[4:5], s[0:1], v5, s12, v[4:5]
	v_mov_b32_e32 v3, v4
	v_lshlrev_b64 v[2:3], 2, v[2:3]
	s_mov_b32 s13, s5
	v_mov_b32_e32 v4, s11
	v_add_co_u32_e32 v2, vcc, s10, v2
	v_addc_co_u32_e32 v3, vcc, v4, v3, vcc
	s_lshl_b64 s[0:1], s[12:13], 12
	global_load_dword v6, v[2:3], off
	v_mov_b32_e32 v4, s1
	v_add_co_u32_e32 v2, vcc, s0, v2
	v_addc_co_u32_e32 v3, vcc, v3, v4, vcc
	global_load_dword v3, v[2:3], off
	s_lshl_b64 s[6:7], s[4:5], 2
	s_add_u32 s6, s14, s6
	s_addc_u32 s7, s15, s7
	v_mov_b32_e32 v2, s7
	v_add_co_u32_e32 v4, vcc, s6, v1
	v_addc_co_u32_e32 v5, vcc, 0, v2, vcc
	s_waitcnt vmcnt(1)
	global_store_dword v1, v6, s[6:7]
	s_mov_b64 s[6:7], -1
	s_cbranch_execz .LBB576_3
	s_branch .LBB576_12
.LBB576_2:
	s_mov_b64 s[6:7], 0
                                        ; implicit-def: $vgpr3
                                        ; implicit-def: $vgpr4_vgpr5
.LBB576_3:
	s_sub_i32 s8, s2, s4
	v_cmp_gt_u32_e32 vcc, s8, v0
                                        ; implicit-def: $vgpr2_vgpr3
	s_and_saveexec_b64 s[2:3], vcc
	s_cbranch_execz .LBB576_5
; %bb.4:
	v_mov_b32_e32 v2, s17
	s_waitcnt vmcnt(1)
	v_add_co_u32_e64 v3, s[0:1], s16, v0
	v_addc_co_u32_e64 v5, s[0:1], 0, v2, s[0:1]
	v_mad_u64_u32 v[2:3], s[0:1], v3, s12, 0
	v_mov_b32_e32 v4, v3
	v_mad_u64_u32 v[4:5], s[0:1], v5, s12, v[4:5]
	v_mov_b32_e32 v3, v4
	v_lshlrev_b64 v[2:3], 2, v[2:3]
	v_mov_b32_e32 v4, s11
	v_add_co_u32_e64 v2, s[0:1], s10, v2
	v_addc_co_u32_e64 v3, s[0:1], v4, v3, s[0:1]
	global_load_dword v2, v[2:3], off
.LBB576_5:
	s_or_b64 exec, exec, s[2:3]
	v_or_b32_e32 v0, 0x400, v0
	v_cmp_gt_u32_e64 s[0:1], s8, v0
	s_and_saveexec_b64 s[8:9], s[0:1]
	s_cbranch_execz .LBB576_7
; %bb.6:
	s_waitcnt vmcnt(1)
	v_mov_b32_e32 v3, s17
	v_add_co_u32_e64 v0, s[2:3], s16, v0
	v_addc_co_u32_e64 v3, s[2:3], 0, v3, s[2:3]
	v_mad_u64_u32 v[4:5], s[2:3], v0, s12, 0
	v_mov_b32_e32 v0, v5
	v_mad_u64_u32 v[6:7], s[2:3], v3, s12, v[0:1]
	v_mov_b32_e32 v5, v6
	v_lshlrev_b64 v[4:5], 2, v[4:5]
	v_mov_b32_e32 v0, s11
	v_add_co_u32_e64 v4, s[2:3], s10, v4
	v_addc_co_u32_e64 v5, s[2:3], v0, v5, s[2:3]
	global_load_dword v3, v[4:5], off
.LBB576_7:
	s_or_b64 exec, exec, s[8:9]
	s_lshl_b64 s[2:3], s[4:5], 2
	s_add_u32 s2, s14, s2
	s_addc_u32 s3, s15, s3
	v_mov_b32_e32 v0, s3
	v_add_co_u32_e64 v4, s[2:3], s2, v1
	v_addc_co_u32_e64 v5, s[2:3], 0, v0, s[2:3]
	s_and_saveexec_b64 s[2:3], vcc
	s_cbranch_execz .LBB576_9
; %bb.8:
	s_waitcnt vmcnt(0)
	global_store_dword v[4:5], v2, off
.LBB576_9:
	s_or_b64 exec, exec, s[2:3]
	s_and_saveexec_b64 s[2:3], s[0:1]
; %bb.10:
	s_or_b64 s[6:7], s[6:7], exec
; %bb.11:
	s_or_b64 exec, exec, s[2:3]
.LBB576_12:
	s_and_saveexec_b64 s[0:1], s[6:7]
	s_cbranch_execnz .LBB576_14
; %bb.13:
	s_endpgm
.LBB576_14:
	v_add_co_u32_e32 v0, vcc, 0x1000, v4
	v_addc_co_u32_e32 v1, vcc, 0, v5, vcc
	s_waitcnt vmcnt(0)
	global_store_dword v[0:1], v3, off
	s_endpgm
	.section	.rodata,"a",@progbits
	.p2align	6, 0x0
	.amdhsa_kernel _ZN7rocprim17ROCPRIM_400000_NS6detail17trampoline_kernelINS0_14default_configENS1_25transform_config_selectorIiLb0EEEZNS1_14transform_implILb0ES3_S5_NS0_18transform_iteratorINS0_17counting_iteratorImlEEZNS1_24adjacent_difference_implIS3_Lb1ELb0EPKiPiN6thrust23THRUST_200600_302600_NS4plusIiEEEE10hipError_tPvRmT2_T3_mT4_P12ihipStream_tbEUlmE_iEESD_NS0_8identityIvEEEESI_SL_SM_mSN_SP_bEUlT_E_NS1_11comp_targetILNS1_3genE4ELNS1_11target_archE910ELNS1_3gpuE8ELNS1_3repE0EEENS1_30default_config_static_selectorELNS0_4arch9wavefront6targetE1EEEvT1_
		.amdhsa_group_segment_fixed_size 0
		.amdhsa_private_segment_fixed_size 0
		.amdhsa_kernarg_size 312
		.amdhsa_user_sgpr_count 6
		.amdhsa_user_sgpr_private_segment_buffer 1
		.amdhsa_user_sgpr_dispatch_ptr 0
		.amdhsa_user_sgpr_queue_ptr 0
		.amdhsa_user_sgpr_kernarg_segment_ptr 1
		.amdhsa_user_sgpr_dispatch_id 0
		.amdhsa_user_sgpr_flat_scratch_init 0
		.amdhsa_user_sgpr_kernarg_preload_length 0
		.amdhsa_user_sgpr_kernarg_preload_offset 0
		.amdhsa_user_sgpr_private_segment_size 0
		.amdhsa_uses_dynamic_stack 0
		.amdhsa_system_sgpr_private_segment_wavefront_offset 0
		.amdhsa_system_sgpr_workgroup_id_x 1
		.amdhsa_system_sgpr_workgroup_id_y 0
		.amdhsa_system_sgpr_workgroup_id_z 0
		.amdhsa_system_sgpr_workgroup_info 0
		.amdhsa_system_vgpr_workitem_id 0
		.amdhsa_next_free_vgpr 8
		.amdhsa_next_free_sgpr 18
		.amdhsa_accum_offset 8
		.amdhsa_reserve_vcc 1
		.amdhsa_reserve_flat_scratch 0
		.amdhsa_float_round_mode_32 0
		.amdhsa_float_round_mode_16_64 0
		.amdhsa_float_denorm_mode_32 3
		.amdhsa_float_denorm_mode_16_64 3
		.amdhsa_dx10_clamp 1
		.amdhsa_ieee_mode 1
		.amdhsa_fp16_overflow 0
		.amdhsa_tg_split 0
		.amdhsa_exception_fp_ieee_invalid_op 0
		.amdhsa_exception_fp_denorm_src 0
		.amdhsa_exception_fp_ieee_div_zero 0
		.amdhsa_exception_fp_ieee_overflow 0
		.amdhsa_exception_fp_ieee_underflow 0
		.amdhsa_exception_fp_ieee_inexact 0
		.amdhsa_exception_int_div_zero 0
	.end_amdhsa_kernel
	.section	.text._ZN7rocprim17ROCPRIM_400000_NS6detail17trampoline_kernelINS0_14default_configENS1_25transform_config_selectorIiLb0EEEZNS1_14transform_implILb0ES3_S5_NS0_18transform_iteratorINS0_17counting_iteratorImlEEZNS1_24adjacent_difference_implIS3_Lb1ELb0EPKiPiN6thrust23THRUST_200600_302600_NS4plusIiEEEE10hipError_tPvRmT2_T3_mT4_P12ihipStream_tbEUlmE_iEESD_NS0_8identityIvEEEESI_SL_SM_mSN_SP_bEUlT_E_NS1_11comp_targetILNS1_3genE4ELNS1_11target_archE910ELNS1_3gpuE8ELNS1_3repE0EEENS1_30default_config_static_selectorELNS0_4arch9wavefront6targetE1EEEvT1_,"axG",@progbits,_ZN7rocprim17ROCPRIM_400000_NS6detail17trampoline_kernelINS0_14default_configENS1_25transform_config_selectorIiLb0EEEZNS1_14transform_implILb0ES3_S5_NS0_18transform_iteratorINS0_17counting_iteratorImlEEZNS1_24adjacent_difference_implIS3_Lb1ELb0EPKiPiN6thrust23THRUST_200600_302600_NS4plusIiEEEE10hipError_tPvRmT2_T3_mT4_P12ihipStream_tbEUlmE_iEESD_NS0_8identityIvEEEESI_SL_SM_mSN_SP_bEUlT_E_NS1_11comp_targetILNS1_3genE4ELNS1_11target_archE910ELNS1_3gpuE8ELNS1_3repE0EEENS1_30default_config_static_selectorELNS0_4arch9wavefront6targetE1EEEvT1_,comdat
.Lfunc_end576:
	.size	_ZN7rocprim17ROCPRIM_400000_NS6detail17trampoline_kernelINS0_14default_configENS1_25transform_config_selectorIiLb0EEEZNS1_14transform_implILb0ES3_S5_NS0_18transform_iteratorINS0_17counting_iteratorImlEEZNS1_24adjacent_difference_implIS3_Lb1ELb0EPKiPiN6thrust23THRUST_200600_302600_NS4plusIiEEEE10hipError_tPvRmT2_T3_mT4_P12ihipStream_tbEUlmE_iEESD_NS0_8identityIvEEEESI_SL_SM_mSN_SP_bEUlT_E_NS1_11comp_targetILNS1_3genE4ELNS1_11target_archE910ELNS1_3gpuE8ELNS1_3repE0EEENS1_30default_config_static_selectorELNS0_4arch9wavefront6targetE1EEEvT1_, .Lfunc_end576-_ZN7rocprim17ROCPRIM_400000_NS6detail17trampoline_kernelINS0_14default_configENS1_25transform_config_selectorIiLb0EEEZNS1_14transform_implILb0ES3_S5_NS0_18transform_iteratorINS0_17counting_iteratorImlEEZNS1_24adjacent_difference_implIS3_Lb1ELb0EPKiPiN6thrust23THRUST_200600_302600_NS4plusIiEEEE10hipError_tPvRmT2_T3_mT4_P12ihipStream_tbEUlmE_iEESD_NS0_8identityIvEEEESI_SL_SM_mSN_SP_bEUlT_E_NS1_11comp_targetILNS1_3genE4ELNS1_11target_archE910ELNS1_3gpuE8ELNS1_3repE0EEENS1_30default_config_static_selectorELNS0_4arch9wavefront6targetE1EEEvT1_
                                        ; -- End function
	.section	.AMDGPU.csdata,"",@progbits
; Kernel info:
; codeLenInByte = 568
; NumSgprs: 22
; NumVgprs: 8
; NumAgprs: 0
; TotalNumVgprs: 8
; ScratchSize: 0
; MemoryBound: 0
; FloatMode: 240
; IeeeMode: 1
; LDSByteSize: 0 bytes/workgroup (compile time only)
; SGPRBlocks: 2
; VGPRBlocks: 0
; NumSGPRsForWavesPerEU: 22
; NumVGPRsForWavesPerEU: 8
; AccumOffset: 8
; Occupancy: 8
; WaveLimiterHint : 0
; COMPUTE_PGM_RSRC2:SCRATCH_EN: 0
; COMPUTE_PGM_RSRC2:USER_SGPR: 6
; COMPUTE_PGM_RSRC2:TRAP_HANDLER: 0
; COMPUTE_PGM_RSRC2:TGID_X_EN: 1
; COMPUTE_PGM_RSRC2:TGID_Y_EN: 0
; COMPUTE_PGM_RSRC2:TGID_Z_EN: 0
; COMPUTE_PGM_RSRC2:TIDIG_COMP_CNT: 0
; COMPUTE_PGM_RSRC3_GFX90A:ACCUM_OFFSET: 1
; COMPUTE_PGM_RSRC3_GFX90A:TG_SPLIT: 0
	.section	.text._ZN7rocprim17ROCPRIM_400000_NS6detail17trampoline_kernelINS0_14default_configENS1_25transform_config_selectorIiLb0EEEZNS1_14transform_implILb0ES3_S5_NS0_18transform_iteratorINS0_17counting_iteratorImlEEZNS1_24adjacent_difference_implIS3_Lb1ELb0EPKiPiN6thrust23THRUST_200600_302600_NS4plusIiEEEE10hipError_tPvRmT2_T3_mT4_P12ihipStream_tbEUlmE_iEESD_NS0_8identityIvEEEESI_SL_SM_mSN_SP_bEUlT_E_NS1_11comp_targetILNS1_3genE3ELNS1_11target_archE908ELNS1_3gpuE7ELNS1_3repE0EEENS1_30default_config_static_selectorELNS0_4arch9wavefront6targetE1EEEvT1_,"axG",@progbits,_ZN7rocprim17ROCPRIM_400000_NS6detail17trampoline_kernelINS0_14default_configENS1_25transform_config_selectorIiLb0EEEZNS1_14transform_implILb0ES3_S5_NS0_18transform_iteratorINS0_17counting_iteratorImlEEZNS1_24adjacent_difference_implIS3_Lb1ELb0EPKiPiN6thrust23THRUST_200600_302600_NS4plusIiEEEE10hipError_tPvRmT2_T3_mT4_P12ihipStream_tbEUlmE_iEESD_NS0_8identityIvEEEESI_SL_SM_mSN_SP_bEUlT_E_NS1_11comp_targetILNS1_3genE3ELNS1_11target_archE908ELNS1_3gpuE7ELNS1_3repE0EEENS1_30default_config_static_selectorELNS0_4arch9wavefront6targetE1EEEvT1_,comdat
	.protected	_ZN7rocprim17ROCPRIM_400000_NS6detail17trampoline_kernelINS0_14default_configENS1_25transform_config_selectorIiLb0EEEZNS1_14transform_implILb0ES3_S5_NS0_18transform_iteratorINS0_17counting_iteratorImlEEZNS1_24adjacent_difference_implIS3_Lb1ELb0EPKiPiN6thrust23THRUST_200600_302600_NS4plusIiEEEE10hipError_tPvRmT2_T3_mT4_P12ihipStream_tbEUlmE_iEESD_NS0_8identityIvEEEESI_SL_SM_mSN_SP_bEUlT_E_NS1_11comp_targetILNS1_3genE3ELNS1_11target_archE908ELNS1_3gpuE7ELNS1_3repE0EEENS1_30default_config_static_selectorELNS0_4arch9wavefront6targetE1EEEvT1_ ; -- Begin function _ZN7rocprim17ROCPRIM_400000_NS6detail17trampoline_kernelINS0_14default_configENS1_25transform_config_selectorIiLb0EEEZNS1_14transform_implILb0ES3_S5_NS0_18transform_iteratorINS0_17counting_iteratorImlEEZNS1_24adjacent_difference_implIS3_Lb1ELb0EPKiPiN6thrust23THRUST_200600_302600_NS4plusIiEEEE10hipError_tPvRmT2_T3_mT4_P12ihipStream_tbEUlmE_iEESD_NS0_8identityIvEEEESI_SL_SM_mSN_SP_bEUlT_E_NS1_11comp_targetILNS1_3genE3ELNS1_11target_archE908ELNS1_3gpuE7ELNS1_3repE0EEENS1_30default_config_static_selectorELNS0_4arch9wavefront6targetE1EEEvT1_
	.globl	_ZN7rocprim17ROCPRIM_400000_NS6detail17trampoline_kernelINS0_14default_configENS1_25transform_config_selectorIiLb0EEEZNS1_14transform_implILb0ES3_S5_NS0_18transform_iteratorINS0_17counting_iteratorImlEEZNS1_24adjacent_difference_implIS3_Lb1ELb0EPKiPiN6thrust23THRUST_200600_302600_NS4plusIiEEEE10hipError_tPvRmT2_T3_mT4_P12ihipStream_tbEUlmE_iEESD_NS0_8identityIvEEEESI_SL_SM_mSN_SP_bEUlT_E_NS1_11comp_targetILNS1_3genE3ELNS1_11target_archE908ELNS1_3gpuE7ELNS1_3repE0EEENS1_30default_config_static_selectorELNS0_4arch9wavefront6targetE1EEEvT1_
	.p2align	8
	.type	_ZN7rocprim17ROCPRIM_400000_NS6detail17trampoline_kernelINS0_14default_configENS1_25transform_config_selectorIiLb0EEEZNS1_14transform_implILb0ES3_S5_NS0_18transform_iteratorINS0_17counting_iteratorImlEEZNS1_24adjacent_difference_implIS3_Lb1ELb0EPKiPiN6thrust23THRUST_200600_302600_NS4plusIiEEEE10hipError_tPvRmT2_T3_mT4_P12ihipStream_tbEUlmE_iEESD_NS0_8identityIvEEEESI_SL_SM_mSN_SP_bEUlT_E_NS1_11comp_targetILNS1_3genE3ELNS1_11target_archE908ELNS1_3gpuE7ELNS1_3repE0EEENS1_30default_config_static_selectorELNS0_4arch9wavefront6targetE1EEEvT1_,@function
_ZN7rocprim17ROCPRIM_400000_NS6detail17trampoline_kernelINS0_14default_configENS1_25transform_config_selectorIiLb0EEEZNS1_14transform_implILb0ES3_S5_NS0_18transform_iteratorINS0_17counting_iteratorImlEEZNS1_24adjacent_difference_implIS3_Lb1ELb0EPKiPiN6thrust23THRUST_200600_302600_NS4plusIiEEEE10hipError_tPvRmT2_T3_mT4_P12ihipStream_tbEUlmE_iEESD_NS0_8identityIvEEEESI_SL_SM_mSN_SP_bEUlT_E_NS1_11comp_targetILNS1_3genE3ELNS1_11target_archE908ELNS1_3gpuE7ELNS1_3repE0EEENS1_30default_config_static_selectorELNS0_4arch9wavefront6targetE1EEEvT1_: ; @_ZN7rocprim17ROCPRIM_400000_NS6detail17trampoline_kernelINS0_14default_configENS1_25transform_config_selectorIiLb0EEEZNS1_14transform_implILb0ES3_S5_NS0_18transform_iteratorINS0_17counting_iteratorImlEEZNS1_24adjacent_difference_implIS3_Lb1ELb0EPKiPiN6thrust23THRUST_200600_302600_NS4plusIiEEEE10hipError_tPvRmT2_T3_mT4_P12ihipStream_tbEUlmE_iEESD_NS0_8identityIvEEEESI_SL_SM_mSN_SP_bEUlT_E_NS1_11comp_targetILNS1_3genE3ELNS1_11target_archE908ELNS1_3gpuE7ELNS1_3repE0EEENS1_30default_config_static_selectorELNS0_4arch9wavefront6targetE1EEEvT1_
; %bb.0:
	.section	.rodata,"a",@progbits
	.p2align	6, 0x0
	.amdhsa_kernel _ZN7rocprim17ROCPRIM_400000_NS6detail17trampoline_kernelINS0_14default_configENS1_25transform_config_selectorIiLb0EEEZNS1_14transform_implILb0ES3_S5_NS0_18transform_iteratorINS0_17counting_iteratorImlEEZNS1_24adjacent_difference_implIS3_Lb1ELb0EPKiPiN6thrust23THRUST_200600_302600_NS4plusIiEEEE10hipError_tPvRmT2_T3_mT4_P12ihipStream_tbEUlmE_iEESD_NS0_8identityIvEEEESI_SL_SM_mSN_SP_bEUlT_E_NS1_11comp_targetILNS1_3genE3ELNS1_11target_archE908ELNS1_3gpuE7ELNS1_3repE0EEENS1_30default_config_static_selectorELNS0_4arch9wavefront6targetE1EEEvT1_
		.amdhsa_group_segment_fixed_size 0
		.amdhsa_private_segment_fixed_size 0
		.amdhsa_kernarg_size 56
		.amdhsa_user_sgpr_count 6
		.amdhsa_user_sgpr_private_segment_buffer 1
		.amdhsa_user_sgpr_dispatch_ptr 0
		.amdhsa_user_sgpr_queue_ptr 0
		.amdhsa_user_sgpr_kernarg_segment_ptr 1
		.amdhsa_user_sgpr_dispatch_id 0
		.amdhsa_user_sgpr_flat_scratch_init 0
		.amdhsa_user_sgpr_kernarg_preload_length 0
		.amdhsa_user_sgpr_kernarg_preload_offset 0
		.amdhsa_user_sgpr_private_segment_size 0
		.amdhsa_uses_dynamic_stack 0
		.amdhsa_system_sgpr_private_segment_wavefront_offset 0
		.amdhsa_system_sgpr_workgroup_id_x 1
		.amdhsa_system_sgpr_workgroup_id_y 0
		.amdhsa_system_sgpr_workgroup_id_z 0
		.amdhsa_system_sgpr_workgroup_info 0
		.amdhsa_system_vgpr_workitem_id 0
		.amdhsa_next_free_vgpr 1
		.amdhsa_next_free_sgpr 0
		.amdhsa_accum_offset 4
		.amdhsa_reserve_vcc 0
		.amdhsa_reserve_flat_scratch 0
		.amdhsa_float_round_mode_32 0
		.amdhsa_float_round_mode_16_64 0
		.amdhsa_float_denorm_mode_32 3
		.amdhsa_float_denorm_mode_16_64 3
		.amdhsa_dx10_clamp 1
		.amdhsa_ieee_mode 1
		.amdhsa_fp16_overflow 0
		.amdhsa_tg_split 0
		.amdhsa_exception_fp_ieee_invalid_op 0
		.amdhsa_exception_fp_denorm_src 0
		.amdhsa_exception_fp_ieee_div_zero 0
		.amdhsa_exception_fp_ieee_overflow 0
		.amdhsa_exception_fp_ieee_underflow 0
		.amdhsa_exception_fp_ieee_inexact 0
		.amdhsa_exception_int_div_zero 0
	.end_amdhsa_kernel
	.section	.text._ZN7rocprim17ROCPRIM_400000_NS6detail17trampoline_kernelINS0_14default_configENS1_25transform_config_selectorIiLb0EEEZNS1_14transform_implILb0ES3_S5_NS0_18transform_iteratorINS0_17counting_iteratorImlEEZNS1_24adjacent_difference_implIS3_Lb1ELb0EPKiPiN6thrust23THRUST_200600_302600_NS4plusIiEEEE10hipError_tPvRmT2_T3_mT4_P12ihipStream_tbEUlmE_iEESD_NS0_8identityIvEEEESI_SL_SM_mSN_SP_bEUlT_E_NS1_11comp_targetILNS1_3genE3ELNS1_11target_archE908ELNS1_3gpuE7ELNS1_3repE0EEENS1_30default_config_static_selectorELNS0_4arch9wavefront6targetE1EEEvT1_,"axG",@progbits,_ZN7rocprim17ROCPRIM_400000_NS6detail17trampoline_kernelINS0_14default_configENS1_25transform_config_selectorIiLb0EEEZNS1_14transform_implILb0ES3_S5_NS0_18transform_iteratorINS0_17counting_iteratorImlEEZNS1_24adjacent_difference_implIS3_Lb1ELb0EPKiPiN6thrust23THRUST_200600_302600_NS4plusIiEEEE10hipError_tPvRmT2_T3_mT4_P12ihipStream_tbEUlmE_iEESD_NS0_8identityIvEEEESI_SL_SM_mSN_SP_bEUlT_E_NS1_11comp_targetILNS1_3genE3ELNS1_11target_archE908ELNS1_3gpuE7ELNS1_3repE0EEENS1_30default_config_static_selectorELNS0_4arch9wavefront6targetE1EEEvT1_,comdat
.Lfunc_end577:
	.size	_ZN7rocprim17ROCPRIM_400000_NS6detail17trampoline_kernelINS0_14default_configENS1_25transform_config_selectorIiLb0EEEZNS1_14transform_implILb0ES3_S5_NS0_18transform_iteratorINS0_17counting_iteratorImlEEZNS1_24adjacent_difference_implIS3_Lb1ELb0EPKiPiN6thrust23THRUST_200600_302600_NS4plusIiEEEE10hipError_tPvRmT2_T3_mT4_P12ihipStream_tbEUlmE_iEESD_NS0_8identityIvEEEESI_SL_SM_mSN_SP_bEUlT_E_NS1_11comp_targetILNS1_3genE3ELNS1_11target_archE908ELNS1_3gpuE7ELNS1_3repE0EEENS1_30default_config_static_selectorELNS0_4arch9wavefront6targetE1EEEvT1_, .Lfunc_end577-_ZN7rocprim17ROCPRIM_400000_NS6detail17trampoline_kernelINS0_14default_configENS1_25transform_config_selectorIiLb0EEEZNS1_14transform_implILb0ES3_S5_NS0_18transform_iteratorINS0_17counting_iteratorImlEEZNS1_24adjacent_difference_implIS3_Lb1ELb0EPKiPiN6thrust23THRUST_200600_302600_NS4plusIiEEEE10hipError_tPvRmT2_T3_mT4_P12ihipStream_tbEUlmE_iEESD_NS0_8identityIvEEEESI_SL_SM_mSN_SP_bEUlT_E_NS1_11comp_targetILNS1_3genE3ELNS1_11target_archE908ELNS1_3gpuE7ELNS1_3repE0EEENS1_30default_config_static_selectorELNS0_4arch9wavefront6targetE1EEEvT1_
                                        ; -- End function
	.section	.AMDGPU.csdata,"",@progbits
; Kernel info:
; codeLenInByte = 0
; NumSgprs: 4
; NumVgprs: 0
; NumAgprs: 0
; TotalNumVgprs: 0
; ScratchSize: 0
; MemoryBound: 0
; FloatMode: 240
; IeeeMode: 1
; LDSByteSize: 0 bytes/workgroup (compile time only)
; SGPRBlocks: 0
; VGPRBlocks: 0
; NumSGPRsForWavesPerEU: 4
; NumVGPRsForWavesPerEU: 1
; AccumOffset: 4
; Occupancy: 8
; WaveLimiterHint : 0
; COMPUTE_PGM_RSRC2:SCRATCH_EN: 0
; COMPUTE_PGM_RSRC2:USER_SGPR: 6
; COMPUTE_PGM_RSRC2:TRAP_HANDLER: 0
; COMPUTE_PGM_RSRC2:TGID_X_EN: 1
; COMPUTE_PGM_RSRC2:TGID_Y_EN: 0
; COMPUTE_PGM_RSRC2:TGID_Z_EN: 0
; COMPUTE_PGM_RSRC2:TIDIG_COMP_CNT: 0
; COMPUTE_PGM_RSRC3_GFX90A:ACCUM_OFFSET: 0
; COMPUTE_PGM_RSRC3_GFX90A:TG_SPLIT: 0
	.section	.text._ZN7rocprim17ROCPRIM_400000_NS6detail17trampoline_kernelINS0_14default_configENS1_25transform_config_selectorIiLb0EEEZNS1_14transform_implILb0ES3_S5_NS0_18transform_iteratorINS0_17counting_iteratorImlEEZNS1_24adjacent_difference_implIS3_Lb1ELb0EPKiPiN6thrust23THRUST_200600_302600_NS4plusIiEEEE10hipError_tPvRmT2_T3_mT4_P12ihipStream_tbEUlmE_iEESD_NS0_8identityIvEEEESI_SL_SM_mSN_SP_bEUlT_E_NS1_11comp_targetILNS1_3genE2ELNS1_11target_archE906ELNS1_3gpuE6ELNS1_3repE0EEENS1_30default_config_static_selectorELNS0_4arch9wavefront6targetE1EEEvT1_,"axG",@progbits,_ZN7rocprim17ROCPRIM_400000_NS6detail17trampoline_kernelINS0_14default_configENS1_25transform_config_selectorIiLb0EEEZNS1_14transform_implILb0ES3_S5_NS0_18transform_iteratorINS0_17counting_iteratorImlEEZNS1_24adjacent_difference_implIS3_Lb1ELb0EPKiPiN6thrust23THRUST_200600_302600_NS4plusIiEEEE10hipError_tPvRmT2_T3_mT4_P12ihipStream_tbEUlmE_iEESD_NS0_8identityIvEEEESI_SL_SM_mSN_SP_bEUlT_E_NS1_11comp_targetILNS1_3genE2ELNS1_11target_archE906ELNS1_3gpuE6ELNS1_3repE0EEENS1_30default_config_static_selectorELNS0_4arch9wavefront6targetE1EEEvT1_,comdat
	.protected	_ZN7rocprim17ROCPRIM_400000_NS6detail17trampoline_kernelINS0_14default_configENS1_25transform_config_selectorIiLb0EEEZNS1_14transform_implILb0ES3_S5_NS0_18transform_iteratorINS0_17counting_iteratorImlEEZNS1_24adjacent_difference_implIS3_Lb1ELb0EPKiPiN6thrust23THRUST_200600_302600_NS4plusIiEEEE10hipError_tPvRmT2_T3_mT4_P12ihipStream_tbEUlmE_iEESD_NS0_8identityIvEEEESI_SL_SM_mSN_SP_bEUlT_E_NS1_11comp_targetILNS1_3genE2ELNS1_11target_archE906ELNS1_3gpuE6ELNS1_3repE0EEENS1_30default_config_static_selectorELNS0_4arch9wavefront6targetE1EEEvT1_ ; -- Begin function _ZN7rocprim17ROCPRIM_400000_NS6detail17trampoline_kernelINS0_14default_configENS1_25transform_config_selectorIiLb0EEEZNS1_14transform_implILb0ES3_S5_NS0_18transform_iteratorINS0_17counting_iteratorImlEEZNS1_24adjacent_difference_implIS3_Lb1ELb0EPKiPiN6thrust23THRUST_200600_302600_NS4plusIiEEEE10hipError_tPvRmT2_T3_mT4_P12ihipStream_tbEUlmE_iEESD_NS0_8identityIvEEEESI_SL_SM_mSN_SP_bEUlT_E_NS1_11comp_targetILNS1_3genE2ELNS1_11target_archE906ELNS1_3gpuE6ELNS1_3repE0EEENS1_30default_config_static_selectorELNS0_4arch9wavefront6targetE1EEEvT1_
	.globl	_ZN7rocprim17ROCPRIM_400000_NS6detail17trampoline_kernelINS0_14default_configENS1_25transform_config_selectorIiLb0EEEZNS1_14transform_implILb0ES3_S5_NS0_18transform_iteratorINS0_17counting_iteratorImlEEZNS1_24adjacent_difference_implIS3_Lb1ELb0EPKiPiN6thrust23THRUST_200600_302600_NS4plusIiEEEE10hipError_tPvRmT2_T3_mT4_P12ihipStream_tbEUlmE_iEESD_NS0_8identityIvEEEESI_SL_SM_mSN_SP_bEUlT_E_NS1_11comp_targetILNS1_3genE2ELNS1_11target_archE906ELNS1_3gpuE6ELNS1_3repE0EEENS1_30default_config_static_selectorELNS0_4arch9wavefront6targetE1EEEvT1_
	.p2align	8
	.type	_ZN7rocprim17ROCPRIM_400000_NS6detail17trampoline_kernelINS0_14default_configENS1_25transform_config_selectorIiLb0EEEZNS1_14transform_implILb0ES3_S5_NS0_18transform_iteratorINS0_17counting_iteratorImlEEZNS1_24adjacent_difference_implIS3_Lb1ELb0EPKiPiN6thrust23THRUST_200600_302600_NS4plusIiEEEE10hipError_tPvRmT2_T3_mT4_P12ihipStream_tbEUlmE_iEESD_NS0_8identityIvEEEESI_SL_SM_mSN_SP_bEUlT_E_NS1_11comp_targetILNS1_3genE2ELNS1_11target_archE906ELNS1_3gpuE6ELNS1_3repE0EEENS1_30default_config_static_selectorELNS0_4arch9wavefront6targetE1EEEvT1_,@function
_ZN7rocprim17ROCPRIM_400000_NS6detail17trampoline_kernelINS0_14default_configENS1_25transform_config_selectorIiLb0EEEZNS1_14transform_implILb0ES3_S5_NS0_18transform_iteratorINS0_17counting_iteratorImlEEZNS1_24adjacent_difference_implIS3_Lb1ELb0EPKiPiN6thrust23THRUST_200600_302600_NS4plusIiEEEE10hipError_tPvRmT2_T3_mT4_P12ihipStream_tbEUlmE_iEESD_NS0_8identityIvEEEESI_SL_SM_mSN_SP_bEUlT_E_NS1_11comp_targetILNS1_3genE2ELNS1_11target_archE906ELNS1_3gpuE6ELNS1_3repE0EEENS1_30default_config_static_selectorELNS0_4arch9wavefront6targetE1EEEvT1_: ; @_ZN7rocprim17ROCPRIM_400000_NS6detail17trampoline_kernelINS0_14default_configENS1_25transform_config_selectorIiLb0EEEZNS1_14transform_implILb0ES3_S5_NS0_18transform_iteratorINS0_17counting_iteratorImlEEZNS1_24adjacent_difference_implIS3_Lb1ELb0EPKiPiN6thrust23THRUST_200600_302600_NS4plusIiEEEE10hipError_tPvRmT2_T3_mT4_P12ihipStream_tbEUlmE_iEESD_NS0_8identityIvEEEESI_SL_SM_mSN_SP_bEUlT_E_NS1_11comp_targetILNS1_3genE2ELNS1_11target_archE906ELNS1_3gpuE6ELNS1_3repE0EEENS1_30default_config_static_selectorELNS0_4arch9wavefront6targetE1EEEvT1_
; %bb.0:
	.section	.rodata,"a",@progbits
	.p2align	6, 0x0
	.amdhsa_kernel _ZN7rocprim17ROCPRIM_400000_NS6detail17trampoline_kernelINS0_14default_configENS1_25transform_config_selectorIiLb0EEEZNS1_14transform_implILb0ES3_S5_NS0_18transform_iteratorINS0_17counting_iteratorImlEEZNS1_24adjacent_difference_implIS3_Lb1ELb0EPKiPiN6thrust23THRUST_200600_302600_NS4plusIiEEEE10hipError_tPvRmT2_T3_mT4_P12ihipStream_tbEUlmE_iEESD_NS0_8identityIvEEEESI_SL_SM_mSN_SP_bEUlT_E_NS1_11comp_targetILNS1_3genE2ELNS1_11target_archE906ELNS1_3gpuE6ELNS1_3repE0EEENS1_30default_config_static_selectorELNS0_4arch9wavefront6targetE1EEEvT1_
		.amdhsa_group_segment_fixed_size 0
		.amdhsa_private_segment_fixed_size 0
		.amdhsa_kernarg_size 56
		.amdhsa_user_sgpr_count 6
		.amdhsa_user_sgpr_private_segment_buffer 1
		.amdhsa_user_sgpr_dispatch_ptr 0
		.amdhsa_user_sgpr_queue_ptr 0
		.amdhsa_user_sgpr_kernarg_segment_ptr 1
		.amdhsa_user_sgpr_dispatch_id 0
		.amdhsa_user_sgpr_flat_scratch_init 0
		.amdhsa_user_sgpr_kernarg_preload_length 0
		.amdhsa_user_sgpr_kernarg_preload_offset 0
		.amdhsa_user_sgpr_private_segment_size 0
		.amdhsa_uses_dynamic_stack 0
		.amdhsa_system_sgpr_private_segment_wavefront_offset 0
		.amdhsa_system_sgpr_workgroup_id_x 1
		.amdhsa_system_sgpr_workgroup_id_y 0
		.amdhsa_system_sgpr_workgroup_id_z 0
		.amdhsa_system_sgpr_workgroup_info 0
		.amdhsa_system_vgpr_workitem_id 0
		.amdhsa_next_free_vgpr 1
		.amdhsa_next_free_sgpr 0
		.amdhsa_accum_offset 4
		.amdhsa_reserve_vcc 0
		.amdhsa_reserve_flat_scratch 0
		.amdhsa_float_round_mode_32 0
		.amdhsa_float_round_mode_16_64 0
		.amdhsa_float_denorm_mode_32 3
		.amdhsa_float_denorm_mode_16_64 3
		.amdhsa_dx10_clamp 1
		.amdhsa_ieee_mode 1
		.amdhsa_fp16_overflow 0
		.amdhsa_tg_split 0
		.amdhsa_exception_fp_ieee_invalid_op 0
		.amdhsa_exception_fp_denorm_src 0
		.amdhsa_exception_fp_ieee_div_zero 0
		.amdhsa_exception_fp_ieee_overflow 0
		.amdhsa_exception_fp_ieee_underflow 0
		.amdhsa_exception_fp_ieee_inexact 0
		.amdhsa_exception_int_div_zero 0
	.end_amdhsa_kernel
	.section	.text._ZN7rocprim17ROCPRIM_400000_NS6detail17trampoline_kernelINS0_14default_configENS1_25transform_config_selectorIiLb0EEEZNS1_14transform_implILb0ES3_S5_NS0_18transform_iteratorINS0_17counting_iteratorImlEEZNS1_24adjacent_difference_implIS3_Lb1ELb0EPKiPiN6thrust23THRUST_200600_302600_NS4plusIiEEEE10hipError_tPvRmT2_T3_mT4_P12ihipStream_tbEUlmE_iEESD_NS0_8identityIvEEEESI_SL_SM_mSN_SP_bEUlT_E_NS1_11comp_targetILNS1_3genE2ELNS1_11target_archE906ELNS1_3gpuE6ELNS1_3repE0EEENS1_30default_config_static_selectorELNS0_4arch9wavefront6targetE1EEEvT1_,"axG",@progbits,_ZN7rocprim17ROCPRIM_400000_NS6detail17trampoline_kernelINS0_14default_configENS1_25transform_config_selectorIiLb0EEEZNS1_14transform_implILb0ES3_S5_NS0_18transform_iteratorINS0_17counting_iteratorImlEEZNS1_24adjacent_difference_implIS3_Lb1ELb0EPKiPiN6thrust23THRUST_200600_302600_NS4plusIiEEEE10hipError_tPvRmT2_T3_mT4_P12ihipStream_tbEUlmE_iEESD_NS0_8identityIvEEEESI_SL_SM_mSN_SP_bEUlT_E_NS1_11comp_targetILNS1_3genE2ELNS1_11target_archE906ELNS1_3gpuE6ELNS1_3repE0EEENS1_30default_config_static_selectorELNS0_4arch9wavefront6targetE1EEEvT1_,comdat
.Lfunc_end578:
	.size	_ZN7rocprim17ROCPRIM_400000_NS6detail17trampoline_kernelINS0_14default_configENS1_25transform_config_selectorIiLb0EEEZNS1_14transform_implILb0ES3_S5_NS0_18transform_iteratorINS0_17counting_iteratorImlEEZNS1_24adjacent_difference_implIS3_Lb1ELb0EPKiPiN6thrust23THRUST_200600_302600_NS4plusIiEEEE10hipError_tPvRmT2_T3_mT4_P12ihipStream_tbEUlmE_iEESD_NS0_8identityIvEEEESI_SL_SM_mSN_SP_bEUlT_E_NS1_11comp_targetILNS1_3genE2ELNS1_11target_archE906ELNS1_3gpuE6ELNS1_3repE0EEENS1_30default_config_static_selectorELNS0_4arch9wavefront6targetE1EEEvT1_, .Lfunc_end578-_ZN7rocprim17ROCPRIM_400000_NS6detail17trampoline_kernelINS0_14default_configENS1_25transform_config_selectorIiLb0EEEZNS1_14transform_implILb0ES3_S5_NS0_18transform_iteratorINS0_17counting_iteratorImlEEZNS1_24adjacent_difference_implIS3_Lb1ELb0EPKiPiN6thrust23THRUST_200600_302600_NS4plusIiEEEE10hipError_tPvRmT2_T3_mT4_P12ihipStream_tbEUlmE_iEESD_NS0_8identityIvEEEESI_SL_SM_mSN_SP_bEUlT_E_NS1_11comp_targetILNS1_3genE2ELNS1_11target_archE906ELNS1_3gpuE6ELNS1_3repE0EEENS1_30default_config_static_selectorELNS0_4arch9wavefront6targetE1EEEvT1_
                                        ; -- End function
	.section	.AMDGPU.csdata,"",@progbits
; Kernel info:
; codeLenInByte = 0
; NumSgprs: 4
; NumVgprs: 0
; NumAgprs: 0
; TotalNumVgprs: 0
; ScratchSize: 0
; MemoryBound: 0
; FloatMode: 240
; IeeeMode: 1
; LDSByteSize: 0 bytes/workgroup (compile time only)
; SGPRBlocks: 0
; VGPRBlocks: 0
; NumSGPRsForWavesPerEU: 4
; NumVGPRsForWavesPerEU: 1
; AccumOffset: 4
; Occupancy: 8
; WaveLimiterHint : 0
; COMPUTE_PGM_RSRC2:SCRATCH_EN: 0
; COMPUTE_PGM_RSRC2:USER_SGPR: 6
; COMPUTE_PGM_RSRC2:TRAP_HANDLER: 0
; COMPUTE_PGM_RSRC2:TGID_X_EN: 1
; COMPUTE_PGM_RSRC2:TGID_Y_EN: 0
; COMPUTE_PGM_RSRC2:TGID_Z_EN: 0
; COMPUTE_PGM_RSRC2:TIDIG_COMP_CNT: 0
; COMPUTE_PGM_RSRC3_GFX90A:ACCUM_OFFSET: 0
; COMPUTE_PGM_RSRC3_GFX90A:TG_SPLIT: 0
	.section	.text._ZN7rocprim17ROCPRIM_400000_NS6detail17trampoline_kernelINS0_14default_configENS1_25transform_config_selectorIiLb0EEEZNS1_14transform_implILb0ES3_S5_NS0_18transform_iteratorINS0_17counting_iteratorImlEEZNS1_24adjacent_difference_implIS3_Lb1ELb0EPKiPiN6thrust23THRUST_200600_302600_NS4plusIiEEEE10hipError_tPvRmT2_T3_mT4_P12ihipStream_tbEUlmE_iEESD_NS0_8identityIvEEEESI_SL_SM_mSN_SP_bEUlT_E_NS1_11comp_targetILNS1_3genE10ELNS1_11target_archE1201ELNS1_3gpuE5ELNS1_3repE0EEENS1_30default_config_static_selectorELNS0_4arch9wavefront6targetE1EEEvT1_,"axG",@progbits,_ZN7rocprim17ROCPRIM_400000_NS6detail17trampoline_kernelINS0_14default_configENS1_25transform_config_selectorIiLb0EEEZNS1_14transform_implILb0ES3_S5_NS0_18transform_iteratorINS0_17counting_iteratorImlEEZNS1_24adjacent_difference_implIS3_Lb1ELb0EPKiPiN6thrust23THRUST_200600_302600_NS4plusIiEEEE10hipError_tPvRmT2_T3_mT4_P12ihipStream_tbEUlmE_iEESD_NS0_8identityIvEEEESI_SL_SM_mSN_SP_bEUlT_E_NS1_11comp_targetILNS1_3genE10ELNS1_11target_archE1201ELNS1_3gpuE5ELNS1_3repE0EEENS1_30default_config_static_selectorELNS0_4arch9wavefront6targetE1EEEvT1_,comdat
	.protected	_ZN7rocprim17ROCPRIM_400000_NS6detail17trampoline_kernelINS0_14default_configENS1_25transform_config_selectorIiLb0EEEZNS1_14transform_implILb0ES3_S5_NS0_18transform_iteratorINS0_17counting_iteratorImlEEZNS1_24adjacent_difference_implIS3_Lb1ELb0EPKiPiN6thrust23THRUST_200600_302600_NS4plusIiEEEE10hipError_tPvRmT2_T3_mT4_P12ihipStream_tbEUlmE_iEESD_NS0_8identityIvEEEESI_SL_SM_mSN_SP_bEUlT_E_NS1_11comp_targetILNS1_3genE10ELNS1_11target_archE1201ELNS1_3gpuE5ELNS1_3repE0EEENS1_30default_config_static_selectorELNS0_4arch9wavefront6targetE1EEEvT1_ ; -- Begin function _ZN7rocprim17ROCPRIM_400000_NS6detail17trampoline_kernelINS0_14default_configENS1_25transform_config_selectorIiLb0EEEZNS1_14transform_implILb0ES3_S5_NS0_18transform_iteratorINS0_17counting_iteratorImlEEZNS1_24adjacent_difference_implIS3_Lb1ELb0EPKiPiN6thrust23THRUST_200600_302600_NS4plusIiEEEE10hipError_tPvRmT2_T3_mT4_P12ihipStream_tbEUlmE_iEESD_NS0_8identityIvEEEESI_SL_SM_mSN_SP_bEUlT_E_NS1_11comp_targetILNS1_3genE10ELNS1_11target_archE1201ELNS1_3gpuE5ELNS1_3repE0EEENS1_30default_config_static_selectorELNS0_4arch9wavefront6targetE1EEEvT1_
	.globl	_ZN7rocprim17ROCPRIM_400000_NS6detail17trampoline_kernelINS0_14default_configENS1_25transform_config_selectorIiLb0EEEZNS1_14transform_implILb0ES3_S5_NS0_18transform_iteratorINS0_17counting_iteratorImlEEZNS1_24adjacent_difference_implIS3_Lb1ELb0EPKiPiN6thrust23THRUST_200600_302600_NS4plusIiEEEE10hipError_tPvRmT2_T3_mT4_P12ihipStream_tbEUlmE_iEESD_NS0_8identityIvEEEESI_SL_SM_mSN_SP_bEUlT_E_NS1_11comp_targetILNS1_3genE10ELNS1_11target_archE1201ELNS1_3gpuE5ELNS1_3repE0EEENS1_30default_config_static_selectorELNS0_4arch9wavefront6targetE1EEEvT1_
	.p2align	8
	.type	_ZN7rocprim17ROCPRIM_400000_NS6detail17trampoline_kernelINS0_14default_configENS1_25transform_config_selectorIiLb0EEEZNS1_14transform_implILb0ES3_S5_NS0_18transform_iteratorINS0_17counting_iteratorImlEEZNS1_24adjacent_difference_implIS3_Lb1ELb0EPKiPiN6thrust23THRUST_200600_302600_NS4plusIiEEEE10hipError_tPvRmT2_T3_mT4_P12ihipStream_tbEUlmE_iEESD_NS0_8identityIvEEEESI_SL_SM_mSN_SP_bEUlT_E_NS1_11comp_targetILNS1_3genE10ELNS1_11target_archE1201ELNS1_3gpuE5ELNS1_3repE0EEENS1_30default_config_static_selectorELNS0_4arch9wavefront6targetE1EEEvT1_,@function
_ZN7rocprim17ROCPRIM_400000_NS6detail17trampoline_kernelINS0_14default_configENS1_25transform_config_selectorIiLb0EEEZNS1_14transform_implILb0ES3_S5_NS0_18transform_iteratorINS0_17counting_iteratorImlEEZNS1_24adjacent_difference_implIS3_Lb1ELb0EPKiPiN6thrust23THRUST_200600_302600_NS4plusIiEEEE10hipError_tPvRmT2_T3_mT4_P12ihipStream_tbEUlmE_iEESD_NS0_8identityIvEEEESI_SL_SM_mSN_SP_bEUlT_E_NS1_11comp_targetILNS1_3genE10ELNS1_11target_archE1201ELNS1_3gpuE5ELNS1_3repE0EEENS1_30default_config_static_selectorELNS0_4arch9wavefront6targetE1EEEvT1_: ; @_ZN7rocprim17ROCPRIM_400000_NS6detail17trampoline_kernelINS0_14default_configENS1_25transform_config_selectorIiLb0EEEZNS1_14transform_implILb0ES3_S5_NS0_18transform_iteratorINS0_17counting_iteratorImlEEZNS1_24adjacent_difference_implIS3_Lb1ELb0EPKiPiN6thrust23THRUST_200600_302600_NS4plusIiEEEE10hipError_tPvRmT2_T3_mT4_P12ihipStream_tbEUlmE_iEESD_NS0_8identityIvEEEESI_SL_SM_mSN_SP_bEUlT_E_NS1_11comp_targetILNS1_3genE10ELNS1_11target_archE1201ELNS1_3gpuE5ELNS1_3repE0EEENS1_30default_config_static_selectorELNS0_4arch9wavefront6targetE1EEEvT1_
; %bb.0:
	.section	.rodata,"a",@progbits
	.p2align	6, 0x0
	.amdhsa_kernel _ZN7rocprim17ROCPRIM_400000_NS6detail17trampoline_kernelINS0_14default_configENS1_25transform_config_selectorIiLb0EEEZNS1_14transform_implILb0ES3_S5_NS0_18transform_iteratorINS0_17counting_iteratorImlEEZNS1_24adjacent_difference_implIS3_Lb1ELb0EPKiPiN6thrust23THRUST_200600_302600_NS4plusIiEEEE10hipError_tPvRmT2_T3_mT4_P12ihipStream_tbEUlmE_iEESD_NS0_8identityIvEEEESI_SL_SM_mSN_SP_bEUlT_E_NS1_11comp_targetILNS1_3genE10ELNS1_11target_archE1201ELNS1_3gpuE5ELNS1_3repE0EEENS1_30default_config_static_selectorELNS0_4arch9wavefront6targetE1EEEvT1_
		.amdhsa_group_segment_fixed_size 0
		.amdhsa_private_segment_fixed_size 0
		.amdhsa_kernarg_size 56
		.amdhsa_user_sgpr_count 6
		.amdhsa_user_sgpr_private_segment_buffer 1
		.amdhsa_user_sgpr_dispatch_ptr 0
		.amdhsa_user_sgpr_queue_ptr 0
		.amdhsa_user_sgpr_kernarg_segment_ptr 1
		.amdhsa_user_sgpr_dispatch_id 0
		.amdhsa_user_sgpr_flat_scratch_init 0
		.amdhsa_user_sgpr_kernarg_preload_length 0
		.amdhsa_user_sgpr_kernarg_preload_offset 0
		.amdhsa_user_sgpr_private_segment_size 0
		.amdhsa_uses_dynamic_stack 0
		.amdhsa_system_sgpr_private_segment_wavefront_offset 0
		.amdhsa_system_sgpr_workgroup_id_x 1
		.amdhsa_system_sgpr_workgroup_id_y 0
		.amdhsa_system_sgpr_workgroup_id_z 0
		.amdhsa_system_sgpr_workgroup_info 0
		.amdhsa_system_vgpr_workitem_id 0
		.amdhsa_next_free_vgpr 1
		.amdhsa_next_free_sgpr 0
		.amdhsa_accum_offset 4
		.amdhsa_reserve_vcc 0
		.amdhsa_reserve_flat_scratch 0
		.amdhsa_float_round_mode_32 0
		.amdhsa_float_round_mode_16_64 0
		.amdhsa_float_denorm_mode_32 3
		.amdhsa_float_denorm_mode_16_64 3
		.amdhsa_dx10_clamp 1
		.amdhsa_ieee_mode 1
		.amdhsa_fp16_overflow 0
		.amdhsa_tg_split 0
		.amdhsa_exception_fp_ieee_invalid_op 0
		.amdhsa_exception_fp_denorm_src 0
		.amdhsa_exception_fp_ieee_div_zero 0
		.amdhsa_exception_fp_ieee_overflow 0
		.amdhsa_exception_fp_ieee_underflow 0
		.amdhsa_exception_fp_ieee_inexact 0
		.amdhsa_exception_int_div_zero 0
	.end_amdhsa_kernel
	.section	.text._ZN7rocprim17ROCPRIM_400000_NS6detail17trampoline_kernelINS0_14default_configENS1_25transform_config_selectorIiLb0EEEZNS1_14transform_implILb0ES3_S5_NS0_18transform_iteratorINS0_17counting_iteratorImlEEZNS1_24adjacent_difference_implIS3_Lb1ELb0EPKiPiN6thrust23THRUST_200600_302600_NS4plusIiEEEE10hipError_tPvRmT2_T3_mT4_P12ihipStream_tbEUlmE_iEESD_NS0_8identityIvEEEESI_SL_SM_mSN_SP_bEUlT_E_NS1_11comp_targetILNS1_3genE10ELNS1_11target_archE1201ELNS1_3gpuE5ELNS1_3repE0EEENS1_30default_config_static_selectorELNS0_4arch9wavefront6targetE1EEEvT1_,"axG",@progbits,_ZN7rocprim17ROCPRIM_400000_NS6detail17trampoline_kernelINS0_14default_configENS1_25transform_config_selectorIiLb0EEEZNS1_14transform_implILb0ES3_S5_NS0_18transform_iteratorINS0_17counting_iteratorImlEEZNS1_24adjacent_difference_implIS3_Lb1ELb0EPKiPiN6thrust23THRUST_200600_302600_NS4plusIiEEEE10hipError_tPvRmT2_T3_mT4_P12ihipStream_tbEUlmE_iEESD_NS0_8identityIvEEEESI_SL_SM_mSN_SP_bEUlT_E_NS1_11comp_targetILNS1_3genE10ELNS1_11target_archE1201ELNS1_3gpuE5ELNS1_3repE0EEENS1_30default_config_static_selectorELNS0_4arch9wavefront6targetE1EEEvT1_,comdat
.Lfunc_end579:
	.size	_ZN7rocprim17ROCPRIM_400000_NS6detail17trampoline_kernelINS0_14default_configENS1_25transform_config_selectorIiLb0EEEZNS1_14transform_implILb0ES3_S5_NS0_18transform_iteratorINS0_17counting_iteratorImlEEZNS1_24adjacent_difference_implIS3_Lb1ELb0EPKiPiN6thrust23THRUST_200600_302600_NS4plusIiEEEE10hipError_tPvRmT2_T3_mT4_P12ihipStream_tbEUlmE_iEESD_NS0_8identityIvEEEESI_SL_SM_mSN_SP_bEUlT_E_NS1_11comp_targetILNS1_3genE10ELNS1_11target_archE1201ELNS1_3gpuE5ELNS1_3repE0EEENS1_30default_config_static_selectorELNS0_4arch9wavefront6targetE1EEEvT1_, .Lfunc_end579-_ZN7rocprim17ROCPRIM_400000_NS6detail17trampoline_kernelINS0_14default_configENS1_25transform_config_selectorIiLb0EEEZNS1_14transform_implILb0ES3_S5_NS0_18transform_iteratorINS0_17counting_iteratorImlEEZNS1_24adjacent_difference_implIS3_Lb1ELb0EPKiPiN6thrust23THRUST_200600_302600_NS4plusIiEEEE10hipError_tPvRmT2_T3_mT4_P12ihipStream_tbEUlmE_iEESD_NS0_8identityIvEEEESI_SL_SM_mSN_SP_bEUlT_E_NS1_11comp_targetILNS1_3genE10ELNS1_11target_archE1201ELNS1_3gpuE5ELNS1_3repE0EEENS1_30default_config_static_selectorELNS0_4arch9wavefront6targetE1EEEvT1_
                                        ; -- End function
	.section	.AMDGPU.csdata,"",@progbits
; Kernel info:
; codeLenInByte = 0
; NumSgprs: 4
; NumVgprs: 0
; NumAgprs: 0
; TotalNumVgprs: 0
; ScratchSize: 0
; MemoryBound: 0
; FloatMode: 240
; IeeeMode: 1
; LDSByteSize: 0 bytes/workgroup (compile time only)
; SGPRBlocks: 0
; VGPRBlocks: 0
; NumSGPRsForWavesPerEU: 4
; NumVGPRsForWavesPerEU: 1
; AccumOffset: 4
; Occupancy: 8
; WaveLimiterHint : 0
; COMPUTE_PGM_RSRC2:SCRATCH_EN: 0
; COMPUTE_PGM_RSRC2:USER_SGPR: 6
; COMPUTE_PGM_RSRC2:TRAP_HANDLER: 0
; COMPUTE_PGM_RSRC2:TGID_X_EN: 1
; COMPUTE_PGM_RSRC2:TGID_Y_EN: 0
; COMPUTE_PGM_RSRC2:TGID_Z_EN: 0
; COMPUTE_PGM_RSRC2:TIDIG_COMP_CNT: 0
; COMPUTE_PGM_RSRC3_GFX90A:ACCUM_OFFSET: 0
; COMPUTE_PGM_RSRC3_GFX90A:TG_SPLIT: 0
	.section	.text._ZN7rocprim17ROCPRIM_400000_NS6detail17trampoline_kernelINS0_14default_configENS1_25transform_config_selectorIiLb0EEEZNS1_14transform_implILb0ES3_S5_NS0_18transform_iteratorINS0_17counting_iteratorImlEEZNS1_24adjacent_difference_implIS3_Lb1ELb0EPKiPiN6thrust23THRUST_200600_302600_NS4plusIiEEEE10hipError_tPvRmT2_T3_mT4_P12ihipStream_tbEUlmE_iEESD_NS0_8identityIvEEEESI_SL_SM_mSN_SP_bEUlT_E_NS1_11comp_targetILNS1_3genE10ELNS1_11target_archE1200ELNS1_3gpuE4ELNS1_3repE0EEENS1_30default_config_static_selectorELNS0_4arch9wavefront6targetE1EEEvT1_,"axG",@progbits,_ZN7rocprim17ROCPRIM_400000_NS6detail17trampoline_kernelINS0_14default_configENS1_25transform_config_selectorIiLb0EEEZNS1_14transform_implILb0ES3_S5_NS0_18transform_iteratorINS0_17counting_iteratorImlEEZNS1_24adjacent_difference_implIS3_Lb1ELb0EPKiPiN6thrust23THRUST_200600_302600_NS4plusIiEEEE10hipError_tPvRmT2_T3_mT4_P12ihipStream_tbEUlmE_iEESD_NS0_8identityIvEEEESI_SL_SM_mSN_SP_bEUlT_E_NS1_11comp_targetILNS1_3genE10ELNS1_11target_archE1200ELNS1_3gpuE4ELNS1_3repE0EEENS1_30default_config_static_selectorELNS0_4arch9wavefront6targetE1EEEvT1_,comdat
	.protected	_ZN7rocprim17ROCPRIM_400000_NS6detail17trampoline_kernelINS0_14default_configENS1_25transform_config_selectorIiLb0EEEZNS1_14transform_implILb0ES3_S5_NS0_18transform_iteratorINS0_17counting_iteratorImlEEZNS1_24adjacent_difference_implIS3_Lb1ELb0EPKiPiN6thrust23THRUST_200600_302600_NS4plusIiEEEE10hipError_tPvRmT2_T3_mT4_P12ihipStream_tbEUlmE_iEESD_NS0_8identityIvEEEESI_SL_SM_mSN_SP_bEUlT_E_NS1_11comp_targetILNS1_3genE10ELNS1_11target_archE1200ELNS1_3gpuE4ELNS1_3repE0EEENS1_30default_config_static_selectorELNS0_4arch9wavefront6targetE1EEEvT1_ ; -- Begin function _ZN7rocprim17ROCPRIM_400000_NS6detail17trampoline_kernelINS0_14default_configENS1_25transform_config_selectorIiLb0EEEZNS1_14transform_implILb0ES3_S5_NS0_18transform_iteratorINS0_17counting_iteratorImlEEZNS1_24adjacent_difference_implIS3_Lb1ELb0EPKiPiN6thrust23THRUST_200600_302600_NS4plusIiEEEE10hipError_tPvRmT2_T3_mT4_P12ihipStream_tbEUlmE_iEESD_NS0_8identityIvEEEESI_SL_SM_mSN_SP_bEUlT_E_NS1_11comp_targetILNS1_3genE10ELNS1_11target_archE1200ELNS1_3gpuE4ELNS1_3repE0EEENS1_30default_config_static_selectorELNS0_4arch9wavefront6targetE1EEEvT1_
	.globl	_ZN7rocprim17ROCPRIM_400000_NS6detail17trampoline_kernelINS0_14default_configENS1_25transform_config_selectorIiLb0EEEZNS1_14transform_implILb0ES3_S5_NS0_18transform_iteratorINS0_17counting_iteratorImlEEZNS1_24adjacent_difference_implIS3_Lb1ELb0EPKiPiN6thrust23THRUST_200600_302600_NS4plusIiEEEE10hipError_tPvRmT2_T3_mT4_P12ihipStream_tbEUlmE_iEESD_NS0_8identityIvEEEESI_SL_SM_mSN_SP_bEUlT_E_NS1_11comp_targetILNS1_3genE10ELNS1_11target_archE1200ELNS1_3gpuE4ELNS1_3repE0EEENS1_30default_config_static_selectorELNS0_4arch9wavefront6targetE1EEEvT1_
	.p2align	8
	.type	_ZN7rocprim17ROCPRIM_400000_NS6detail17trampoline_kernelINS0_14default_configENS1_25transform_config_selectorIiLb0EEEZNS1_14transform_implILb0ES3_S5_NS0_18transform_iteratorINS0_17counting_iteratorImlEEZNS1_24adjacent_difference_implIS3_Lb1ELb0EPKiPiN6thrust23THRUST_200600_302600_NS4plusIiEEEE10hipError_tPvRmT2_T3_mT4_P12ihipStream_tbEUlmE_iEESD_NS0_8identityIvEEEESI_SL_SM_mSN_SP_bEUlT_E_NS1_11comp_targetILNS1_3genE10ELNS1_11target_archE1200ELNS1_3gpuE4ELNS1_3repE0EEENS1_30default_config_static_selectorELNS0_4arch9wavefront6targetE1EEEvT1_,@function
_ZN7rocprim17ROCPRIM_400000_NS6detail17trampoline_kernelINS0_14default_configENS1_25transform_config_selectorIiLb0EEEZNS1_14transform_implILb0ES3_S5_NS0_18transform_iteratorINS0_17counting_iteratorImlEEZNS1_24adjacent_difference_implIS3_Lb1ELb0EPKiPiN6thrust23THRUST_200600_302600_NS4plusIiEEEE10hipError_tPvRmT2_T3_mT4_P12ihipStream_tbEUlmE_iEESD_NS0_8identityIvEEEESI_SL_SM_mSN_SP_bEUlT_E_NS1_11comp_targetILNS1_3genE10ELNS1_11target_archE1200ELNS1_3gpuE4ELNS1_3repE0EEENS1_30default_config_static_selectorELNS0_4arch9wavefront6targetE1EEEvT1_: ; @_ZN7rocprim17ROCPRIM_400000_NS6detail17trampoline_kernelINS0_14default_configENS1_25transform_config_selectorIiLb0EEEZNS1_14transform_implILb0ES3_S5_NS0_18transform_iteratorINS0_17counting_iteratorImlEEZNS1_24adjacent_difference_implIS3_Lb1ELb0EPKiPiN6thrust23THRUST_200600_302600_NS4plusIiEEEE10hipError_tPvRmT2_T3_mT4_P12ihipStream_tbEUlmE_iEESD_NS0_8identityIvEEEESI_SL_SM_mSN_SP_bEUlT_E_NS1_11comp_targetILNS1_3genE10ELNS1_11target_archE1200ELNS1_3gpuE4ELNS1_3repE0EEENS1_30default_config_static_selectorELNS0_4arch9wavefront6targetE1EEEvT1_
; %bb.0:
	.section	.rodata,"a",@progbits
	.p2align	6, 0x0
	.amdhsa_kernel _ZN7rocprim17ROCPRIM_400000_NS6detail17trampoline_kernelINS0_14default_configENS1_25transform_config_selectorIiLb0EEEZNS1_14transform_implILb0ES3_S5_NS0_18transform_iteratorINS0_17counting_iteratorImlEEZNS1_24adjacent_difference_implIS3_Lb1ELb0EPKiPiN6thrust23THRUST_200600_302600_NS4plusIiEEEE10hipError_tPvRmT2_T3_mT4_P12ihipStream_tbEUlmE_iEESD_NS0_8identityIvEEEESI_SL_SM_mSN_SP_bEUlT_E_NS1_11comp_targetILNS1_3genE10ELNS1_11target_archE1200ELNS1_3gpuE4ELNS1_3repE0EEENS1_30default_config_static_selectorELNS0_4arch9wavefront6targetE1EEEvT1_
		.amdhsa_group_segment_fixed_size 0
		.amdhsa_private_segment_fixed_size 0
		.amdhsa_kernarg_size 56
		.amdhsa_user_sgpr_count 6
		.amdhsa_user_sgpr_private_segment_buffer 1
		.amdhsa_user_sgpr_dispatch_ptr 0
		.amdhsa_user_sgpr_queue_ptr 0
		.amdhsa_user_sgpr_kernarg_segment_ptr 1
		.amdhsa_user_sgpr_dispatch_id 0
		.amdhsa_user_sgpr_flat_scratch_init 0
		.amdhsa_user_sgpr_kernarg_preload_length 0
		.amdhsa_user_sgpr_kernarg_preload_offset 0
		.amdhsa_user_sgpr_private_segment_size 0
		.amdhsa_uses_dynamic_stack 0
		.amdhsa_system_sgpr_private_segment_wavefront_offset 0
		.amdhsa_system_sgpr_workgroup_id_x 1
		.amdhsa_system_sgpr_workgroup_id_y 0
		.amdhsa_system_sgpr_workgroup_id_z 0
		.amdhsa_system_sgpr_workgroup_info 0
		.amdhsa_system_vgpr_workitem_id 0
		.amdhsa_next_free_vgpr 1
		.amdhsa_next_free_sgpr 0
		.amdhsa_accum_offset 4
		.amdhsa_reserve_vcc 0
		.amdhsa_reserve_flat_scratch 0
		.amdhsa_float_round_mode_32 0
		.amdhsa_float_round_mode_16_64 0
		.amdhsa_float_denorm_mode_32 3
		.amdhsa_float_denorm_mode_16_64 3
		.amdhsa_dx10_clamp 1
		.amdhsa_ieee_mode 1
		.amdhsa_fp16_overflow 0
		.amdhsa_tg_split 0
		.amdhsa_exception_fp_ieee_invalid_op 0
		.amdhsa_exception_fp_denorm_src 0
		.amdhsa_exception_fp_ieee_div_zero 0
		.amdhsa_exception_fp_ieee_overflow 0
		.amdhsa_exception_fp_ieee_underflow 0
		.amdhsa_exception_fp_ieee_inexact 0
		.amdhsa_exception_int_div_zero 0
	.end_amdhsa_kernel
	.section	.text._ZN7rocprim17ROCPRIM_400000_NS6detail17trampoline_kernelINS0_14default_configENS1_25transform_config_selectorIiLb0EEEZNS1_14transform_implILb0ES3_S5_NS0_18transform_iteratorINS0_17counting_iteratorImlEEZNS1_24adjacent_difference_implIS3_Lb1ELb0EPKiPiN6thrust23THRUST_200600_302600_NS4plusIiEEEE10hipError_tPvRmT2_T3_mT4_P12ihipStream_tbEUlmE_iEESD_NS0_8identityIvEEEESI_SL_SM_mSN_SP_bEUlT_E_NS1_11comp_targetILNS1_3genE10ELNS1_11target_archE1200ELNS1_3gpuE4ELNS1_3repE0EEENS1_30default_config_static_selectorELNS0_4arch9wavefront6targetE1EEEvT1_,"axG",@progbits,_ZN7rocprim17ROCPRIM_400000_NS6detail17trampoline_kernelINS0_14default_configENS1_25transform_config_selectorIiLb0EEEZNS1_14transform_implILb0ES3_S5_NS0_18transform_iteratorINS0_17counting_iteratorImlEEZNS1_24adjacent_difference_implIS3_Lb1ELb0EPKiPiN6thrust23THRUST_200600_302600_NS4plusIiEEEE10hipError_tPvRmT2_T3_mT4_P12ihipStream_tbEUlmE_iEESD_NS0_8identityIvEEEESI_SL_SM_mSN_SP_bEUlT_E_NS1_11comp_targetILNS1_3genE10ELNS1_11target_archE1200ELNS1_3gpuE4ELNS1_3repE0EEENS1_30default_config_static_selectorELNS0_4arch9wavefront6targetE1EEEvT1_,comdat
.Lfunc_end580:
	.size	_ZN7rocprim17ROCPRIM_400000_NS6detail17trampoline_kernelINS0_14default_configENS1_25transform_config_selectorIiLb0EEEZNS1_14transform_implILb0ES3_S5_NS0_18transform_iteratorINS0_17counting_iteratorImlEEZNS1_24adjacent_difference_implIS3_Lb1ELb0EPKiPiN6thrust23THRUST_200600_302600_NS4plusIiEEEE10hipError_tPvRmT2_T3_mT4_P12ihipStream_tbEUlmE_iEESD_NS0_8identityIvEEEESI_SL_SM_mSN_SP_bEUlT_E_NS1_11comp_targetILNS1_3genE10ELNS1_11target_archE1200ELNS1_3gpuE4ELNS1_3repE0EEENS1_30default_config_static_selectorELNS0_4arch9wavefront6targetE1EEEvT1_, .Lfunc_end580-_ZN7rocprim17ROCPRIM_400000_NS6detail17trampoline_kernelINS0_14default_configENS1_25transform_config_selectorIiLb0EEEZNS1_14transform_implILb0ES3_S5_NS0_18transform_iteratorINS0_17counting_iteratorImlEEZNS1_24adjacent_difference_implIS3_Lb1ELb0EPKiPiN6thrust23THRUST_200600_302600_NS4plusIiEEEE10hipError_tPvRmT2_T3_mT4_P12ihipStream_tbEUlmE_iEESD_NS0_8identityIvEEEESI_SL_SM_mSN_SP_bEUlT_E_NS1_11comp_targetILNS1_3genE10ELNS1_11target_archE1200ELNS1_3gpuE4ELNS1_3repE0EEENS1_30default_config_static_selectorELNS0_4arch9wavefront6targetE1EEEvT1_
                                        ; -- End function
	.section	.AMDGPU.csdata,"",@progbits
; Kernel info:
; codeLenInByte = 0
; NumSgprs: 4
; NumVgprs: 0
; NumAgprs: 0
; TotalNumVgprs: 0
; ScratchSize: 0
; MemoryBound: 0
; FloatMode: 240
; IeeeMode: 1
; LDSByteSize: 0 bytes/workgroup (compile time only)
; SGPRBlocks: 0
; VGPRBlocks: 0
; NumSGPRsForWavesPerEU: 4
; NumVGPRsForWavesPerEU: 1
; AccumOffset: 4
; Occupancy: 8
; WaveLimiterHint : 0
; COMPUTE_PGM_RSRC2:SCRATCH_EN: 0
; COMPUTE_PGM_RSRC2:USER_SGPR: 6
; COMPUTE_PGM_RSRC2:TRAP_HANDLER: 0
; COMPUTE_PGM_RSRC2:TGID_X_EN: 1
; COMPUTE_PGM_RSRC2:TGID_Y_EN: 0
; COMPUTE_PGM_RSRC2:TGID_Z_EN: 0
; COMPUTE_PGM_RSRC2:TIDIG_COMP_CNT: 0
; COMPUTE_PGM_RSRC3_GFX90A:ACCUM_OFFSET: 0
; COMPUTE_PGM_RSRC3_GFX90A:TG_SPLIT: 0
	.section	.text._ZN7rocprim17ROCPRIM_400000_NS6detail17trampoline_kernelINS0_14default_configENS1_25transform_config_selectorIiLb0EEEZNS1_14transform_implILb0ES3_S5_NS0_18transform_iteratorINS0_17counting_iteratorImlEEZNS1_24adjacent_difference_implIS3_Lb1ELb0EPKiPiN6thrust23THRUST_200600_302600_NS4plusIiEEEE10hipError_tPvRmT2_T3_mT4_P12ihipStream_tbEUlmE_iEESD_NS0_8identityIvEEEESI_SL_SM_mSN_SP_bEUlT_E_NS1_11comp_targetILNS1_3genE9ELNS1_11target_archE1100ELNS1_3gpuE3ELNS1_3repE0EEENS1_30default_config_static_selectorELNS0_4arch9wavefront6targetE1EEEvT1_,"axG",@progbits,_ZN7rocprim17ROCPRIM_400000_NS6detail17trampoline_kernelINS0_14default_configENS1_25transform_config_selectorIiLb0EEEZNS1_14transform_implILb0ES3_S5_NS0_18transform_iteratorINS0_17counting_iteratorImlEEZNS1_24adjacent_difference_implIS3_Lb1ELb0EPKiPiN6thrust23THRUST_200600_302600_NS4plusIiEEEE10hipError_tPvRmT2_T3_mT4_P12ihipStream_tbEUlmE_iEESD_NS0_8identityIvEEEESI_SL_SM_mSN_SP_bEUlT_E_NS1_11comp_targetILNS1_3genE9ELNS1_11target_archE1100ELNS1_3gpuE3ELNS1_3repE0EEENS1_30default_config_static_selectorELNS0_4arch9wavefront6targetE1EEEvT1_,comdat
	.protected	_ZN7rocprim17ROCPRIM_400000_NS6detail17trampoline_kernelINS0_14default_configENS1_25transform_config_selectorIiLb0EEEZNS1_14transform_implILb0ES3_S5_NS0_18transform_iteratorINS0_17counting_iteratorImlEEZNS1_24adjacent_difference_implIS3_Lb1ELb0EPKiPiN6thrust23THRUST_200600_302600_NS4plusIiEEEE10hipError_tPvRmT2_T3_mT4_P12ihipStream_tbEUlmE_iEESD_NS0_8identityIvEEEESI_SL_SM_mSN_SP_bEUlT_E_NS1_11comp_targetILNS1_3genE9ELNS1_11target_archE1100ELNS1_3gpuE3ELNS1_3repE0EEENS1_30default_config_static_selectorELNS0_4arch9wavefront6targetE1EEEvT1_ ; -- Begin function _ZN7rocprim17ROCPRIM_400000_NS6detail17trampoline_kernelINS0_14default_configENS1_25transform_config_selectorIiLb0EEEZNS1_14transform_implILb0ES3_S5_NS0_18transform_iteratorINS0_17counting_iteratorImlEEZNS1_24adjacent_difference_implIS3_Lb1ELb0EPKiPiN6thrust23THRUST_200600_302600_NS4plusIiEEEE10hipError_tPvRmT2_T3_mT4_P12ihipStream_tbEUlmE_iEESD_NS0_8identityIvEEEESI_SL_SM_mSN_SP_bEUlT_E_NS1_11comp_targetILNS1_3genE9ELNS1_11target_archE1100ELNS1_3gpuE3ELNS1_3repE0EEENS1_30default_config_static_selectorELNS0_4arch9wavefront6targetE1EEEvT1_
	.globl	_ZN7rocprim17ROCPRIM_400000_NS6detail17trampoline_kernelINS0_14default_configENS1_25transform_config_selectorIiLb0EEEZNS1_14transform_implILb0ES3_S5_NS0_18transform_iteratorINS0_17counting_iteratorImlEEZNS1_24adjacent_difference_implIS3_Lb1ELb0EPKiPiN6thrust23THRUST_200600_302600_NS4plusIiEEEE10hipError_tPvRmT2_T3_mT4_P12ihipStream_tbEUlmE_iEESD_NS0_8identityIvEEEESI_SL_SM_mSN_SP_bEUlT_E_NS1_11comp_targetILNS1_3genE9ELNS1_11target_archE1100ELNS1_3gpuE3ELNS1_3repE0EEENS1_30default_config_static_selectorELNS0_4arch9wavefront6targetE1EEEvT1_
	.p2align	8
	.type	_ZN7rocprim17ROCPRIM_400000_NS6detail17trampoline_kernelINS0_14default_configENS1_25transform_config_selectorIiLb0EEEZNS1_14transform_implILb0ES3_S5_NS0_18transform_iteratorINS0_17counting_iteratorImlEEZNS1_24adjacent_difference_implIS3_Lb1ELb0EPKiPiN6thrust23THRUST_200600_302600_NS4plusIiEEEE10hipError_tPvRmT2_T3_mT4_P12ihipStream_tbEUlmE_iEESD_NS0_8identityIvEEEESI_SL_SM_mSN_SP_bEUlT_E_NS1_11comp_targetILNS1_3genE9ELNS1_11target_archE1100ELNS1_3gpuE3ELNS1_3repE0EEENS1_30default_config_static_selectorELNS0_4arch9wavefront6targetE1EEEvT1_,@function
_ZN7rocprim17ROCPRIM_400000_NS6detail17trampoline_kernelINS0_14default_configENS1_25transform_config_selectorIiLb0EEEZNS1_14transform_implILb0ES3_S5_NS0_18transform_iteratorINS0_17counting_iteratorImlEEZNS1_24adjacent_difference_implIS3_Lb1ELb0EPKiPiN6thrust23THRUST_200600_302600_NS4plusIiEEEE10hipError_tPvRmT2_T3_mT4_P12ihipStream_tbEUlmE_iEESD_NS0_8identityIvEEEESI_SL_SM_mSN_SP_bEUlT_E_NS1_11comp_targetILNS1_3genE9ELNS1_11target_archE1100ELNS1_3gpuE3ELNS1_3repE0EEENS1_30default_config_static_selectorELNS0_4arch9wavefront6targetE1EEEvT1_: ; @_ZN7rocprim17ROCPRIM_400000_NS6detail17trampoline_kernelINS0_14default_configENS1_25transform_config_selectorIiLb0EEEZNS1_14transform_implILb0ES3_S5_NS0_18transform_iteratorINS0_17counting_iteratorImlEEZNS1_24adjacent_difference_implIS3_Lb1ELb0EPKiPiN6thrust23THRUST_200600_302600_NS4plusIiEEEE10hipError_tPvRmT2_T3_mT4_P12ihipStream_tbEUlmE_iEESD_NS0_8identityIvEEEESI_SL_SM_mSN_SP_bEUlT_E_NS1_11comp_targetILNS1_3genE9ELNS1_11target_archE1100ELNS1_3gpuE3ELNS1_3repE0EEENS1_30default_config_static_selectorELNS0_4arch9wavefront6targetE1EEEvT1_
; %bb.0:
	.section	.rodata,"a",@progbits
	.p2align	6, 0x0
	.amdhsa_kernel _ZN7rocprim17ROCPRIM_400000_NS6detail17trampoline_kernelINS0_14default_configENS1_25transform_config_selectorIiLb0EEEZNS1_14transform_implILb0ES3_S5_NS0_18transform_iteratorINS0_17counting_iteratorImlEEZNS1_24adjacent_difference_implIS3_Lb1ELb0EPKiPiN6thrust23THRUST_200600_302600_NS4plusIiEEEE10hipError_tPvRmT2_T3_mT4_P12ihipStream_tbEUlmE_iEESD_NS0_8identityIvEEEESI_SL_SM_mSN_SP_bEUlT_E_NS1_11comp_targetILNS1_3genE9ELNS1_11target_archE1100ELNS1_3gpuE3ELNS1_3repE0EEENS1_30default_config_static_selectorELNS0_4arch9wavefront6targetE1EEEvT1_
		.amdhsa_group_segment_fixed_size 0
		.amdhsa_private_segment_fixed_size 0
		.amdhsa_kernarg_size 56
		.amdhsa_user_sgpr_count 6
		.amdhsa_user_sgpr_private_segment_buffer 1
		.amdhsa_user_sgpr_dispatch_ptr 0
		.amdhsa_user_sgpr_queue_ptr 0
		.amdhsa_user_sgpr_kernarg_segment_ptr 1
		.amdhsa_user_sgpr_dispatch_id 0
		.amdhsa_user_sgpr_flat_scratch_init 0
		.amdhsa_user_sgpr_kernarg_preload_length 0
		.amdhsa_user_sgpr_kernarg_preload_offset 0
		.amdhsa_user_sgpr_private_segment_size 0
		.amdhsa_uses_dynamic_stack 0
		.amdhsa_system_sgpr_private_segment_wavefront_offset 0
		.amdhsa_system_sgpr_workgroup_id_x 1
		.amdhsa_system_sgpr_workgroup_id_y 0
		.amdhsa_system_sgpr_workgroup_id_z 0
		.amdhsa_system_sgpr_workgroup_info 0
		.amdhsa_system_vgpr_workitem_id 0
		.amdhsa_next_free_vgpr 1
		.amdhsa_next_free_sgpr 0
		.amdhsa_accum_offset 4
		.amdhsa_reserve_vcc 0
		.amdhsa_reserve_flat_scratch 0
		.amdhsa_float_round_mode_32 0
		.amdhsa_float_round_mode_16_64 0
		.amdhsa_float_denorm_mode_32 3
		.amdhsa_float_denorm_mode_16_64 3
		.amdhsa_dx10_clamp 1
		.amdhsa_ieee_mode 1
		.amdhsa_fp16_overflow 0
		.amdhsa_tg_split 0
		.amdhsa_exception_fp_ieee_invalid_op 0
		.amdhsa_exception_fp_denorm_src 0
		.amdhsa_exception_fp_ieee_div_zero 0
		.amdhsa_exception_fp_ieee_overflow 0
		.amdhsa_exception_fp_ieee_underflow 0
		.amdhsa_exception_fp_ieee_inexact 0
		.amdhsa_exception_int_div_zero 0
	.end_amdhsa_kernel
	.section	.text._ZN7rocprim17ROCPRIM_400000_NS6detail17trampoline_kernelINS0_14default_configENS1_25transform_config_selectorIiLb0EEEZNS1_14transform_implILb0ES3_S5_NS0_18transform_iteratorINS0_17counting_iteratorImlEEZNS1_24adjacent_difference_implIS3_Lb1ELb0EPKiPiN6thrust23THRUST_200600_302600_NS4plusIiEEEE10hipError_tPvRmT2_T3_mT4_P12ihipStream_tbEUlmE_iEESD_NS0_8identityIvEEEESI_SL_SM_mSN_SP_bEUlT_E_NS1_11comp_targetILNS1_3genE9ELNS1_11target_archE1100ELNS1_3gpuE3ELNS1_3repE0EEENS1_30default_config_static_selectorELNS0_4arch9wavefront6targetE1EEEvT1_,"axG",@progbits,_ZN7rocprim17ROCPRIM_400000_NS6detail17trampoline_kernelINS0_14default_configENS1_25transform_config_selectorIiLb0EEEZNS1_14transform_implILb0ES3_S5_NS0_18transform_iteratorINS0_17counting_iteratorImlEEZNS1_24adjacent_difference_implIS3_Lb1ELb0EPKiPiN6thrust23THRUST_200600_302600_NS4plusIiEEEE10hipError_tPvRmT2_T3_mT4_P12ihipStream_tbEUlmE_iEESD_NS0_8identityIvEEEESI_SL_SM_mSN_SP_bEUlT_E_NS1_11comp_targetILNS1_3genE9ELNS1_11target_archE1100ELNS1_3gpuE3ELNS1_3repE0EEENS1_30default_config_static_selectorELNS0_4arch9wavefront6targetE1EEEvT1_,comdat
.Lfunc_end581:
	.size	_ZN7rocprim17ROCPRIM_400000_NS6detail17trampoline_kernelINS0_14default_configENS1_25transform_config_selectorIiLb0EEEZNS1_14transform_implILb0ES3_S5_NS0_18transform_iteratorINS0_17counting_iteratorImlEEZNS1_24adjacent_difference_implIS3_Lb1ELb0EPKiPiN6thrust23THRUST_200600_302600_NS4plusIiEEEE10hipError_tPvRmT2_T3_mT4_P12ihipStream_tbEUlmE_iEESD_NS0_8identityIvEEEESI_SL_SM_mSN_SP_bEUlT_E_NS1_11comp_targetILNS1_3genE9ELNS1_11target_archE1100ELNS1_3gpuE3ELNS1_3repE0EEENS1_30default_config_static_selectorELNS0_4arch9wavefront6targetE1EEEvT1_, .Lfunc_end581-_ZN7rocprim17ROCPRIM_400000_NS6detail17trampoline_kernelINS0_14default_configENS1_25transform_config_selectorIiLb0EEEZNS1_14transform_implILb0ES3_S5_NS0_18transform_iteratorINS0_17counting_iteratorImlEEZNS1_24adjacent_difference_implIS3_Lb1ELb0EPKiPiN6thrust23THRUST_200600_302600_NS4plusIiEEEE10hipError_tPvRmT2_T3_mT4_P12ihipStream_tbEUlmE_iEESD_NS0_8identityIvEEEESI_SL_SM_mSN_SP_bEUlT_E_NS1_11comp_targetILNS1_3genE9ELNS1_11target_archE1100ELNS1_3gpuE3ELNS1_3repE0EEENS1_30default_config_static_selectorELNS0_4arch9wavefront6targetE1EEEvT1_
                                        ; -- End function
	.section	.AMDGPU.csdata,"",@progbits
; Kernel info:
; codeLenInByte = 0
; NumSgprs: 4
; NumVgprs: 0
; NumAgprs: 0
; TotalNumVgprs: 0
; ScratchSize: 0
; MemoryBound: 0
; FloatMode: 240
; IeeeMode: 1
; LDSByteSize: 0 bytes/workgroup (compile time only)
; SGPRBlocks: 0
; VGPRBlocks: 0
; NumSGPRsForWavesPerEU: 4
; NumVGPRsForWavesPerEU: 1
; AccumOffset: 4
; Occupancy: 8
; WaveLimiterHint : 0
; COMPUTE_PGM_RSRC2:SCRATCH_EN: 0
; COMPUTE_PGM_RSRC2:USER_SGPR: 6
; COMPUTE_PGM_RSRC2:TRAP_HANDLER: 0
; COMPUTE_PGM_RSRC2:TGID_X_EN: 1
; COMPUTE_PGM_RSRC2:TGID_Y_EN: 0
; COMPUTE_PGM_RSRC2:TGID_Z_EN: 0
; COMPUTE_PGM_RSRC2:TIDIG_COMP_CNT: 0
; COMPUTE_PGM_RSRC3_GFX90A:ACCUM_OFFSET: 0
; COMPUTE_PGM_RSRC3_GFX90A:TG_SPLIT: 0
	.section	.text._ZN7rocprim17ROCPRIM_400000_NS6detail17trampoline_kernelINS0_14default_configENS1_25transform_config_selectorIiLb0EEEZNS1_14transform_implILb0ES3_S5_NS0_18transform_iteratorINS0_17counting_iteratorImlEEZNS1_24adjacent_difference_implIS3_Lb1ELb0EPKiPiN6thrust23THRUST_200600_302600_NS4plusIiEEEE10hipError_tPvRmT2_T3_mT4_P12ihipStream_tbEUlmE_iEESD_NS0_8identityIvEEEESI_SL_SM_mSN_SP_bEUlT_E_NS1_11comp_targetILNS1_3genE8ELNS1_11target_archE1030ELNS1_3gpuE2ELNS1_3repE0EEENS1_30default_config_static_selectorELNS0_4arch9wavefront6targetE1EEEvT1_,"axG",@progbits,_ZN7rocprim17ROCPRIM_400000_NS6detail17trampoline_kernelINS0_14default_configENS1_25transform_config_selectorIiLb0EEEZNS1_14transform_implILb0ES3_S5_NS0_18transform_iteratorINS0_17counting_iteratorImlEEZNS1_24adjacent_difference_implIS3_Lb1ELb0EPKiPiN6thrust23THRUST_200600_302600_NS4plusIiEEEE10hipError_tPvRmT2_T3_mT4_P12ihipStream_tbEUlmE_iEESD_NS0_8identityIvEEEESI_SL_SM_mSN_SP_bEUlT_E_NS1_11comp_targetILNS1_3genE8ELNS1_11target_archE1030ELNS1_3gpuE2ELNS1_3repE0EEENS1_30default_config_static_selectorELNS0_4arch9wavefront6targetE1EEEvT1_,comdat
	.protected	_ZN7rocprim17ROCPRIM_400000_NS6detail17trampoline_kernelINS0_14default_configENS1_25transform_config_selectorIiLb0EEEZNS1_14transform_implILb0ES3_S5_NS0_18transform_iteratorINS0_17counting_iteratorImlEEZNS1_24adjacent_difference_implIS3_Lb1ELb0EPKiPiN6thrust23THRUST_200600_302600_NS4plusIiEEEE10hipError_tPvRmT2_T3_mT4_P12ihipStream_tbEUlmE_iEESD_NS0_8identityIvEEEESI_SL_SM_mSN_SP_bEUlT_E_NS1_11comp_targetILNS1_3genE8ELNS1_11target_archE1030ELNS1_3gpuE2ELNS1_3repE0EEENS1_30default_config_static_selectorELNS0_4arch9wavefront6targetE1EEEvT1_ ; -- Begin function _ZN7rocprim17ROCPRIM_400000_NS6detail17trampoline_kernelINS0_14default_configENS1_25transform_config_selectorIiLb0EEEZNS1_14transform_implILb0ES3_S5_NS0_18transform_iteratorINS0_17counting_iteratorImlEEZNS1_24adjacent_difference_implIS3_Lb1ELb0EPKiPiN6thrust23THRUST_200600_302600_NS4plusIiEEEE10hipError_tPvRmT2_T3_mT4_P12ihipStream_tbEUlmE_iEESD_NS0_8identityIvEEEESI_SL_SM_mSN_SP_bEUlT_E_NS1_11comp_targetILNS1_3genE8ELNS1_11target_archE1030ELNS1_3gpuE2ELNS1_3repE0EEENS1_30default_config_static_selectorELNS0_4arch9wavefront6targetE1EEEvT1_
	.globl	_ZN7rocprim17ROCPRIM_400000_NS6detail17trampoline_kernelINS0_14default_configENS1_25transform_config_selectorIiLb0EEEZNS1_14transform_implILb0ES3_S5_NS0_18transform_iteratorINS0_17counting_iteratorImlEEZNS1_24adjacent_difference_implIS3_Lb1ELb0EPKiPiN6thrust23THRUST_200600_302600_NS4plusIiEEEE10hipError_tPvRmT2_T3_mT4_P12ihipStream_tbEUlmE_iEESD_NS0_8identityIvEEEESI_SL_SM_mSN_SP_bEUlT_E_NS1_11comp_targetILNS1_3genE8ELNS1_11target_archE1030ELNS1_3gpuE2ELNS1_3repE0EEENS1_30default_config_static_selectorELNS0_4arch9wavefront6targetE1EEEvT1_
	.p2align	8
	.type	_ZN7rocprim17ROCPRIM_400000_NS6detail17trampoline_kernelINS0_14default_configENS1_25transform_config_selectorIiLb0EEEZNS1_14transform_implILb0ES3_S5_NS0_18transform_iteratorINS0_17counting_iteratorImlEEZNS1_24adjacent_difference_implIS3_Lb1ELb0EPKiPiN6thrust23THRUST_200600_302600_NS4plusIiEEEE10hipError_tPvRmT2_T3_mT4_P12ihipStream_tbEUlmE_iEESD_NS0_8identityIvEEEESI_SL_SM_mSN_SP_bEUlT_E_NS1_11comp_targetILNS1_3genE8ELNS1_11target_archE1030ELNS1_3gpuE2ELNS1_3repE0EEENS1_30default_config_static_selectorELNS0_4arch9wavefront6targetE1EEEvT1_,@function
_ZN7rocprim17ROCPRIM_400000_NS6detail17trampoline_kernelINS0_14default_configENS1_25transform_config_selectorIiLb0EEEZNS1_14transform_implILb0ES3_S5_NS0_18transform_iteratorINS0_17counting_iteratorImlEEZNS1_24adjacent_difference_implIS3_Lb1ELb0EPKiPiN6thrust23THRUST_200600_302600_NS4plusIiEEEE10hipError_tPvRmT2_T3_mT4_P12ihipStream_tbEUlmE_iEESD_NS0_8identityIvEEEESI_SL_SM_mSN_SP_bEUlT_E_NS1_11comp_targetILNS1_3genE8ELNS1_11target_archE1030ELNS1_3gpuE2ELNS1_3repE0EEENS1_30default_config_static_selectorELNS0_4arch9wavefront6targetE1EEEvT1_: ; @_ZN7rocprim17ROCPRIM_400000_NS6detail17trampoline_kernelINS0_14default_configENS1_25transform_config_selectorIiLb0EEEZNS1_14transform_implILb0ES3_S5_NS0_18transform_iteratorINS0_17counting_iteratorImlEEZNS1_24adjacent_difference_implIS3_Lb1ELb0EPKiPiN6thrust23THRUST_200600_302600_NS4plusIiEEEE10hipError_tPvRmT2_T3_mT4_P12ihipStream_tbEUlmE_iEESD_NS0_8identityIvEEEESI_SL_SM_mSN_SP_bEUlT_E_NS1_11comp_targetILNS1_3genE8ELNS1_11target_archE1030ELNS1_3gpuE2ELNS1_3repE0EEENS1_30default_config_static_selectorELNS0_4arch9wavefront6targetE1EEEvT1_
; %bb.0:
	.section	.rodata,"a",@progbits
	.p2align	6, 0x0
	.amdhsa_kernel _ZN7rocprim17ROCPRIM_400000_NS6detail17trampoline_kernelINS0_14default_configENS1_25transform_config_selectorIiLb0EEEZNS1_14transform_implILb0ES3_S5_NS0_18transform_iteratorINS0_17counting_iteratorImlEEZNS1_24adjacent_difference_implIS3_Lb1ELb0EPKiPiN6thrust23THRUST_200600_302600_NS4plusIiEEEE10hipError_tPvRmT2_T3_mT4_P12ihipStream_tbEUlmE_iEESD_NS0_8identityIvEEEESI_SL_SM_mSN_SP_bEUlT_E_NS1_11comp_targetILNS1_3genE8ELNS1_11target_archE1030ELNS1_3gpuE2ELNS1_3repE0EEENS1_30default_config_static_selectorELNS0_4arch9wavefront6targetE1EEEvT1_
		.amdhsa_group_segment_fixed_size 0
		.amdhsa_private_segment_fixed_size 0
		.amdhsa_kernarg_size 56
		.amdhsa_user_sgpr_count 6
		.amdhsa_user_sgpr_private_segment_buffer 1
		.amdhsa_user_sgpr_dispatch_ptr 0
		.amdhsa_user_sgpr_queue_ptr 0
		.amdhsa_user_sgpr_kernarg_segment_ptr 1
		.amdhsa_user_sgpr_dispatch_id 0
		.amdhsa_user_sgpr_flat_scratch_init 0
		.amdhsa_user_sgpr_kernarg_preload_length 0
		.amdhsa_user_sgpr_kernarg_preload_offset 0
		.amdhsa_user_sgpr_private_segment_size 0
		.amdhsa_uses_dynamic_stack 0
		.amdhsa_system_sgpr_private_segment_wavefront_offset 0
		.amdhsa_system_sgpr_workgroup_id_x 1
		.amdhsa_system_sgpr_workgroup_id_y 0
		.amdhsa_system_sgpr_workgroup_id_z 0
		.amdhsa_system_sgpr_workgroup_info 0
		.amdhsa_system_vgpr_workitem_id 0
		.amdhsa_next_free_vgpr 1
		.amdhsa_next_free_sgpr 0
		.amdhsa_accum_offset 4
		.amdhsa_reserve_vcc 0
		.amdhsa_reserve_flat_scratch 0
		.amdhsa_float_round_mode_32 0
		.amdhsa_float_round_mode_16_64 0
		.amdhsa_float_denorm_mode_32 3
		.amdhsa_float_denorm_mode_16_64 3
		.amdhsa_dx10_clamp 1
		.amdhsa_ieee_mode 1
		.amdhsa_fp16_overflow 0
		.amdhsa_tg_split 0
		.amdhsa_exception_fp_ieee_invalid_op 0
		.amdhsa_exception_fp_denorm_src 0
		.amdhsa_exception_fp_ieee_div_zero 0
		.amdhsa_exception_fp_ieee_overflow 0
		.amdhsa_exception_fp_ieee_underflow 0
		.amdhsa_exception_fp_ieee_inexact 0
		.amdhsa_exception_int_div_zero 0
	.end_amdhsa_kernel
	.section	.text._ZN7rocprim17ROCPRIM_400000_NS6detail17trampoline_kernelINS0_14default_configENS1_25transform_config_selectorIiLb0EEEZNS1_14transform_implILb0ES3_S5_NS0_18transform_iteratorINS0_17counting_iteratorImlEEZNS1_24adjacent_difference_implIS3_Lb1ELb0EPKiPiN6thrust23THRUST_200600_302600_NS4plusIiEEEE10hipError_tPvRmT2_T3_mT4_P12ihipStream_tbEUlmE_iEESD_NS0_8identityIvEEEESI_SL_SM_mSN_SP_bEUlT_E_NS1_11comp_targetILNS1_3genE8ELNS1_11target_archE1030ELNS1_3gpuE2ELNS1_3repE0EEENS1_30default_config_static_selectorELNS0_4arch9wavefront6targetE1EEEvT1_,"axG",@progbits,_ZN7rocprim17ROCPRIM_400000_NS6detail17trampoline_kernelINS0_14default_configENS1_25transform_config_selectorIiLb0EEEZNS1_14transform_implILb0ES3_S5_NS0_18transform_iteratorINS0_17counting_iteratorImlEEZNS1_24adjacent_difference_implIS3_Lb1ELb0EPKiPiN6thrust23THRUST_200600_302600_NS4plusIiEEEE10hipError_tPvRmT2_T3_mT4_P12ihipStream_tbEUlmE_iEESD_NS0_8identityIvEEEESI_SL_SM_mSN_SP_bEUlT_E_NS1_11comp_targetILNS1_3genE8ELNS1_11target_archE1030ELNS1_3gpuE2ELNS1_3repE0EEENS1_30default_config_static_selectorELNS0_4arch9wavefront6targetE1EEEvT1_,comdat
.Lfunc_end582:
	.size	_ZN7rocprim17ROCPRIM_400000_NS6detail17trampoline_kernelINS0_14default_configENS1_25transform_config_selectorIiLb0EEEZNS1_14transform_implILb0ES3_S5_NS0_18transform_iteratorINS0_17counting_iteratorImlEEZNS1_24adjacent_difference_implIS3_Lb1ELb0EPKiPiN6thrust23THRUST_200600_302600_NS4plusIiEEEE10hipError_tPvRmT2_T3_mT4_P12ihipStream_tbEUlmE_iEESD_NS0_8identityIvEEEESI_SL_SM_mSN_SP_bEUlT_E_NS1_11comp_targetILNS1_3genE8ELNS1_11target_archE1030ELNS1_3gpuE2ELNS1_3repE0EEENS1_30default_config_static_selectorELNS0_4arch9wavefront6targetE1EEEvT1_, .Lfunc_end582-_ZN7rocprim17ROCPRIM_400000_NS6detail17trampoline_kernelINS0_14default_configENS1_25transform_config_selectorIiLb0EEEZNS1_14transform_implILb0ES3_S5_NS0_18transform_iteratorINS0_17counting_iteratorImlEEZNS1_24adjacent_difference_implIS3_Lb1ELb0EPKiPiN6thrust23THRUST_200600_302600_NS4plusIiEEEE10hipError_tPvRmT2_T3_mT4_P12ihipStream_tbEUlmE_iEESD_NS0_8identityIvEEEESI_SL_SM_mSN_SP_bEUlT_E_NS1_11comp_targetILNS1_3genE8ELNS1_11target_archE1030ELNS1_3gpuE2ELNS1_3repE0EEENS1_30default_config_static_selectorELNS0_4arch9wavefront6targetE1EEEvT1_
                                        ; -- End function
	.section	.AMDGPU.csdata,"",@progbits
; Kernel info:
; codeLenInByte = 0
; NumSgprs: 4
; NumVgprs: 0
; NumAgprs: 0
; TotalNumVgprs: 0
; ScratchSize: 0
; MemoryBound: 0
; FloatMode: 240
; IeeeMode: 1
; LDSByteSize: 0 bytes/workgroup (compile time only)
; SGPRBlocks: 0
; VGPRBlocks: 0
; NumSGPRsForWavesPerEU: 4
; NumVGPRsForWavesPerEU: 1
; AccumOffset: 4
; Occupancy: 8
; WaveLimiterHint : 0
; COMPUTE_PGM_RSRC2:SCRATCH_EN: 0
; COMPUTE_PGM_RSRC2:USER_SGPR: 6
; COMPUTE_PGM_RSRC2:TRAP_HANDLER: 0
; COMPUTE_PGM_RSRC2:TGID_X_EN: 1
; COMPUTE_PGM_RSRC2:TGID_Y_EN: 0
; COMPUTE_PGM_RSRC2:TGID_Z_EN: 0
; COMPUTE_PGM_RSRC2:TIDIG_COMP_CNT: 0
; COMPUTE_PGM_RSRC3_GFX90A:ACCUM_OFFSET: 0
; COMPUTE_PGM_RSRC3_GFX90A:TG_SPLIT: 0
	.section	.text._ZN7rocprim17ROCPRIM_400000_NS6detail17trampoline_kernelINS0_14default_configENS1_35adjacent_difference_config_selectorILb1EiEEZNS1_24adjacent_difference_implIS3_Lb1ELb0EPKiPiN6thrust23THRUST_200600_302600_NS4plusIiEEEE10hipError_tPvRmT2_T3_mT4_P12ihipStream_tbEUlT_E_NS1_11comp_targetILNS1_3genE0ELNS1_11target_archE4294967295ELNS1_3gpuE0ELNS1_3repE0EEENS1_30default_config_static_selectorELNS0_4arch9wavefront6targetE1EEEvT1_,"axG",@progbits,_ZN7rocprim17ROCPRIM_400000_NS6detail17trampoline_kernelINS0_14default_configENS1_35adjacent_difference_config_selectorILb1EiEEZNS1_24adjacent_difference_implIS3_Lb1ELb0EPKiPiN6thrust23THRUST_200600_302600_NS4plusIiEEEE10hipError_tPvRmT2_T3_mT4_P12ihipStream_tbEUlT_E_NS1_11comp_targetILNS1_3genE0ELNS1_11target_archE4294967295ELNS1_3gpuE0ELNS1_3repE0EEENS1_30default_config_static_selectorELNS0_4arch9wavefront6targetE1EEEvT1_,comdat
	.protected	_ZN7rocprim17ROCPRIM_400000_NS6detail17trampoline_kernelINS0_14default_configENS1_35adjacent_difference_config_selectorILb1EiEEZNS1_24adjacent_difference_implIS3_Lb1ELb0EPKiPiN6thrust23THRUST_200600_302600_NS4plusIiEEEE10hipError_tPvRmT2_T3_mT4_P12ihipStream_tbEUlT_E_NS1_11comp_targetILNS1_3genE0ELNS1_11target_archE4294967295ELNS1_3gpuE0ELNS1_3repE0EEENS1_30default_config_static_selectorELNS0_4arch9wavefront6targetE1EEEvT1_ ; -- Begin function _ZN7rocprim17ROCPRIM_400000_NS6detail17trampoline_kernelINS0_14default_configENS1_35adjacent_difference_config_selectorILb1EiEEZNS1_24adjacent_difference_implIS3_Lb1ELb0EPKiPiN6thrust23THRUST_200600_302600_NS4plusIiEEEE10hipError_tPvRmT2_T3_mT4_P12ihipStream_tbEUlT_E_NS1_11comp_targetILNS1_3genE0ELNS1_11target_archE4294967295ELNS1_3gpuE0ELNS1_3repE0EEENS1_30default_config_static_selectorELNS0_4arch9wavefront6targetE1EEEvT1_
	.globl	_ZN7rocprim17ROCPRIM_400000_NS6detail17trampoline_kernelINS0_14default_configENS1_35adjacent_difference_config_selectorILb1EiEEZNS1_24adjacent_difference_implIS3_Lb1ELb0EPKiPiN6thrust23THRUST_200600_302600_NS4plusIiEEEE10hipError_tPvRmT2_T3_mT4_P12ihipStream_tbEUlT_E_NS1_11comp_targetILNS1_3genE0ELNS1_11target_archE4294967295ELNS1_3gpuE0ELNS1_3repE0EEENS1_30default_config_static_selectorELNS0_4arch9wavefront6targetE1EEEvT1_
	.p2align	8
	.type	_ZN7rocprim17ROCPRIM_400000_NS6detail17trampoline_kernelINS0_14default_configENS1_35adjacent_difference_config_selectorILb1EiEEZNS1_24adjacent_difference_implIS3_Lb1ELb0EPKiPiN6thrust23THRUST_200600_302600_NS4plusIiEEEE10hipError_tPvRmT2_T3_mT4_P12ihipStream_tbEUlT_E_NS1_11comp_targetILNS1_3genE0ELNS1_11target_archE4294967295ELNS1_3gpuE0ELNS1_3repE0EEENS1_30default_config_static_selectorELNS0_4arch9wavefront6targetE1EEEvT1_,@function
_ZN7rocprim17ROCPRIM_400000_NS6detail17trampoline_kernelINS0_14default_configENS1_35adjacent_difference_config_selectorILb1EiEEZNS1_24adjacent_difference_implIS3_Lb1ELb0EPKiPiN6thrust23THRUST_200600_302600_NS4plusIiEEEE10hipError_tPvRmT2_T3_mT4_P12ihipStream_tbEUlT_E_NS1_11comp_targetILNS1_3genE0ELNS1_11target_archE4294967295ELNS1_3gpuE0ELNS1_3repE0EEENS1_30default_config_static_selectorELNS0_4arch9wavefront6targetE1EEEvT1_: ; @_ZN7rocprim17ROCPRIM_400000_NS6detail17trampoline_kernelINS0_14default_configENS1_35adjacent_difference_config_selectorILb1EiEEZNS1_24adjacent_difference_implIS3_Lb1ELb0EPKiPiN6thrust23THRUST_200600_302600_NS4plusIiEEEE10hipError_tPvRmT2_T3_mT4_P12ihipStream_tbEUlT_E_NS1_11comp_targetILNS1_3genE0ELNS1_11target_archE4294967295ELNS1_3gpuE0ELNS1_3repE0EEENS1_30default_config_static_selectorELNS0_4arch9wavefront6targetE1EEEvT1_
; %bb.0:
	.section	.rodata,"a",@progbits
	.p2align	6, 0x0
	.amdhsa_kernel _ZN7rocprim17ROCPRIM_400000_NS6detail17trampoline_kernelINS0_14default_configENS1_35adjacent_difference_config_selectorILb1EiEEZNS1_24adjacent_difference_implIS3_Lb1ELb0EPKiPiN6thrust23THRUST_200600_302600_NS4plusIiEEEE10hipError_tPvRmT2_T3_mT4_P12ihipStream_tbEUlT_E_NS1_11comp_targetILNS1_3genE0ELNS1_11target_archE4294967295ELNS1_3gpuE0ELNS1_3repE0EEENS1_30default_config_static_selectorELNS0_4arch9wavefront6targetE1EEEvT1_
		.amdhsa_group_segment_fixed_size 0
		.amdhsa_private_segment_fixed_size 0
		.amdhsa_kernarg_size 56
		.amdhsa_user_sgpr_count 6
		.amdhsa_user_sgpr_private_segment_buffer 1
		.amdhsa_user_sgpr_dispatch_ptr 0
		.amdhsa_user_sgpr_queue_ptr 0
		.amdhsa_user_sgpr_kernarg_segment_ptr 1
		.amdhsa_user_sgpr_dispatch_id 0
		.amdhsa_user_sgpr_flat_scratch_init 0
		.amdhsa_user_sgpr_kernarg_preload_length 0
		.amdhsa_user_sgpr_kernarg_preload_offset 0
		.amdhsa_user_sgpr_private_segment_size 0
		.amdhsa_uses_dynamic_stack 0
		.amdhsa_system_sgpr_private_segment_wavefront_offset 0
		.amdhsa_system_sgpr_workgroup_id_x 1
		.amdhsa_system_sgpr_workgroup_id_y 0
		.amdhsa_system_sgpr_workgroup_id_z 0
		.amdhsa_system_sgpr_workgroup_info 0
		.amdhsa_system_vgpr_workitem_id 0
		.amdhsa_next_free_vgpr 1
		.amdhsa_next_free_sgpr 0
		.amdhsa_accum_offset 4
		.amdhsa_reserve_vcc 0
		.amdhsa_reserve_flat_scratch 0
		.amdhsa_float_round_mode_32 0
		.amdhsa_float_round_mode_16_64 0
		.amdhsa_float_denorm_mode_32 3
		.amdhsa_float_denorm_mode_16_64 3
		.amdhsa_dx10_clamp 1
		.amdhsa_ieee_mode 1
		.amdhsa_fp16_overflow 0
		.amdhsa_tg_split 0
		.amdhsa_exception_fp_ieee_invalid_op 0
		.amdhsa_exception_fp_denorm_src 0
		.amdhsa_exception_fp_ieee_div_zero 0
		.amdhsa_exception_fp_ieee_overflow 0
		.amdhsa_exception_fp_ieee_underflow 0
		.amdhsa_exception_fp_ieee_inexact 0
		.amdhsa_exception_int_div_zero 0
	.end_amdhsa_kernel
	.section	.text._ZN7rocprim17ROCPRIM_400000_NS6detail17trampoline_kernelINS0_14default_configENS1_35adjacent_difference_config_selectorILb1EiEEZNS1_24adjacent_difference_implIS3_Lb1ELb0EPKiPiN6thrust23THRUST_200600_302600_NS4plusIiEEEE10hipError_tPvRmT2_T3_mT4_P12ihipStream_tbEUlT_E_NS1_11comp_targetILNS1_3genE0ELNS1_11target_archE4294967295ELNS1_3gpuE0ELNS1_3repE0EEENS1_30default_config_static_selectorELNS0_4arch9wavefront6targetE1EEEvT1_,"axG",@progbits,_ZN7rocprim17ROCPRIM_400000_NS6detail17trampoline_kernelINS0_14default_configENS1_35adjacent_difference_config_selectorILb1EiEEZNS1_24adjacent_difference_implIS3_Lb1ELb0EPKiPiN6thrust23THRUST_200600_302600_NS4plusIiEEEE10hipError_tPvRmT2_T3_mT4_P12ihipStream_tbEUlT_E_NS1_11comp_targetILNS1_3genE0ELNS1_11target_archE4294967295ELNS1_3gpuE0ELNS1_3repE0EEENS1_30default_config_static_selectorELNS0_4arch9wavefront6targetE1EEEvT1_,comdat
.Lfunc_end583:
	.size	_ZN7rocprim17ROCPRIM_400000_NS6detail17trampoline_kernelINS0_14default_configENS1_35adjacent_difference_config_selectorILb1EiEEZNS1_24adjacent_difference_implIS3_Lb1ELb0EPKiPiN6thrust23THRUST_200600_302600_NS4plusIiEEEE10hipError_tPvRmT2_T3_mT4_P12ihipStream_tbEUlT_E_NS1_11comp_targetILNS1_3genE0ELNS1_11target_archE4294967295ELNS1_3gpuE0ELNS1_3repE0EEENS1_30default_config_static_selectorELNS0_4arch9wavefront6targetE1EEEvT1_, .Lfunc_end583-_ZN7rocprim17ROCPRIM_400000_NS6detail17trampoline_kernelINS0_14default_configENS1_35adjacent_difference_config_selectorILb1EiEEZNS1_24adjacent_difference_implIS3_Lb1ELb0EPKiPiN6thrust23THRUST_200600_302600_NS4plusIiEEEE10hipError_tPvRmT2_T3_mT4_P12ihipStream_tbEUlT_E_NS1_11comp_targetILNS1_3genE0ELNS1_11target_archE4294967295ELNS1_3gpuE0ELNS1_3repE0EEENS1_30default_config_static_selectorELNS0_4arch9wavefront6targetE1EEEvT1_
                                        ; -- End function
	.section	.AMDGPU.csdata,"",@progbits
; Kernel info:
; codeLenInByte = 0
; NumSgprs: 4
; NumVgprs: 0
; NumAgprs: 0
; TotalNumVgprs: 0
; ScratchSize: 0
; MemoryBound: 0
; FloatMode: 240
; IeeeMode: 1
; LDSByteSize: 0 bytes/workgroup (compile time only)
; SGPRBlocks: 0
; VGPRBlocks: 0
; NumSGPRsForWavesPerEU: 4
; NumVGPRsForWavesPerEU: 1
; AccumOffset: 4
; Occupancy: 8
; WaveLimiterHint : 0
; COMPUTE_PGM_RSRC2:SCRATCH_EN: 0
; COMPUTE_PGM_RSRC2:USER_SGPR: 6
; COMPUTE_PGM_RSRC2:TRAP_HANDLER: 0
; COMPUTE_PGM_RSRC2:TGID_X_EN: 1
; COMPUTE_PGM_RSRC2:TGID_Y_EN: 0
; COMPUTE_PGM_RSRC2:TGID_Z_EN: 0
; COMPUTE_PGM_RSRC2:TIDIG_COMP_CNT: 0
; COMPUTE_PGM_RSRC3_GFX90A:ACCUM_OFFSET: 0
; COMPUTE_PGM_RSRC3_GFX90A:TG_SPLIT: 0
	.section	.text._ZN7rocprim17ROCPRIM_400000_NS6detail17trampoline_kernelINS0_14default_configENS1_35adjacent_difference_config_selectorILb1EiEEZNS1_24adjacent_difference_implIS3_Lb1ELb0EPKiPiN6thrust23THRUST_200600_302600_NS4plusIiEEEE10hipError_tPvRmT2_T3_mT4_P12ihipStream_tbEUlT_E_NS1_11comp_targetILNS1_3genE10ELNS1_11target_archE1201ELNS1_3gpuE5ELNS1_3repE0EEENS1_30default_config_static_selectorELNS0_4arch9wavefront6targetE1EEEvT1_,"axG",@progbits,_ZN7rocprim17ROCPRIM_400000_NS6detail17trampoline_kernelINS0_14default_configENS1_35adjacent_difference_config_selectorILb1EiEEZNS1_24adjacent_difference_implIS3_Lb1ELb0EPKiPiN6thrust23THRUST_200600_302600_NS4plusIiEEEE10hipError_tPvRmT2_T3_mT4_P12ihipStream_tbEUlT_E_NS1_11comp_targetILNS1_3genE10ELNS1_11target_archE1201ELNS1_3gpuE5ELNS1_3repE0EEENS1_30default_config_static_selectorELNS0_4arch9wavefront6targetE1EEEvT1_,comdat
	.protected	_ZN7rocprim17ROCPRIM_400000_NS6detail17trampoline_kernelINS0_14default_configENS1_35adjacent_difference_config_selectorILb1EiEEZNS1_24adjacent_difference_implIS3_Lb1ELb0EPKiPiN6thrust23THRUST_200600_302600_NS4plusIiEEEE10hipError_tPvRmT2_T3_mT4_P12ihipStream_tbEUlT_E_NS1_11comp_targetILNS1_3genE10ELNS1_11target_archE1201ELNS1_3gpuE5ELNS1_3repE0EEENS1_30default_config_static_selectorELNS0_4arch9wavefront6targetE1EEEvT1_ ; -- Begin function _ZN7rocprim17ROCPRIM_400000_NS6detail17trampoline_kernelINS0_14default_configENS1_35adjacent_difference_config_selectorILb1EiEEZNS1_24adjacent_difference_implIS3_Lb1ELb0EPKiPiN6thrust23THRUST_200600_302600_NS4plusIiEEEE10hipError_tPvRmT2_T3_mT4_P12ihipStream_tbEUlT_E_NS1_11comp_targetILNS1_3genE10ELNS1_11target_archE1201ELNS1_3gpuE5ELNS1_3repE0EEENS1_30default_config_static_selectorELNS0_4arch9wavefront6targetE1EEEvT1_
	.globl	_ZN7rocprim17ROCPRIM_400000_NS6detail17trampoline_kernelINS0_14default_configENS1_35adjacent_difference_config_selectorILb1EiEEZNS1_24adjacent_difference_implIS3_Lb1ELb0EPKiPiN6thrust23THRUST_200600_302600_NS4plusIiEEEE10hipError_tPvRmT2_T3_mT4_P12ihipStream_tbEUlT_E_NS1_11comp_targetILNS1_3genE10ELNS1_11target_archE1201ELNS1_3gpuE5ELNS1_3repE0EEENS1_30default_config_static_selectorELNS0_4arch9wavefront6targetE1EEEvT1_
	.p2align	8
	.type	_ZN7rocprim17ROCPRIM_400000_NS6detail17trampoline_kernelINS0_14default_configENS1_35adjacent_difference_config_selectorILb1EiEEZNS1_24adjacent_difference_implIS3_Lb1ELb0EPKiPiN6thrust23THRUST_200600_302600_NS4plusIiEEEE10hipError_tPvRmT2_T3_mT4_P12ihipStream_tbEUlT_E_NS1_11comp_targetILNS1_3genE10ELNS1_11target_archE1201ELNS1_3gpuE5ELNS1_3repE0EEENS1_30default_config_static_selectorELNS0_4arch9wavefront6targetE1EEEvT1_,@function
_ZN7rocprim17ROCPRIM_400000_NS6detail17trampoline_kernelINS0_14default_configENS1_35adjacent_difference_config_selectorILb1EiEEZNS1_24adjacent_difference_implIS3_Lb1ELb0EPKiPiN6thrust23THRUST_200600_302600_NS4plusIiEEEE10hipError_tPvRmT2_T3_mT4_P12ihipStream_tbEUlT_E_NS1_11comp_targetILNS1_3genE10ELNS1_11target_archE1201ELNS1_3gpuE5ELNS1_3repE0EEENS1_30default_config_static_selectorELNS0_4arch9wavefront6targetE1EEEvT1_: ; @_ZN7rocprim17ROCPRIM_400000_NS6detail17trampoline_kernelINS0_14default_configENS1_35adjacent_difference_config_selectorILb1EiEEZNS1_24adjacent_difference_implIS3_Lb1ELb0EPKiPiN6thrust23THRUST_200600_302600_NS4plusIiEEEE10hipError_tPvRmT2_T3_mT4_P12ihipStream_tbEUlT_E_NS1_11comp_targetILNS1_3genE10ELNS1_11target_archE1201ELNS1_3gpuE5ELNS1_3repE0EEENS1_30default_config_static_selectorELNS0_4arch9wavefront6targetE1EEEvT1_
; %bb.0:
	.section	.rodata,"a",@progbits
	.p2align	6, 0x0
	.amdhsa_kernel _ZN7rocprim17ROCPRIM_400000_NS6detail17trampoline_kernelINS0_14default_configENS1_35adjacent_difference_config_selectorILb1EiEEZNS1_24adjacent_difference_implIS3_Lb1ELb0EPKiPiN6thrust23THRUST_200600_302600_NS4plusIiEEEE10hipError_tPvRmT2_T3_mT4_P12ihipStream_tbEUlT_E_NS1_11comp_targetILNS1_3genE10ELNS1_11target_archE1201ELNS1_3gpuE5ELNS1_3repE0EEENS1_30default_config_static_selectorELNS0_4arch9wavefront6targetE1EEEvT1_
		.amdhsa_group_segment_fixed_size 0
		.amdhsa_private_segment_fixed_size 0
		.amdhsa_kernarg_size 56
		.amdhsa_user_sgpr_count 6
		.amdhsa_user_sgpr_private_segment_buffer 1
		.amdhsa_user_sgpr_dispatch_ptr 0
		.amdhsa_user_sgpr_queue_ptr 0
		.amdhsa_user_sgpr_kernarg_segment_ptr 1
		.amdhsa_user_sgpr_dispatch_id 0
		.amdhsa_user_sgpr_flat_scratch_init 0
		.amdhsa_user_sgpr_kernarg_preload_length 0
		.amdhsa_user_sgpr_kernarg_preload_offset 0
		.amdhsa_user_sgpr_private_segment_size 0
		.amdhsa_uses_dynamic_stack 0
		.amdhsa_system_sgpr_private_segment_wavefront_offset 0
		.amdhsa_system_sgpr_workgroup_id_x 1
		.amdhsa_system_sgpr_workgroup_id_y 0
		.amdhsa_system_sgpr_workgroup_id_z 0
		.amdhsa_system_sgpr_workgroup_info 0
		.amdhsa_system_vgpr_workitem_id 0
		.amdhsa_next_free_vgpr 1
		.amdhsa_next_free_sgpr 0
		.amdhsa_accum_offset 4
		.amdhsa_reserve_vcc 0
		.amdhsa_reserve_flat_scratch 0
		.amdhsa_float_round_mode_32 0
		.amdhsa_float_round_mode_16_64 0
		.amdhsa_float_denorm_mode_32 3
		.amdhsa_float_denorm_mode_16_64 3
		.amdhsa_dx10_clamp 1
		.amdhsa_ieee_mode 1
		.amdhsa_fp16_overflow 0
		.amdhsa_tg_split 0
		.amdhsa_exception_fp_ieee_invalid_op 0
		.amdhsa_exception_fp_denorm_src 0
		.amdhsa_exception_fp_ieee_div_zero 0
		.amdhsa_exception_fp_ieee_overflow 0
		.amdhsa_exception_fp_ieee_underflow 0
		.amdhsa_exception_fp_ieee_inexact 0
		.amdhsa_exception_int_div_zero 0
	.end_amdhsa_kernel
	.section	.text._ZN7rocprim17ROCPRIM_400000_NS6detail17trampoline_kernelINS0_14default_configENS1_35adjacent_difference_config_selectorILb1EiEEZNS1_24adjacent_difference_implIS3_Lb1ELb0EPKiPiN6thrust23THRUST_200600_302600_NS4plusIiEEEE10hipError_tPvRmT2_T3_mT4_P12ihipStream_tbEUlT_E_NS1_11comp_targetILNS1_3genE10ELNS1_11target_archE1201ELNS1_3gpuE5ELNS1_3repE0EEENS1_30default_config_static_selectorELNS0_4arch9wavefront6targetE1EEEvT1_,"axG",@progbits,_ZN7rocprim17ROCPRIM_400000_NS6detail17trampoline_kernelINS0_14default_configENS1_35adjacent_difference_config_selectorILb1EiEEZNS1_24adjacent_difference_implIS3_Lb1ELb0EPKiPiN6thrust23THRUST_200600_302600_NS4plusIiEEEE10hipError_tPvRmT2_T3_mT4_P12ihipStream_tbEUlT_E_NS1_11comp_targetILNS1_3genE10ELNS1_11target_archE1201ELNS1_3gpuE5ELNS1_3repE0EEENS1_30default_config_static_selectorELNS0_4arch9wavefront6targetE1EEEvT1_,comdat
.Lfunc_end584:
	.size	_ZN7rocprim17ROCPRIM_400000_NS6detail17trampoline_kernelINS0_14default_configENS1_35adjacent_difference_config_selectorILb1EiEEZNS1_24adjacent_difference_implIS3_Lb1ELb0EPKiPiN6thrust23THRUST_200600_302600_NS4plusIiEEEE10hipError_tPvRmT2_T3_mT4_P12ihipStream_tbEUlT_E_NS1_11comp_targetILNS1_3genE10ELNS1_11target_archE1201ELNS1_3gpuE5ELNS1_3repE0EEENS1_30default_config_static_selectorELNS0_4arch9wavefront6targetE1EEEvT1_, .Lfunc_end584-_ZN7rocprim17ROCPRIM_400000_NS6detail17trampoline_kernelINS0_14default_configENS1_35adjacent_difference_config_selectorILb1EiEEZNS1_24adjacent_difference_implIS3_Lb1ELb0EPKiPiN6thrust23THRUST_200600_302600_NS4plusIiEEEE10hipError_tPvRmT2_T3_mT4_P12ihipStream_tbEUlT_E_NS1_11comp_targetILNS1_3genE10ELNS1_11target_archE1201ELNS1_3gpuE5ELNS1_3repE0EEENS1_30default_config_static_selectorELNS0_4arch9wavefront6targetE1EEEvT1_
                                        ; -- End function
	.section	.AMDGPU.csdata,"",@progbits
; Kernel info:
; codeLenInByte = 0
; NumSgprs: 4
; NumVgprs: 0
; NumAgprs: 0
; TotalNumVgprs: 0
; ScratchSize: 0
; MemoryBound: 0
; FloatMode: 240
; IeeeMode: 1
; LDSByteSize: 0 bytes/workgroup (compile time only)
; SGPRBlocks: 0
; VGPRBlocks: 0
; NumSGPRsForWavesPerEU: 4
; NumVGPRsForWavesPerEU: 1
; AccumOffset: 4
; Occupancy: 8
; WaveLimiterHint : 0
; COMPUTE_PGM_RSRC2:SCRATCH_EN: 0
; COMPUTE_PGM_RSRC2:USER_SGPR: 6
; COMPUTE_PGM_RSRC2:TRAP_HANDLER: 0
; COMPUTE_PGM_RSRC2:TGID_X_EN: 1
; COMPUTE_PGM_RSRC2:TGID_Y_EN: 0
; COMPUTE_PGM_RSRC2:TGID_Z_EN: 0
; COMPUTE_PGM_RSRC2:TIDIG_COMP_CNT: 0
; COMPUTE_PGM_RSRC3_GFX90A:ACCUM_OFFSET: 0
; COMPUTE_PGM_RSRC3_GFX90A:TG_SPLIT: 0
	.section	.text._ZN7rocprim17ROCPRIM_400000_NS6detail17trampoline_kernelINS0_14default_configENS1_35adjacent_difference_config_selectorILb1EiEEZNS1_24adjacent_difference_implIS3_Lb1ELb0EPKiPiN6thrust23THRUST_200600_302600_NS4plusIiEEEE10hipError_tPvRmT2_T3_mT4_P12ihipStream_tbEUlT_E_NS1_11comp_targetILNS1_3genE5ELNS1_11target_archE942ELNS1_3gpuE9ELNS1_3repE0EEENS1_30default_config_static_selectorELNS0_4arch9wavefront6targetE1EEEvT1_,"axG",@progbits,_ZN7rocprim17ROCPRIM_400000_NS6detail17trampoline_kernelINS0_14default_configENS1_35adjacent_difference_config_selectorILb1EiEEZNS1_24adjacent_difference_implIS3_Lb1ELb0EPKiPiN6thrust23THRUST_200600_302600_NS4plusIiEEEE10hipError_tPvRmT2_T3_mT4_P12ihipStream_tbEUlT_E_NS1_11comp_targetILNS1_3genE5ELNS1_11target_archE942ELNS1_3gpuE9ELNS1_3repE0EEENS1_30default_config_static_selectorELNS0_4arch9wavefront6targetE1EEEvT1_,comdat
	.protected	_ZN7rocprim17ROCPRIM_400000_NS6detail17trampoline_kernelINS0_14default_configENS1_35adjacent_difference_config_selectorILb1EiEEZNS1_24adjacent_difference_implIS3_Lb1ELb0EPKiPiN6thrust23THRUST_200600_302600_NS4plusIiEEEE10hipError_tPvRmT2_T3_mT4_P12ihipStream_tbEUlT_E_NS1_11comp_targetILNS1_3genE5ELNS1_11target_archE942ELNS1_3gpuE9ELNS1_3repE0EEENS1_30default_config_static_selectorELNS0_4arch9wavefront6targetE1EEEvT1_ ; -- Begin function _ZN7rocprim17ROCPRIM_400000_NS6detail17trampoline_kernelINS0_14default_configENS1_35adjacent_difference_config_selectorILb1EiEEZNS1_24adjacent_difference_implIS3_Lb1ELb0EPKiPiN6thrust23THRUST_200600_302600_NS4plusIiEEEE10hipError_tPvRmT2_T3_mT4_P12ihipStream_tbEUlT_E_NS1_11comp_targetILNS1_3genE5ELNS1_11target_archE942ELNS1_3gpuE9ELNS1_3repE0EEENS1_30default_config_static_selectorELNS0_4arch9wavefront6targetE1EEEvT1_
	.globl	_ZN7rocprim17ROCPRIM_400000_NS6detail17trampoline_kernelINS0_14default_configENS1_35adjacent_difference_config_selectorILb1EiEEZNS1_24adjacent_difference_implIS3_Lb1ELb0EPKiPiN6thrust23THRUST_200600_302600_NS4plusIiEEEE10hipError_tPvRmT2_T3_mT4_P12ihipStream_tbEUlT_E_NS1_11comp_targetILNS1_3genE5ELNS1_11target_archE942ELNS1_3gpuE9ELNS1_3repE0EEENS1_30default_config_static_selectorELNS0_4arch9wavefront6targetE1EEEvT1_
	.p2align	8
	.type	_ZN7rocprim17ROCPRIM_400000_NS6detail17trampoline_kernelINS0_14default_configENS1_35adjacent_difference_config_selectorILb1EiEEZNS1_24adjacent_difference_implIS3_Lb1ELb0EPKiPiN6thrust23THRUST_200600_302600_NS4plusIiEEEE10hipError_tPvRmT2_T3_mT4_P12ihipStream_tbEUlT_E_NS1_11comp_targetILNS1_3genE5ELNS1_11target_archE942ELNS1_3gpuE9ELNS1_3repE0EEENS1_30default_config_static_selectorELNS0_4arch9wavefront6targetE1EEEvT1_,@function
_ZN7rocprim17ROCPRIM_400000_NS6detail17trampoline_kernelINS0_14default_configENS1_35adjacent_difference_config_selectorILb1EiEEZNS1_24adjacent_difference_implIS3_Lb1ELb0EPKiPiN6thrust23THRUST_200600_302600_NS4plusIiEEEE10hipError_tPvRmT2_T3_mT4_P12ihipStream_tbEUlT_E_NS1_11comp_targetILNS1_3genE5ELNS1_11target_archE942ELNS1_3gpuE9ELNS1_3repE0EEENS1_30default_config_static_selectorELNS0_4arch9wavefront6targetE1EEEvT1_: ; @_ZN7rocprim17ROCPRIM_400000_NS6detail17trampoline_kernelINS0_14default_configENS1_35adjacent_difference_config_selectorILb1EiEEZNS1_24adjacent_difference_implIS3_Lb1ELb0EPKiPiN6thrust23THRUST_200600_302600_NS4plusIiEEEE10hipError_tPvRmT2_T3_mT4_P12ihipStream_tbEUlT_E_NS1_11comp_targetILNS1_3genE5ELNS1_11target_archE942ELNS1_3gpuE9ELNS1_3repE0EEENS1_30default_config_static_selectorELNS0_4arch9wavefront6targetE1EEEvT1_
; %bb.0:
	.section	.rodata,"a",@progbits
	.p2align	6, 0x0
	.amdhsa_kernel _ZN7rocprim17ROCPRIM_400000_NS6detail17trampoline_kernelINS0_14default_configENS1_35adjacent_difference_config_selectorILb1EiEEZNS1_24adjacent_difference_implIS3_Lb1ELb0EPKiPiN6thrust23THRUST_200600_302600_NS4plusIiEEEE10hipError_tPvRmT2_T3_mT4_P12ihipStream_tbEUlT_E_NS1_11comp_targetILNS1_3genE5ELNS1_11target_archE942ELNS1_3gpuE9ELNS1_3repE0EEENS1_30default_config_static_selectorELNS0_4arch9wavefront6targetE1EEEvT1_
		.amdhsa_group_segment_fixed_size 0
		.amdhsa_private_segment_fixed_size 0
		.amdhsa_kernarg_size 56
		.amdhsa_user_sgpr_count 6
		.amdhsa_user_sgpr_private_segment_buffer 1
		.amdhsa_user_sgpr_dispatch_ptr 0
		.amdhsa_user_sgpr_queue_ptr 0
		.amdhsa_user_sgpr_kernarg_segment_ptr 1
		.amdhsa_user_sgpr_dispatch_id 0
		.amdhsa_user_sgpr_flat_scratch_init 0
		.amdhsa_user_sgpr_kernarg_preload_length 0
		.amdhsa_user_sgpr_kernarg_preload_offset 0
		.amdhsa_user_sgpr_private_segment_size 0
		.amdhsa_uses_dynamic_stack 0
		.amdhsa_system_sgpr_private_segment_wavefront_offset 0
		.amdhsa_system_sgpr_workgroup_id_x 1
		.amdhsa_system_sgpr_workgroup_id_y 0
		.amdhsa_system_sgpr_workgroup_id_z 0
		.amdhsa_system_sgpr_workgroup_info 0
		.amdhsa_system_vgpr_workitem_id 0
		.amdhsa_next_free_vgpr 1
		.amdhsa_next_free_sgpr 0
		.amdhsa_accum_offset 4
		.amdhsa_reserve_vcc 0
		.amdhsa_reserve_flat_scratch 0
		.amdhsa_float_round_mode_32 0
		.amdhsa_float_round_mode_16_64 0
		.amdhsa_float_denorm_mode_32 3
		.amdhsa_float_denorm_mode_16_64 3
		.amdhsa_dx10_clamp 1
		.amdhsa_ieee_mode 1
		.amdhsa_fp16_overflow 0
		.amdhsa_tg_split 0
		.amdhsa_exception_fp_ieee_invalid_op 0
		.amdhsa_exception_fp_denorm_src 0
		.amdhsa_exception_fp_ieee_div_zero 0
		.amdhsa_exception_fp_ieee_overflow 0
		.amdhsa_exception_fp_ieee_underflow 0
		.amdhsa_exception_fp_ieee_inexact 0
		.amdhsa_exception_int_div_zero 0
	.end_amdhsa_kernel
	.section	.text._ZN7rocprim17ROCPRIM_400000_NS6detail17trampoline_kernelINS0_14default_configENS1_35adjacent_difference_config_selectorILb1EiEEZNS1_24adjacent_difference_implIS3_Lb1ELb0EPKiPiN6thrust23THRUST_200600_302600_NS4plusIiEEEE10hipError_tPvRmT2_T3_mT4_P12ihipStream_tbEUlT_E_NS1_11comp_targetILNS1_3genE5ELNS1_11target_archE942ELNS1_3gpuE9ELNS1_3repE0EEENS1_30default_config_static_selectorELNS0_4arch9wavefront6targetE1EEEvT1_,"axG",@progbits,_ZN7rocprim17ROCPRIM_400000_NS6detail17trampoline_kernelINS0_14default_configENS1_35adjacent_difference_config_selectorILb1EiEEZNS1_24adjacent_difference_implIS3_Lb1ELb0EPKiPiN6thrust23THRUST_200600_302600_NS4plusIiEEEE10hipError_tPvRmT2_T3_mT4_P12ihipStream_tbEUlT_E_NS1_11comp_targetILNS1_3genE5ELNS1_11target_archE942ELNS1_3gpuE9ELNS1_3repE0EEENS1_30default_config_static_selectorELNS0_4arch9wavefront6targetE1EEEvT1_,comdat
.Lfunc_end585:
	.size	_ZN7rocprim17ROCPRIM_400000_NS6detail17trampoline_kernelINS0_14default_configENS1_35adjacent_difference_config_selectorILb1EiEEZNS1_24adjacent_difference_implIS3_Lb1ELb0EPKiPiN6thrust23THRUST_200600_302600_NS4plusIiEEEE10hipError_tPvRmT2_T3_mT4_P12ihipStream_tbEUlT_E_NS1_11comp_targetILNS1_3genE5ELNS1_11target_archE942ELNS1_3gpuE9ELNS1_3repE0EEENS1_30default_config_static_selectorELNS0_4arch9wavefront6targetE1EEEvT1_, .Lfunc_end585-_ZN7rocprim17ROCPRIM_400000_NS6detail17trampoline_kernelINS0_14default_configENS1_35adjacent_difference_config_selectorILb1EiEEZNS1_24adjacent_difference_implIS3_Lb1ELb0EPKiPiN6thrust23THRUST_200600_302600_NS4plusIiEEEE10hipError_tPvRmT2_T3_mT4_P12ihipStream_tbEUlT_E_NS1_11comp_targetILNS1_3genE5ELNS1_11target_archE942ELNS1_3gpuE9ELNS1_3repE0EEENS1_30default_config_static_selectorELNS0_4arch9wavefront6targetE1EEEvT1_
                                        ; -- End function
	.section	.AMDGPU.csdata,"",@progbits
; Kernel info:
; codeLenInByte = 0
; NumSgprs: 4
; NumVgprs: 0
; NumAgprs: 0
; TotalNumVgprs: 0
; ScratchSize: 0
; MemoryBound: 0
; FloatMode: 240
; IeeeMode: 1
; LDSByteSize: 0 bytes/workgroup (compile time only)
; SGPRBlocks: 0
; VGPRBlocks: 0
; NumSGPRsForWavesPerEU: 4
; NumVGPRsForWavesPerEU: 1
; AccumOffset: 4
; Occupancy: 8
; WaveLimiterHint : 0
; COMPUTE_PGM_RSRC2:SCRATCH_EN: 0
; COMPUTE_PGM_RSRC2:USER_SGPR: 6
; COMPUTE_PGM_RSRC2:TRAP_HANDLER: 0
; COMPUTE_PGM_RSRC2:TGID_X_EN: 1
; COMPUTE_PGM_RSRC2:TGID_Y_EN: 0
; COMPUTE_PGM_RSRC2:TGID_Z_EN: 0
; COMPUTE_PGM_RSRC2:TIDIG_COMP_CNT: 0
; COMPUTE_PGM_RSRC3_GFX90A:ACCUM_OFFSET: 0
; COMPUTE_PGM_RSRC3_GFX90A:TG_SPLIT: 0
	.section	.text._ZN7rocprim17ROCPRIM_400000_NS6detail17trampoline_kernelINS0_14default_configENS1_35adjacent_difference_config_selectorILb1EiEEZNS1_24adjacent_difference_implIS3_Lb1ELb0EPKiPiN6thrust23THRUST_200600_302600_NS4plusIiEEEE10hipError_tPvRmT2_T3_mT4_P12ihipStream_tbEUlT_E_NS1_11comp_targetILNS1_3genE4ELNS1_11target_archE910ELNS1_3gpuE8ELNS1_3repE0EEENS1_30default_config_static_selectorELNS0_4arch9wavefront6targetE1EEEvT1_,"axG",@progbits,_ZN7rocprim17ROCPRIM_400000_NS6detail17trampoline_kernelINS0_14default_configENS1_35adjacent_difference_config_selectorILb1EiEEZNS1_24adjacent_difference_implIS3_Lb1ELb0EPKiPiN6thrust23THRUST_200600_302600_NS4plusIiEEEE10hipError_tPvRmT2_T3_mT4_P12ihipStream_tbEUlT_E_NS1_11comp_targetILNS1_3genE4ELNS1_11target_archE910ELNS1_3gpuE8ELNS1_3repE0EEENS1_30default_config_static_selectorELNS0_4arch9wavefront6targetE1EEEvT1_,comdat
	.protected	_ZN7rocprim17ROCPRIM_400000_NS6detail17trampoline_kernelINS0_14default_configENS1_35adjacent_difference_config_selectorILb1EiEEZNS1_24adjacent_difference_implIS3_Lb1ELb0EPKiPiN6thrust23THRUST_200600_302600_NS4plusIiEEEE10hipError_tPvRmT2_T3_mT4_P12ihipStream_tbEUlT_E_NS1_11comp_targetILNS1_3genE4ELNS1_11target_archE910ELNS1_3gpuE8ELNS1_3repE0EEENS1_30default_config_static_selectorELNS0_4arch9wavefront6targetE1EEEvT1_ ; -- Begin function _ZN7rocprim17ROCPRIM_400000_NS6detail17trampoline_kernelINS0_14default_configENS1_35adjacent_difference_config_selectorILb1EiEEZNS1_24adjacent_difference_implIS3_Lb1ELb0EPKiPiN6thrust23THRUST_200600_302600_NS4plusIiEEEE10hipError_tPvRmT2_T3_mT4_P12ihipStream_tbEUlT_E_NS1_11comp_targetILNS1_3genE4ELNS1_11target_archE910ELNS1_3gpuE8ELNS1_3repE0EEENS1_30default_config_static_selectorELNS0_4arch9wavefront6targetE1EEEvT1_
	.globl	_ZN7rocprim17ROCPRIM_400000_NS6detail17trampoline_kernelINS0_14default_configENS1_35adjacent_difference_config_selectorILb1EiEEZNS1_24adjacent_difference_implIS3_Lb1ELb0EPKiPiN6thrust23THRUST_200600_302600_NS4plusIiEEEE10hipError_tPvRmT2_T3_mT4_P12ihipStream_tbEUlT_E_NS1_11comp_targetILNS1_3genE4ELNS1_11target_archE910ELNS1_3gpuE8ELNS1_3repE0EEENS1_30default_config_static_selectorELNS0_4arch9wavefront6targetE1EEEvT1_
	.p2align	8
	.type	_ZN7rocprim17ROCPRIM_400000_NS6detail17trampoline_kernelINS0_14default_configENS1_35adjacent_difference_config_selectorILb1EiEEZNS1_24adjacent_difference_implIS3_Lb1ELb0EPKiPiN6thrust23THRUST_200600_302600_NS4plusIiEEEE10hipError_tPvRmT2_T3_mT4_P12ihipStream_tbEUlT_E_NS1_11comp_targetILNS1_3genE4ELNS1_11target_archE910ELNS1_3gpuE8ELNS1_3repE0EEENS1_30default_config_static_selectorELNS0_4arch9wavefront6targetE1EEEvT1_,@function
_ZN7rocprim17ROCPRIM_400000_NS6detail17trampoline_kernelINS0_14default_configENS1_35adjacent_difference_config_selectorILb1EiEEZNS1_24adjacent_difference_implIS3_Lb1ELb0EPKiPiN6thrust23THRUST_200600_302600_NS4plusIiEEEE10hipError_tPvRmT2_T3_mT4_P12ihipStream_tbEUlT_E_NS1_11comp_targetILNS1_3genE4ELNS1_11target_archE910ELNS1_3gpuE8ELNS1_3repE0EEENS1_30default_config_static_selectorELNS0_4arch9wavefront6targetE1EEEvT1_: ; @_ZN7rocprim17ROCPRIM_400000_NS6detail17trampoline_kernelINS0_14default_configENS1_35adjacent_difference_config_selectorILb1EiEEZNS1_24adjacent_difference_implIS3_Lb1ELb0EPKiPiN6thrust23THRUST_200600_302600_NS4plusIiEEEE10hipError_tPvRmT2_T3_mT4_P12ihipStream_tbEUlT_E_NS1_11comp_targetILNS1_3genE4ELNS1_11target_archE910ELNS1_3gpuE8ELNS1_3repE0EEENS1_30default_config_static_selectorELNS0_4arch9wavefront6targetE1EEEvT1_
; %bb.0:
	s_load_dwordx8 s[8:15], s[4:5], 0x0
	s_mov_b32 s0, 0x59999780
	s_load_dwordx4 s[16:19], s[4:5], 0x28
	s_movk_i32 s2, 0xa00
	s_mul_i32 s4, s6, 0xa00
	s_waitcnt lgkmcnt(0)
	s_lshl_b64 s[10:11], s[10:11], 2
	s_add_u32 s26, s8, s10
	s_addc_u32 s27, s9, s11
	s_add_u32 s0, 0xe0, s0
	s_addc_u32 s3, 0, 0
	v_add_co_u32_e64 v1, s[0:1], s0, 2.0
	s_cmp_lg_u64 s[0:1], 0
	s_addc_u32 s0, s3, 0x199999
	v_readfirstlane_b32 s3, v1
	s_mul_hi_u32 s5, s3, 0xfffff600
	s_mul_i32 s1, s0, 0xfffff600
	s_sub_i32 s5, s5, s3
	s_add_i32 s5, s5, s1
	s_mul_i32 s9, s3, 0xfffff600
	s_mul_hi_u32 s1, s3, s5
	s_mul_i32 s8, s3, s5
	s_mul_hi_u32 s3, s3, s9
	s_add_u32 s3, s3, s8
	s_addc_u32 s1, 0, s1
	s_mul_hi_u32 s20, s0, s9
	s_mul_i32 s9, s0, s9
	s_add_u32 s3, s3, s9
	s_mul_hi_u32 s8, s0, s5
	s_addc_u32 s1, s1, s20
	s_addc_u32 s3, s8, 0
	s_mul_i32 s5, s0, s5
	s_add_u32 s1, s1, s5
	s_addc_u32 s3, 0, s3
	v_add_co_u32_e32 v1, vcc, s1, v1
	s_cmp_lg_u64 vcc, 0
	s_addc_u32 s0, s0, s3
	v_readfirstlane_b32 s5, v1
	s_mul_i32 s3, s14, s0
	s_mul_hi_u32 s8, s14, s5
	s_mul_hi_u32 s1, s14, s0
	s_add_u32 s3, s8, s3
	s_addc_u32 s1, 0, s1
	s_mul_hi_u32 s9, s15, s5
	s_mul_i32 s5, s15, s5
	s_add_u32 s3, s3, s5
	s_mul_hi_u32 s8, s15, s0
	s_addc_u32 s1, s1, s9
	s_addc_u32 s3, s8, 0
	s_mul_i32 s0, s15, s0
	s_add_u32 s0, s1, s0
	s_addc_u32 s1, 0, s3
	s_add_u32 s3, s0, 1
	s_addc_u32 s5, s1, 0
	s_add_u32 s8, s0, 2
	s_mul_i32 s20, s1, 0xa00
	s_mul_hi_u32 s21, s0, 0xa00
	s_addc_u32 s9, s1, 0
	s_add_i32 s21, s21, s20
	s_mul_i32 s20, s0, 0xa00
	v_mov_b32_e32 v1, s20
	v_sub_co_u32_e32 v1, vcc, s14, v1
	s_cmp_lg_u64 vcc, 0
	s_subb_u32 s20, s15, s21
	v_subrev_co_u32_e32 v2, vcc, s2, v1
	s_cmp_lg_u64 vcc, 0
	s_subb_u32 s2, s20, 0
	v_readfirstlane_b32 s21, v2
	s_cmpk_gt_u32 s21, 0x9ff
	s_cselect_b32 s21, -1, 0
	s_cmp_eq_u32 s2, 0
	s_cselect_b32 s2, s21, -1
	s_cmp_lg_u32 s2, 0
	s_cselect_b32 s2, s8, s3
	s_cselect_b32 s3, s9, s5
	v_readfirstlane_b32 s5, v1
	s_cmpk_gt_u32 s5, 0x9ff
	s_cselect_b32 s5, -1, 0
	s_cmp_eq_u32 s20, 0
	s_cselect_b32 s5, s5, -1
	s_cmp_lg_u32 s5, 0
	s_cselect_b32 s3, s3, s1
	s_cselect_b32 s2, s2, s0
	s_mul_i32 s0, s3, 0xa00
	s_mul_hi_u32 s1, s2, 0xa00
	s_add_i32 s1, s1, s0
	s_mul_i32 s0, s2, 0xa00
	s_sub_u32 s0, s14, s0
	s_subb_u32 s1, s15, s1
	s_cmp_lg_u64 s[0:1], 0
	s_cselect_b64 s[0:1], -1, 0
	v_cndmask_b32_e64 v1, 0, 1, s[0:1]
	v_readfirstlane_b32 s0, v1
	s_add_u32 s2, s2, s0
	s_addc_u32 s3, s3, 0
	s_add_u32 s8, s18, s6
	s_addc_u32 s9, s19, 0
	s_add_u32 s20, s2, -1
	s_addc_u32 s21, s3, -1
	v_pk_mov_b32 v[2:3], s[20:21], s[20:21] op_sel:[0,1]
	v_cmp_ge_u64_e64 s[0:1], s[8:9], v[2:3]
	s_mov_b32 s7, 0
	s_mov_b64 s[22:23], -1
	s_and_b64 vcc, exec, s[0:1]
	s_mul_i32 s15, s20, 0xfffff600
	s_cbranch_vccz .LBB586_12
; %bb.1:
	s_mov_b32 s5, s7
	s_add_i32 s28, s15, s14
	s_lshl_b64 s[22:23], s[4:5], 2
	s_add_u32 s22, s26, s22
	s_addc_u32 s23, s27, s23
	v_cmp_gt_u32_e32 vcc, s28, v0
                                        ; implicit-def: $vgpr2_vgpr3_vgpr4_vgpr5_vgpr6
	s_and_saveexec_b64 s[24:25], vcc
	s_cbranch_execz .LBB586_3
; %bb.2:
	v_lshlrev_b32_e32 v1, 2, v0
	global_load_dword v2, v1, s[22:23]
.LBB586_3:
	s_or_b64 exec, exec, s[24:25]
	v_or_b32_e32 v1, 0x200, v0
	v_cmp_gt_u32_e32 vcc, s28, v1
	s_and_saveexec_b64 s[24:25], vcc
	s_cbranch_execz .LBB586_5
; %bb.4:
	v_lshlrev_b32_e32 v1, 2, v0
	global_load_dword v3, v1, s[22:23] offset:2048
.LBB586_5:
	s_or_b64 exec, exec, s[24:25]
	v_or_b32_e32 v1, 0x400, v0
	v_cmp_gt_u32_e32 vcc, s28, v1
	s_and_saveexec_b64 s[24:25], vcc
	s_cbranch_execz .LBB586_7
; %bb.6:
	v_lshlrev_b32_e32 v1, 2, v1
	global_load_dword v4, v1, s[22:23]
.LBB586_7:
	s_or_b64 exec, exec, s[24:25]
	v_or_b32_e32 v1, 0x600, v0
	v_cmp_gt_u32_e32 vcc, s28, v1
	s_and_saveexec_b64 s[24:25], vcc
	s_cbranch_execz .LBB586_9
; %bb.8:
	v_lshlrev_b32_e32 v1, 2, v1
	global_load_dword v5, v1, s[22:23]
.LBB586_9:
	;; [unrolled: 9-line block ×3, first 2 shown]
	s_or_b64 exec, exec, s[24:25]
	v_lshlrev_b32_e32 v1, 2, v0
	s_mov_b64 s[22:23], 0
	s_waitcnt vmcnt(0)
	ds_write2st64_b32 v1, v2, v3 offset1:8
	ds_write2st64_b32 v1, v4, v5 offset0:16 offset1:24
	ds_write_b32 v1, v6 offset:8192
	s_waitcnt lgkmcnt(0)
	s_barrier
.LBB586_12:
	s_and_b64 vcc, exec, s[22:23]
	v_lshlrev_b32_e32 v1, 2, v0
	s_cbranch_vccz .LBB586_14
; %bb.13:
	s_mov_b32 s5, 0
	s_lshl_b64 s[22:23], s[4:5], 2
	s_add_u32 s22, s26, s22
	s_addc_u32 s23, s27, s23
	v_mov_b32_e32 v2, s23
	v_add_co_u32_e32 v4, vcc, s22, v1
	v_addc_co_u32_e32 v5, vcc, 0, v2, vcc
	v_add_co_u32_e32 v2, vcc, 0x1000, v4
	v_addc_co_u32_e32 v3, vcc, 0, v5, vcc
	global_load_dword v6, v1, s[22:23]
	global_load_dword v7, v1, s[22:23] offset:2048
	global_load_dword v8, v[2:3], off
	global_load_dword v9, v[2:3], off offset:2048
	v_add_co_u32_e32 v2, vcc, 0x2000, v4
	v_addc_co_u32_e32 v3, vcc, 0, v5, vcc
	global_load_dword v2, v[2:3], off
	s_waitcnt vmcnt(3)
	ds_write2st64_b32 v1, v6, v7 offset1:8
	s_waitcnt vmcnt(1)
	ds_write2st64_b32 v1, v8, v9 offset0:16 offset1:24
	s_waitcnt vmcnt(0)
	ds_write_b32 v1, v2 offset:8192
	s_waitcnt lgkmcnt(0)
	s_barrier
.LBB586_14:
	v_mul_u32_u24_e32 v2, 5, v0
	v_lshlrev_b32_e32 v3, 2, v2
	ds_read_b32 v2, v3
	ds_read2_b32 v[20:21], v3 offset0:1 offset1:2
	ds_read2_b32 v[22:23], v3 offset0:3 offset1:4
	s_cmp_eq_u64 s[8:9], 0
	s_waitcnt lgkmcnt(0)
	s_barrier
	s_cbranch_scc1 .LBB586_19
; %bb.15:
	s_lshl_b64 s[18:19], s[18:19], 2
	s_add_u32 s5, s16, s18
	s_addc_u32 s16, s17, s19
	s_lshl_b64 s[6:7], s[6:7], 2
	s_add_u32 s5, s5, s6
	s_addc_u32 s7, s16, s7
	s_add_u32 s6, s5, -4
	s_addc_u32 s7, s7, -1
	s_load_dword s5, s[6:7], 0x0
	s_cmp_eq_u64 s[8:9], s[20:21]
	s_cbranch_scc1 .LBB586_20
; %bb.16:
	v_cmp_ne_u32_e32 vcc, 0, v0
	s_waitcnt lgkmcnt(0)
	v_mov_b32_e32 v3, s5
	ds_write_b32 v1, v23
	s_waitcnt lgkmcnt(0)
	s_barrier
	s_and_saveexec_b64 s[6:7], vcc
	s_cbranch_execz .LBB586_18
; %bb.17:
	v_add_u32_e32 v3, -4, v1
	ds_read_b32 v3, v3
.LBB586_18:
	s_or_b64 exec, exec, s[6:7]
	v_add_u32_e32 v8, v23, v22
	v_add_u32_e32 v9, v22, v21
	;; [unrolled: 1-line block ×4, first 2 shown]
	s_cbranch_execz .LBB586_21
	s_branch .LBB586_24
.LBB586_19:
                                        ; implicit-def: $vgpr14_vgpr15_vgpr16_vgpr17_vgpr18
                                        ; implicit-def: $vgpr10_vgpr11_vgpr12_vgpr13_vgpr14
	s_mov_b64 s[6:7], 0
                                        ; implicit-def: $vgpr6_vgpr7_vgpr8_vgpr9_vgpr10
                                        ; implicit-def: $vgpr3
                                        ; implicit-def: $vgpr4_vgpr5_vgpr6_vgpr7_vgpr8
	s_branch .LBB586_25
.LBB586_20:
                                        ; implicit-def: $vgpr14_vgpr15_vgpr16_vgpr17_vgpr18
                                        ; implicit-def: $vgpr10_vgpr11_vgpr12_vgpr13_vgpr14
                                        ; implicit-def: $vgpr3
                                        ; implicit-def: $vgpr6_vgpr7_vgpr8_vgpr9_vgpr10
                                        ; implicit-def: $vgpr4_vgpr5_vgpr6_vgpr7_vgpr8
.LBB586_21:
	s_waitcnt lgkmcnt(0)
	v_mul_u32_u24_e32 v3, 5, v0
	v_cmp_ne_u32_e32 vcc, 0, v0
	v_mov_b32_e32 v4, s5
	ds_write_b32 v1, v23
	s_waitcnt lgkmcnt(0)
	s_barrier
	s_and_saveexec_b64 s[6:7], vcc
	s_cbranch_execz .LBB586_23
; %bb.22:
	v_add_u32_e32 v4, -4, v1
	ds_read_b32 v4, v4
.LBB586_23:
	s_or_b64 exec, exec, s[6:7]
	s_mul_i32 s5, s8, 0xfffff600
	s_add_i32 s5, s5, s14
	v_add_u32_e32 v5, 4, v3
	v_add_u32_e32 v6, v23, v22
	v_cmp_gt_u32_e32 vcc, s5, v5
	v_add_u32_e32 v5, 3, v3
	v_cndmask_b32_e32 v8, v23, v6, vcc
	v_add_u32_e32 v6, v22, v21
	v_cmp_gt_u32_e32 vcc, s5, v5
	v_add_u32_e32 v5, 2, v3
	v_cndmask_b32_e32 v9, v22, v6, vcc
	v_add_u32_e32 v6, v21, v20
	v_cmp_gt_u32_e32 vcc, s5, v5
	v_add_u32_e32 v5, 1, v3
	v_cndmask_b32_e32 v12, v21, v6, vcc
	v_add_u32_e32 v6, v20, v2
	v_cmp_gt_u32_e32 vcc, s5, v5
	v_cndmask_b32_e32 v15, v20, v6, vcc
	v_cmp_gt_u32_e32 vcc, s5, v3
	s_waitcnt lgkmcnt(0)
	v_cndmask_b32_e32 v3, 0, v4, vcc
.LBB586_24:
	s_mov_b64 s[6:7], -1
	s_cbranch_execnz .LBB586_33
.LBB586_25:
	s_cmp_lg_u64 s[2:3], 1
	v_add_u32_e32 v9, v22, v21
	v_add_u32_e32 v8, v23, v22
	;; [unrolled: 1-line block ×4, first 2 shown]
	v_cmp_ne_u32_e32 vcc, 0, v0
	s_cbranch_scc0 .LBB586_29
; %bb.26:
	ds_write_b32 v1, v23
	s_waitcnt lgkmcnt(0)
	s_barrier
	s_waitcnt lgkmcnt(0)
                                        ; implicit-def: $vgpr3
	s_and_saveexec_b64 s[2:3], vcc
	s_cbranch_execz .LBB586_28
; %bb.27:
	v_add_u32_e32 v3, -4, v1
	ds_read_b32 v3, v3
	s_or_b64 s[6:7], s[6:7], exec
.LBB586_28:
	s_or_b64 exec, exec, s[2:3]
	s_branch .LBB586_33
.LBB586_29:
                                        ; implicit-def: $vgpr3
	s_cbranch_execz .LBB586_33
; %bb.30:
	v_mad_u32_u24 v4, v0, 5, 4
	v_cmp_gt_u32_e32 vcc, s14, v4
	v_mad_u32_u24 v4, v0, 5, 3
	v_cndmask_b32_e32 v8, v23, v8, vcc
	v_cmp_gt_u32_e32 vcc, s14, v4
	v_mad_u32_u24 v4, v0, 5, 2
	v_cndmask_b32_e32 v9, v22, v9, vcc
	v_cmp_gt_u32_e32 vcc, s14, v4
	v_mad_u32_u24 v4, v0, 5, 1
	s_waitcnt lgkmcnt(0)
	v_mul_u32_u24_e32 v3, 5, v0
	v_cndmask_b32_e32 v12, v21, v12, vcc
	v_cmp_gt_u32_e32 vcc, s14, v4
	v_cndmask_b32_e32 v15, v20, v15, vcc
	v_cmp_ne_u32_e32 vcc, 0, v0
	v_cmp_gt_u32_e64 s[2:3], s14, v3
	s_and_b64 s[8:9], vcc, s[2:3]
	ds_write_b32 v1, v23
	s_waitcnt lgkmcnt(0)
	s_barrier
	s_waitcnt lgkmcnt(0)
                                        ; implicit-def: $vgpr3
	s_and_saveexec_b64 s[2:3], s[8:9]
	s_cbranch_execz .LBB586_32
; %bb.31:
	v_add_u32_e32 v3, -4, v1
	ds_read_b32 v3, v3
	s_or_b64 s[6:7], s[6:7], exec
.LBB586_32:
	s_or_b64 exec, exec, s[2:3]
.LBB586_33:
	s_and_saveexec_b64 s[2:3], s[6:7]
	s_cbranch_execz .LBB586_35
; %bb.34:
	s_waitcnt lgkmcnt(0)
	v_add_u32_e32 v2, v3, v2
.LBB586_35:
	s_or_b64 exec, exec, s[2:3]
	s_add_u32 s6, s12, s10
	s_addc_u32 s7, s13, s11
	s_and_b64 vcc, exec, s[0:1]
	s_waitcnt lgkmcnt(0)
	v_mul_u32_u24_e32 v3, 20, v0
	v_lshlrev_b32_e32 v13, 4, v0
	s_barrier
	s_cbranch_vccz .LBB586_45
; %bb.36:
	s_mov_b32 s5, 0
	s_add_i32 s15, s15, s14
	s_lshl_b64 s[0:1], s[4:5], 2
	v_sub_u32_e32 v4, v3, v13
	s_add_u32 s0, s6, s0
	ds_write2_b32 v3, v2, v15 offset1:1
	ds_write2_b32 v3, v12, v9 offset0:2 offset1:3
	ds_write_b32 v3, v8 offset:16
	s_waitcnt lgkmcnt(0)
	s_barrier
	ds_read2st64_b32 v[10:11], v4 offset0:8 offset1:16
	ds_read2st64_b32 v[4:5], v4 offset0:24 offset1:32
	s_addc_u32 s1, s7, s1
	v_mov_b32_e32 v7, s1
	v_add_co_u32_e32 v6, vcc, s0, v1
	v_addc_co_u32_e32 v7, vcc, 0, v7, vcc
	v_cmp_gt_u32_e32 vcc, s15, v0
	s_and_saveexec_b64 s[0:1], vcc
	s_cbranch_execz .LBB586_38
; %bb.37:
	v_sub_u32_e32 v14, 0, v13
	v_add_u32_e32 v14, v3, v14
	ds_read_b32 v14, v14
	s_waitcnt lgkmcnt(0)
	global_store_dword v[6:7], v14, off
.LBB586_38:
	s_or_b64 exec, exec, s[0:1]
	v_or_b32_e32 v14, 0x200, v0
	v_cmp_gt_u32_e32 vcc, s15, v14
	s_and_saveexec_b64 s[0:1], vcc
	s_cbranch_execz .LBB586_40
; %bb.39:
	s_waitcnt lgkmcnt(1)
	global_store_dword v[6:7], v10, off offset:2048
.LBB586_40:
	s_or_b64 exec, exec, s[0:1]
	s_waitcnt lgkmcnt(1)
	v_or_b32_e32 v10, 0x400, v0
	v_cmp_gt_u32_e32 vcc, s15, v10
	s_and_saveexec_b64 s[0:1], vcc
	s_cbranch_execz .LBB586_42
; %bb.41:
	v_add_co_u32_e32 v16, vcc, 0x1000, v6
	v_addc_co_u32_e32 v17, vcc, 0, v7, vcc
	global_store_dword v[16:17], v11, off
.LBB586_42:
	s_or_b64 exec, exec, s[0:1]
	v_or_b32_e32 v10, 0x600, v0
	v_cmp_gt_u32_e32 vcc, s15, v10
	s_and_saveexec_b64 s[0:1], vcc
	s_cbranch_execz .LBB586_44
; %bb.43:
	v_add_co_u32_e32 v10, vcc, 0x1000, v6
	v_addc_co_u32_e32 v11, vcc, 0, v7, vcc
	s_waitcnt lgkmcnt(0)
	global_store_dword v[10:11], v4, off offset:2048
.LBB586_44:
	s_or_b64 exec, exec, s[0:1]
	v_or_b32_e32 v0, 0x800, v0
	v_cmp_gt_u32_e64 s[0:1], s15, v0
	s_branch .LBB586_47
.LBB586_45:
	s_mov_b64 s[0:1], 0
                                        ; implicit-def: $vgpr5
                                        ; implicit-def: $vgpr6_vgpr7
	s_cbranch_execz .LBB586_47
; %bb.46:
	s_mov_b32 s5, 0
	s_lshl_b64 s[2:3], s[4:5], 2
	s_add_u32 s2, s6, s2
	s_addc_u32 s3, s7, s3
	v_sub_u32_e32 v0, v3, v13
	ds_write2_b32 v3, v2, v15 offset1:1
	ds_write2_b32 v3, v12, v9 offset0:2 offset1:3
	ds_write_b32 v3, v8 offset:16
	s_waitcnt lgkmcnt(0)
	s_barrier
	ds_read2st64_b32 v[2:3], v0 offset1:8
	ds_read2st64_b32 v[8:9], v0 offset0:16 offset1:24
	ds_read_b32 v5, v0 offset:8192
	v_mov_b32_e32 v0, s3
	v_add_co_u32_e32 v6, vcc, s2, v1
	v_addc_co_u32_e32 v7, vcc, 0, v0, vcc
	v_add_co_u32_e32 v0, vcc, 0x1000, v6
	s_waitcnt lgkmcnt(2)
	global_store_dword v1, v2, s[2:3]
	global_store_dword v1, v3, s[2:3] offset:2048
	v_addc_co_u32_e32 v1, vcc, 0, v7, vcc
	s_or_b64 s[0:1], s[0:1], exec
	s_waitcnt lgkmcnt(1)
	global_store_dword v[0:1], v8, off
	global_store_dword v[0:1], v9, off offset:2048
.LBB586_47:
	s_and_saveexec_b64 s[2:3], s[0:1]
	s_cbranch_execnz .LBB586_49
; %bb.48:
	s_endpgm
.LBB586_49:
	v_add_co_u32_e32 v0, vcc, 0x2000, v6
	v_addc_co_u32_e32 v1, vcc, 0, v7, vcc
	s_waitcnt lgkmcnt(0)
	global_store_dword v[0:1], v5, off
	s_endpgm
	.section	.rodata,"a",@progbits
	.p2align	6, 0x0
	.amdhsa_kernel _ZN7rocprim17ROCPRIM_400000_NS6detail17trampoline_kernelINS0_14default_configENS1_35adjacent_difference_config_selectorILb1EiEEZNS1_24adjacent_difference_implIS3_Lb1ELb0EPKiPiN6thrust23THRUST_200600_302600_NS4plusIiEEEE10hipError_tPvRmT2_T3_mT4_P12ihipStream_tbEUlT_E_NS1_11comp_targetILNS1_3genE4ELNS1_11target_archE910ELNS1_3gpuE8ELNS1_3repE0EEENS1_30default_config_static_selectorELNS0_4arch9wavefront6targetE1EEEvT1_
		.amdhsa_group_segment_fixed_size 10240
		.amdhsa_private_segment_fixed_size 0
		.amdhsa_kernarg_size 56
		.amdhsa_user_sgpr_count 6
		.amdhsa_user_sgpr_private_segment_buffer 1
		.amdhsa_user_sgpr_dispatch_ptr 0
		.amdhsa_user_sgpr_queue_ptr 0
		.amdhsa_user_sgpr_kernarg_segment_ptr 1
		.amdhsa_user_sgpr_dispatch_id 0
		.amdhsa_user_sgpr_flat_scratch_init 0
		.amdhsa_user_sgpr_kernarg_preload_length 0
		.amdhsa_user_sgpr_kernarg_preload_offset 0
		.amdhsa_user_sgpr_private_segment_size 0
		.amdhsa_uses_dynamic_stack 0
		.amdhsa_system_sgpr_private_segment_wavefront_offset 0
		.amdhsa_system_sgpr_workgroup_id_x 1
		.amdhsa_system_sgpr_workgroup_id_y 0
		.amdhsa_system_sgpr_workgroup_id_z 0
		.amdhsa_system_sgpr_workgroup_info 0
		.amdhsa_system_vgpr_workitem_id 0
		.amdhsa_next_free_vgpr 24
		.amdhsa_next_free_sgpr 29
		.amdhsa_accum_offset 24
		.amdhsa_reserve_vcc 1
		.amdhsa_reserve_flat_scratch 0
		.amdhsa_float_round_mode_32 0
		.amdhsa_float_round_mode_16_64 0
		.amdhsa_float_denorm_mode_32 3
		.amdhsa_float_denorm_mode_16_64 3
		.amdhsa_dx10_clamp 1
		.amdhsa_ieee_mode 1
		.amdhsa_fp16_overflow 0
		.amdhsa_tg_split 0
		.amdhsa_exception_fp_ieee_invalid_op 0
		.amdhsa_exception_fp_denorm_src 0
		.amdhsa_exception_fp_ieee_div_zero 0
		.amdhsa_exception_fp_ieee_overflow 0
		.amdhsa_exception_fp_ieee_underflow 0
		.amdhsa_exception_fp_ieee_inexact 0
		.amdhsa_exception_int_div_zero 0
	.end_amdhsa_kernel
	.section	.text._ZN7rocprim17ROCPRIM_400000_NS6detail17trampoline_kernelINS0_14default_configENS1_35adjacent_difference_config_selectorILb1EiEEZNS1_24adjacent_difference_implIS3_Lb1ELb0EPKiPiN6thrust23THRUST_200600_302600_NS4plusIiEEEE10hipError_tPvRmT2_T3_mT4_P12ihipStream_tbEUlT_E_NS1_11comp_targetILNS1_3genE4ELNS1_11target_archE910ELNS1_3gpuE8ELNS1_3repE0EEENS1_30default_config_static_selectorELNS0_4arch9wavefront6targetE1EEEvT1_,"axG",@progbits,_ZN7rocprim17ROCPRIM_400000_NS6detail17trampoline_kernelINS0_14default_configENS1_35adjacent_difference_config_selectorILb1EiEEZNS1_24adjacent_difference_implIS3_Lb1ELb0EPKiPiN6thrust23THRUST_200600_302600_NS4plusIiEEEE10hipError_tPvRmT2_T3_mT4_P12ihipStream_tbEUlT_E_NS1_11comp_targetILNS1_3genE4ELNS1_11target_archE910ELNS1_3gpuE8ELNS1_3repE0EEENS1_30default_config_static_selectorELNS0_4arch9wavefront6targetE1EEEvT1_,comdat
.Lfunc_end586:
	.size	_ZN7rocprim17ROCPRIM_400000_NS6detail17trampoline_kernelINS0_14default_configENS1_35adjacent_difference_config_selectorILb1EiEEZNS1_24adjacent_difference_implIS3_Lb1ELb0EPKiPiN6thrust23THRUST_200600_302600_NS4plusIiEEEE10hipError_tPvRmT2_T3_mT4_P12ihipStream_tbEUlT_E_NS1_11comp_targetILNS1_3genE4ELNS1_11target_archE910ELNS1_3gpuE8ELNS1_3repE0EEENS1_30default_config_static_selectorELNS0_4arch9wavefront6targetE1EEEvT1_, .Lfunc_end586-_ZN7rocprim17ROCPRIM_400000_NS6detail17trampoline_kernelINS0_14default_configENS1_35adjacent_difference_config_selectorILb1EiEEZNS1_24adjacent_difference_implIS3_Lb1ELb0EPKiPiN6thrust23THRUST_200600_302600_NS4plusIiEEEE10hipError_tPvRmT2_T3_mT4_P12ihipStream_tbEUlT_E_NS1_11comp_targetILNS1_3genE4ELNS1_11target_archE910ELNS1_3gpuE8ELNS1_3repE0EEENS1_30default_config_static_selectorELNS0_4arch9wavefront6targetE1EEEvT1_
                                        ; -- End function
	.section	.AMDGPU.csdata,"",@progbits
; Kernel info:
; codeLenInByte = 1964
; NumSgprs: 33
; NumVgprs: 24
; NumAgprs: 0
; TotalNumVgprs: 24
; ScratchSize: 0
; MemoryBound: 0
; FloatMode: 240
; IeeeMode: 1
; LDSByteSize: 10240 bytes/workgroup (compile time only)
; SGPRBlocks: 4
; VGPRBlocks: 2
; NumSGPRsForWavesPerEU: 33
; NumVGPRsForWavesPerEU: 24
; AccumOffset: 24
; Occupancy: 8
; WaveLimiterHint : 1
; COMPUTE_PGM_RSRC2:SCRATCH_EN: 0
; COMPUTE_PGM_RSRC2:USER_SGPR: 6
; COMPUTE_PGM_RSRC2:TRAP_HANDLER: 0
; COMPUTE_PGM_RSRC2:TGID_X_EN: 1
; COMPUTE_PGM_RSRC2:TGID_Y_EN: 0
; COMPUTE_PGM_RSRC2:TGID_Z_EN: 0
; COMPUTE_PGM_RSRC2:TIDIG_COMP_CNT: 0
; COMPUTE_PGM_RSRC3_GFX90A:ACCUM_OFFSET: 5
; COMPUTE_PGM_RSRC3_GFX90A:TG_SPLIT: 0
	.section	.text._ZN7rocprim17ROCPRIM_400000_NS6detail17trampoline_kernelINS0_14default_configENS1_35adjacent_difference_config_selectorILb1EiEEZNS1_24adjacent_difference_implIS3_Lb1ELb0EPKiPiN6thrust23THRUST_200600_302600_NS4plusIiEEEE10hipError_tPvRmT2_T3_mT4_P12ihipStream_tbEUlT_E_NS1_11comp_targetILNS1_3genE3ELNS1_11target_archE908ELNS1_3gpuE7ELNS1_3repE0EEENS1_30default_config_static_selectorELNS0_4arch9wavefront6targetE1EEEvT1_,"axG",@progbits,_ZN7rocprim17ROCPRIM_400000_NS6detail17trampoline_kernelINS0_14default_configENS1_35adjacent_difference_config_selectorILb1EiEEZNS1_24adjacent_difference_implIS3_Lb1ELb0EPKiPiN6thrust23THRUST_200600_302600_NS4plusIiEEEE10hipError_tPvRmT2_T3_mT4_P12ihipStream_tbEUlT_E_NS1_11comp_targetILNS1_3genE3ELNS1_11target_archE908ELNS1_3gpuE7ELNS1_3repE0EEENS1_30default_config_static_selectorELNS0_4arch9wavefront6targetE1EEEvT1_,comdat
	.protected	_ZN7rocprim17ROCPRIM_400000_NS6detail17trampoline_kernelINS0_14default_configENS1_35adjacent_difference_config_selectorILb1EiEEZNS1_24adjacent_difference_implIS3_Lb1ELb0EPKiPiN6thrust23THRUST_200600_302600_NS4plusIiEEEE10hipError_tPvRmT2_T3_mT4_P12ihipStream_tbEUlT_E_NS1_11comp_targetILNS1_3genE3ELNS1_11target_archE908ELNS1_3gpuE7ELNS1_3repE0EEENS1_30default_config_static_selectorELNS0_4arch9wavefront6targetE1EEEvT1_ ; -- Begin function _ZN7rocprim17ROCPRIM_400000_NS6detail17trampoline_kernelINS0_14default_configENS1_35adjacent_difference_config_selectorILb1EiEEZNS1_24adjacent_difference_implIS3_Lb1ELb0EPKiPiN6thrust23THRUST_200600_302600_NS4plusIiEEEE10hipError_tPvRmT2_T3_mT4_P12ihipStream_tbEUlT_E_NS1_11comp_targetILNS1_3genE3ELNS1_11target_archE908ELNS1_3gpuE7ELNS1_3repE0EEENS1_30default_config_static_selectorELNS0_4arch9wavefront6targetE1EEEvT1_
	.globl	_ZN7rocprim17ROCPRIM_400000_NS6detail17trampoline_kernelINS0_14default_configENS1_35adjacent_difference_config_selectorILb1EiEEZNS1_24adjacent_difference_implIS3_Lb1ELb0EPKiPiN6thrust23THRUST_200600_302600_NS4plusIiEEEE10hipError_tPvRmT2_T3_mT4_P12ihipStream_tbEUlT_E_NS1_11comp_targetILNS1_3genE3ELNS1_11target_archE908ELNS1_3gpuE7ELNS1_3repE0EEENS1_30default_config_static_selectorELNS0_4arch9wavefront6targetE1EEEvT1_
	.p2align	8
	.type	_ZN7rocprim17ROCPRIM_400000_NS6detail17trampoline_kernelINS0_14default_configENS1_35adjacent_difference_config_selectorILb1EiEEZNS1_24adjacent_difference_implIS3_Lb1ELb0EPKiPiN6thrust23THRUST_200600_302600_NS4plusIiEEEE10hipError_tPvRmT2_T3_mT4_P12ihipStream_tbEUlT_E_NS1_11comp_targetILNS1_3genE3ELNS1_11target_archE908ELNS1_3gpuE7ELNS1_3repE0EEENS1_30default_config_static_selectorELNS0_4arch9wavefront6targetE1EEEvT1_,@function
_ZN7rocprim17ROCPRIM_400000_NS6detail17trampoline_kernelINS0_14default_configENS1_35adjacent_difference_config_selectorILb1EiEEZNS1_24adjacent_difference_implIS3_Lb1ELb0EPKiPiN6thrust23THRUST_200600_302600_NS4plusIiEEEE10hipError_tPvRmT2_T3_mT4_P12ihipStream_tbEUlT_E_NS1_11comp_targetILNS1_3genE3ELNS1_11target_archE908ELNS1_3gpuE7ELNS1_3repE0EEENS1_30default_config_static_selectorELNS0_4arch9wavefront6targetE1EEEvT1_: ; @_ZN7rocprim17ROCPRIM_400000_NS6detail17trampoline_kernelINS0_14default_configENS1_35adjacent_difference_config_selectorILb1EiEEZNS1_24adjacent_difference_implIS3_Lb1ELb0EPKiPiN6thrust23THRUST_200600_302600_NS4plusIiEEEE10hipError_tPvRmT2_T3_mT4_P12ihipStream_tbEUlT_E_NS1_11comp_targetILNS1_3genE3ELNS1_11target_archE908ELNS1_3gpuE7ELNS1_3repE0EEENS1_30default_config_static_selectorELNS0_4arch9wavefront6targetE1EEEvT1_
; %bb.0:
	.section	.rodata,"a",@progbits
	.p2align	6, 0x0
	.amdhsa_kernel _ZN7rocprim17ROCPRIM_400000_NS6detail17trampoline_kernelINS0_14default_configENS1_35adjacent_difference_config_selectorILb1EiEEZNS1_24adjacent_difference_implIS3_Lb1ELb0EPKiPiN6thrust23THRUST_200600_302600_NS4plusIiEEEE10hipError_tPvRmT2_T3_mT4_P12ihipStream_tbEUlT_E_NS1_11comp_targetILNS1_3genE3ELNS1_11target_archE908ELNS1_3gpuE7ELNS1_3repE0EEENS1_30default_config_static_selectorELNS0_4arch9wavefront6targetE1EEEvT1_
		.amdhsa_group_segment_fixed_size 0
		.amdhsa_private_segment_fixed_size 0
		.amdhsa_kernarg_size 56
		.amdhsa_user_sgpr_count 6
		.amdhsa_user_sgpr_private_segment_buffer 1
		.amdhsa_user_sgpr_dispatch_ptr 0
		.amdhsa_user_sgpr_queue_ptr 0
		.amdhsa_user_sgpr_kernarg_segment_ptr 1
		.amdhsa_user_sgpr_dispatch_id 0
		.amdhsa_user_sgpr_flat_scratch_init 0
		.amdhsa_user_sgpr_kernarg_preload_length 0
		.amdhsa_user_sgpr_kernarg_preload_offset 0
		.amdhsa_user_sgpr_private_segment_size 0
		.amdhsa_uses_dynamic_stack 0
		.amdhsa_system_sgpr_private_segment_wavefront_offset 0
		.amdhsa_system_sgpr_workgroup_id_x 1
		.amdhsa_system_sgpr_workgroup_id_y 0
		.amdhsa_system_sgpr_workgroup_id_z 0
		.amdhsa_system_sgpr_workgroup_info 0
		.amdhsa_system_vgpr_workitem_id 0
		.amdhsa_next_free_vgpr 1
		.amdhsa_next_free_sgpr 0
		.amdhsa_accum_offset 4
		.amdhsa_reserve_vcc 0
		.amdhsa_reserve_flat_scratch 0
		.amdhsa_float_round_mode_32 0
		.amdhsa_float_round_mode_16_64 0
		.amdhsa_float_denorm_mode_32 3
		.amdhsa_float_denorm_mode_16_64 3
		.amdhsa_dx10_clamp 1
		.amdhsa_ieee_mode 1
		.amdhsa_fp16_overflow 0
		.amdhsa_tg_split 0
		.amdhsa_exception_fp_ieee_invalid_op 0
		.amdhsa_exception_fp_denorm_src 0
		.amdhsa_exception_fp_ieee_div_zero 0
		.amdhsa_exception_fp_ieee_overflow 0
		.amdhsa_exception_fp_ieee_underflow 0
		.amdhsa_exception_fp_ieee_inexact 0
		.amdhsa_exception_int_div_zero 0
	.end_amdhsa_kernel
	.section	.text._ZN7rocprim17ROCPRIM_400000_NS6detail17trampoline_kernelINS0_14default_configENS1_35adjacent_difference_config_selectorILb1EiEEZNS1_24adjacent_difference_implIS3_Lb1ELb0EPKiPiN6thrust23THRUST_200600_302600_NS4plusIiEEEE10hipError_tPvRmT2_T3_mT4_P12ihipStream_tbEUlT_E_NS1_11comp_targetILNS1_3genE3ELNS1_11target_archE908ELNS1_3gpuE7ELNS1_3repE0EEENS1_30default_config_static_selectorELNS0_4arch9wavefront6targetE1EEEvT1_,"axG",@progbits,_ZN7rocprim17ROCPRIM_400000_NS6detail17trampoline_kernelINS0_14default_configENS1_35adjacent_difference_config_selectorILb1EiEEZNS1_24adjacent_difference_implIS3_Lb1ELb0EPKiPiN6thrust23THRUST_200600_302600_NS4plusIiEEEE10hipError_tPvRmT2_T3_mT4_P12ihipStream_tbEUlT_E_NS1_11comp_targetILNS1_3genE3ELNS1_11target_archE908ELNS1_3gpuE7ELNS1_3repE0EEENS1_30default_config_static_selectorELNS0_4arch9wavefront6targetE1EEEvT1_,comdat
.Lfunc_end587:
	.size	_ZN7rocprim17ROCPRIM_400000_NS6detail17trampoline_kernelINS0_14default_configENS1_35adjacent_difference_config_selectorILb1EiEEZNS1_24adjacent_difference_implIS3_Lb1ELb0EPKiPiN6thrust23THRUST_200600_302600_NS4plusIiEEEE10hipError_tPvRmT2_T3_mT4_P12ihipStream_tbEUlT_E_NS1_11comp_targetILNS1_3genE3ELNS1_11target_archE908ELNS1_3gpuE7ELNS1_3repE0EEENS1_30default_config_static_selectorELNS0_4arch9wavefront6targetE1EEEvT1_, .Lfunc_end587-_ZN7rocprim17ROCPRIM_400000_NS6detail17trampoline_kernelINS0_14default_configENS1_35adjacent_difference_config_selectorILb1EiEEZNS1_24adjacent_difference_implIS3_Lb1ELb0EPKiPiN6thrust23THRUST_200600_302600_NS4plusIiEEEE10hipError_tPvRmT2_T3_mT4_P12ihipStream_tbEUlT_E_NS1_11comp_targetILNS1_3genE3ELNS1_11target_archE908ELNS1_3gpuE7ELNS1_3repE0EEENS1_30default_config_static_selectorELNS0_4arch9wavefront6targetE1EEEvT1_
                                        ; -- End function
	.section	.AMDGPU.csdata,"",@progbits
; Kernel info:
; codeLenInByte = 0
; NumSgprs: 4
; NumVgprs: 0
; NumAgprs: 0
; TotalNumVgprs: 0
; ScratchSize: 0
; MemoryBound: 0
; FloatMode: 240
; IeeeMode: 1
; LDSByteSize: 0 bytes/workgroup (compile time only)
; SGPRBlocks: 0
; VGPRBlocks: 0
; NumSGPRsForWavesPerEU: 4
; NumVGPRsForWavesPerEU: 1
; AccumOffset: 4
; Occupancy: 8
; WaveLimiterHint : 0
; COMPUTE_PGM_RSRC2:SCRATCH_EN: 0
; COMPUTE_PGM_RSRC2:USER_SGPR: 6
; COMPUTE_PGM_RSRC2:TRAP_HANDLER: 0
; COMPUTE_PGM_RSRC2:TGID_X_EN: 1
; COMPUTE_PGM_RSRC2:TGID_Y_EN: 0
; COMPUTE_PGM_RSRC2:TGID_Z_EN: 0
; COMPUTE_PGM_RSRC2:TIDIG_COMP_CNT: 0
; COMPUTE_PGM_RSRC3_GFX90A:ACCUM_OFFSET: 0
; COMPUTE_PGM_RSRC3_GFX90A:TG_SPLIT: 0
	.section	.text._ZN7rocprim17ROCPRIM_400000_NS6detail17trampoline_kernelINS0_14default_configENS1_35adjacent_difference_config_selectorILb1EiEEZNS1_24adjacent_difference_implIS3_Lb1ELb0EPKiPiN6thrust23THRUST_200600_302600_NS4plusIiEEEE10hipError_tPvRmT2_T3_mT4_P12ihipStream_tbEUlT_E_NS1_11comp_targetILNS1_3genE2ELNS1_11target_archE906ELNS1_3gpuE6ELNS1_3repE0EEENS1_30default_config_static_selectorELNS0_4arch9wavefront6targetE1EEEvT1_,"axG",@progbits,_ZN7rocprim17ROCPRIM_400000_NS6detail17trampoline_kernelINS0_14default_configENS1_35adjacent_difference_config_selectorILb1EiEEZNS1_24adjacent_difference_implIS3_Lb1ELb0EPKiPiN6thrust23THRUST_200600_302600_NS4plusIiEEEE10hipError_tPvRmT2_T3_mT4_P12ihipStream_tbEUlT_E_NS1_11comp_targetILNS1_3genE2ELNS1_11target_archE906ELNS1_3gpuE6ELNS1_3repE0EEENS1_30default_config_static_selectorELNS0_4arch9wavefront6targetE1EEEvT1_,comdat
	.protected	_ZN7rocprim17ROCPRIM_400000_NS6detail17trampoline_kernelINS0_14default_configENS1_35adjacent_difference_config_selectorILb1EiEEZNS1_24adjacent_difference_implIS3_Lb1ELb0EPKiPiN6thrust23THRUST_200600_302600_NS4plusIiEEEE10hipError_tPvRmT2_T3_mT4_P12ihipStream_tbEUlT_E_NS1_11comp_targetILNS1_3genE2ELNS1_11target_archE906ELNS1_3gpuE6ELNS1_3repE0EEENS1_30default_config_static_selectorELNS0_4arch9wavefront6targetE1EEEvT1_ ; -- Begin function _ZN7rocprim17ROCPRIM_400000_NS6detail17trampoline_kernelINS0_14default_configENS1_35adjacent_difference_config_selectorILb1EiEEZNS1_24adjacent_difference_implIS3_Lb1ELb0EPKiPiN6thrust23THRUST_200600_302600_NS4plusIiEEEE10hipError_tPvRmT2_T3_mT4_P12ihipStream_tbEUlT_E_NS1_11comp_targetILNS1_3genE2ELNS1_11target_archE906ELNS1_3gpuE6ELNS1_3repE0EEENS1_30default_config_static_selectorELNS0_4arch9wavefront6targetE1EEEvT1_
	.globl	_ZN7rocprim17ROCPRIM_400000_NS6detail17trampoline_kernelINS0_14default_configENS1_35adjacent_difference_config_selectorILb1EiEEZNS1_24adjacent_difference_implIS3_Lb1ELb0EPKiPiN6thrust23THRUST_200600_302600_NS4plusIiEEEE10hipError_tPvRmT2_T3_mT4_P12ihipStream_tbEUlT_E_NS1_11comp_targetILNS1_3genE2ELNS1_11target_archE906ELNS1_3gpuE6ELNS1_3repE0EEENS1_30default_config_static_selectorELNS0_4arch9wavefront6targetE1EEEvT1_
	.p2align	8
	.type	_ZN7rocprim17ROCPRIM_400000_NS6detail17trampoline_kernelINS0_14default_configENS1_35adjacent_difference_config_selectorILb1EiEEZNS1_24adjacent_difference_implIS3_Lb1ELb0EPKiPiN6thrust23THRUST_200600_302600_NS4plusIiEEEE10hipError_tPvRmT2_T3_mT4_P12ihipStream_tbEUlT_E_NS1_11comp_targetILNS1_3genE2ELNS1_11target_archE906ELNS1_3gpuE6ELNS1_3repE0EEENS1_30default_config_static_selectorELNS0_4arch9wavefront6targetE1EEEvT1_,@function
_ZN7rocprim17ROCPRIM_400000_NS6detail17trampoline_kernelINS0_14default_configENS1_35adjacent_difference_config_selectorILb1EiEEZNS1_24adjacent_difference_implIS3_Lb1ELb0EPKiPiN6thrust23THRUST_200600_302600_NS4plusIiEEEE10hipError_tPvRmT2_T3_mT4_P12ihipStream_tbEUlT_E_NS1_11comp_targetILNS1_3genE2ELNS1_11target_archE906ELNS1_3gpuE6ELNS1_3repE0EEENS1_30default_config_static_selectorELNS0_4arch9wavefront6targetE1EEEvT1_: ; @_ZN7rocprim17ROCPRIM_400000_NS6detail17trampoline_kernelINS0_14default_configENS1_35adjacent_difference_config_selectorILb1EiEEZNS1_24adjacent_difference_implIS3_Lb1ELb0EPKiPiN6thrust23THRUST_200600_302600_NS4plusIiEEEE10hipError_tPvRmT2_T3_mT4_P12ihipStream_tbEUlT_E_NS1_11comp_targetILNS1_3genE2ELNS1_11target_archE906ELNS1_3gpuE6ELNS1_3repE0EEENS1_30default_config_static_selectorELNS0_4arch9wavefront6targetE1EEEvT1_
; %bb.0:
	.section	.rodata,"a",@progbits
	.p2align	6, 0x0
	.amdhsa_kernel _ZN7rocprim17ROCPRIM_400000_NS6detail17trampoline_kernelINS0_14default_configENS1_35adjacent_difference_config_selectorILb1EiEEZNS1_24adjacent_difference_implIS3_Lb1ELb0EPKiPiN6thrust23THRUST_200600_302600_NS4plusIiEEEE10hipError_tPvRmT2_T3_mT4_P12ihipStream_tbEUlT_E_NS1_11comp_targetILNS1_3genE2ELNS1_11target_archE906ELNS1_3gpuE6ELNS1_3repE0EEENS1_30default_config_static_selectorELNS0_4arch9wavefront6targetE1EEEvT1_
		.amdhsa_group_segment_fixed_size 0
		.amdhsa_private_segment_fixed_size 0
		.amdhsa_kernarg_size 56
		.amdhsa_user_sgpr_count 6
		.amdhsa_user_sgpr_private_segment_buffer 1
		.amdhsa_user_sgpr_dispatch_ptr 0
		.amdhsa_user_sgpr_queue_ptr 0
		.amdhsa_user_sgpr_kernarg_segment_ptr 1
		.amdhsa_user_sgpr_dispatch_id 0
		.amdhsa_user_sgpr_flat_scratch_init 0
		.amdhsa_user_sgpr_kernarg_preload_length 0
		.amdhsa_user_sgpr_kernarg_preload_offset 0
		.amdhsa_user_sgpr_private_segment_size 0
		.amdhsa_uses_dynamic_stack 0
		.amdhsa_system_sgpr_private_segment_wavefront_offset 0
		.amdhsa_system_sgpr_workgroup_id_x 1
		.amdhsa_system_sgpr_workgroup_id_y 0
		.amdhsa_system_sgpr_workgroup_id_z 0
		.amdhsa_system_sgpr_workgroup_info 0
		.amdhsa_system_vgpr_workitem_id 0
		.amdhsa_next_free_vgpr 1
		.amdhsa_next_free_sgpr 0
		.amdhsa_accum_offset 4
		.amdhsa_reserve_vcc 0
		.amdhsa_reserve_flat_scratch 0
		.amdhsa_float_round_mode_32 0
		.amdhsa_float_round_mode_16_64 0
		.amdhsa_float_denorm_mode_32 3
		.amdhsa_float_denorm_mode_16_64 3
		.amdhsa_dx10_clamp 1
		.amdhsa_ieee_mode 1
		.amdhsa_fp16_overflow 0
		.amdhsa_tg_split 0
		.amdhsa_exception_fp_ieee_invalid_op 0
		.amdhsa_exception_fp_denorm_src 0
		.amdhsa_exception_fp_ieee_div_zero 0
		.amdhsa_exception_fp_ieee_overflow 0
		.amdhsa_exception_fp_ieee_underflow 0
		.amdhsa_exception_fp_ieee_inexact 0
		.amdhsa_exception_int_div_zero 0
	.end_amdhsa_kernel
	.section	.text._ZN7rocprim17ROCPRIM_400000_NS6detail17trampoline_kernelINS0_14default_configENS1_35adjacent_difference_config_selectorILb1EiEEZNS1_24adjacent_difference_implIS3_Lb1ELb0EPKiPiN6thrust23THRUST_200600_302600_NS4plusIiEEEE10hipError_tPvRmT2_T3_mT4_P12ihipStream_tbEUlT_E_NS1_11comp_targetILNS1_3genE2ELNS1_11target_archE906ELNS1_3gpuE6ELNS1_3repE0EEENS1_30default_config_static_selectorELNS0_4arch9wavefront6targetE1EEEvT1_,"axG",@progbits,_ZN7rocprim17ROCPRIM_400000_NS6detail17trampoline_kernelINS0_14default_configENS1_35adjacent_difference_config_selectorILb1EiEEZNS1_24adjacent_difference_implIS3_Lb1ELb0EPKiPiN6thrust23THRUST_200600_302600_NS4plusIiEEEE10hipError_tPvRmT2_T3_mT4_P12ihipStream_tbEUlT_E_NS1_11comp_targetILNS1_3genE2ELNS1_11target_archE906ELNS1_3gpuE6ELNS1_3repE0EEENS1_30default_config_static_selectorELNS0_4arch9wavefront6targetE1EEEvT1_,comdat
.Lfunc_end588:
	.size	_ZN7rocprim17ROCPRIM_400000_NS6detail17trampoline_kernelINS0_14default_configENS1_35adjacent_difference_config_selectorILb1EiEEZNS1_24adjacent_difference_implIS3_Lb1ELb0EPKiPiN6thrust23THRUST_200600_302600_NS4plusIiEEEE10hipError_tPvRmT2_T3_mT4_P12ihipStream_tbEUlT_E_NS1_11comp_targetILNS1_3genE2ELNS1_11target_archE906ELNS1_3gpuE6ELNS1_3repE0EEENS1_30default_config_static_selectorELNS0_4arch9wavefront6targetE1EEEvT1_, .Lfunc_end588-_ZN7rocprim17ROCPRIM_400000_NS6detail17trampoline_kernelINS0_14default_configENS1_35adjacent_difference_config_selectorILb1EiEEZNS1_24adjacent_difference_implIS3_Lb1ELb0EPKiPiN6thrust23THRUST_200600_302600_NS4plusIiEEEE10hipError_tPvRmT2_T3_mT4_P12ihipStream_tbEUlT_E_NS1_11comp_targetILNS1_3genE2ELNS1_11target_archE906ELNS1_3gpuE6ELNS1_3repE0EEENS1_30default_config_static_selectorELNS0_4arch9wavefront6targetE1EEEvT1_
                                        ; -- End function
	.section	.AMDGPU.csdata,"",@progbits
; Kernel info:
; codeLenInByte = 0
; NumSgprs: 4
; NumVgprs: 0
; NumAgprs: 0
; TotalNumVgprs: 0
; ScratchSize: 0
; MemoryBound: 0
; FloatMode: 240
; IeeeMode: 1
; LDSByteSize: 0 bytes/workgroup (compile time only)
; SGPRBlocks: 0
; VGPRBlocks: 0
; NumSGPRsForWavesPerEU: 4
; NumVGPRsForWavesPerEU: 1
; AccumOffset: 4
; Occupancy: 8
; WaveLimiterHint : 0
; COMPUTE_PGM_RSRC2:SCRATCH_EN: 0
; COMPUTE_PGM_RSRC2:USER_SGPR: 6
; COMPUTE_PGM_RSRC2:TRAP_HANDLER: 0
; COMPUTE_PGM_RSRC2:TGID_X_EN: 1
; COMPUTE_PGM_RSRC2:TGID_Y_EN: 0
; COMPUTE_PGM_RSRC2:TGID_Z_EN: 0
; COMPUTE_PGM_RSRC2:TIDIG_COMP_CNT: 0
; COMPUTE_PGM_RSRC3_GFX90A:ACCUM_OFFSET: 0
; COMPUTE_PGM_RSRC3_GFX90A:TG_SPLIT: 0
	.section	.text._ZN7rocprim17ROCPRIM_400000_NS6detail17trampoline_kernelINS0_14default_configENS1_35adjacent_difference_config_selectorILb1EiEEZNS1_24adjacent_difference_implIS3_Lb1ELb0EPKiPiN6thrust23THRUST_200600_302600_NS4plusIiEEEE10hipError_tPvRmT2_T3_mT4_P12ihipStream_tbEUlT_E_NS1_11comp_targetILNS1_3genE9ELNS1_11target_archE1100ELNS1_3gpuE3ELNS1_3repE0EEENS1_30default_config_static_selectorELNS0_4arch9wavefront6targetE1EEEvT1_,"axG",@progbits,_ZN7rocprim17ROCPRIM_400000_NS6detail17trampoline_kernelINS0_14default_configENS1_35adjacent_difference_config_selectorILb1EiEEZNS1_24adjacent_difference_implIS3_Lb1ELb0EPKiPiN6thrust23THRUST_200600_302600_NS4plusIiEEEE10hipError_tPvRmT2_T3_mT4_P12ihipStream_tbEUlT_E_NS1_11comp_targetILNS1_3genE9ELNS1_11target_archE1100ELNS1_3gpuE3ELNS1_3repE0EEENS1_30default_config_static_selectorELNS0_4arch9wavefront6targetE1EEEvT1_,comdat
	.protected	_ZN7rocprim17ROCPRIM_400000_NS6detail17trampoline_kernelINS0_14default_configENS1_35adjacent_difference_config_selectorILb1EiEEZNS1_24adjacent_difference_implIS3_Lb1ELb0EPKiPiN6thrust23THRUST_200600_302600_NS4plusIiEEEE10hipError_tPvRmT2_T3_mT4_P12ihipStream_tbEUlT_E_NS1_11comp_targetILNS1_3genE9ELNS1_11target_archE1100ELNS1_3gpuE3ELNS1_3repE0EEENS1_30default_config_static_selectorELNS0_4arch9wavefront6targetE1EEEvT1_ ; -- Begin function _ZN7rocprim17ROCPRIM_400000_NS6detail17trampoline_kernelINS0_14default_configENS1_35adjacent_difference_config_selectorILb1EiEEZNS1_24adjacent_difference_implIS3_Lb1ELb0EPKiPiN6thrust23THRUST_200600_302600_NS4plusIiEEEE10hipError_tPvRmT2_T3_mT4_P12ihipStream_tbEUlT_E_NS1_11comp_targetILNS1_3genE9ELNS1_11target_archE1100ELNS1_3gpuE3ELNS1_3repE0EEENS1_30default_config_static_selectorELNS0_4arch9wavefront6targetE1EEEvT1_
	.globl	_ZN7rocprim17ROCPRIM_400000_NS6detail17trampoline_kernelINS0_14default_configENS1_35adjacent_difference_config_selectorILb1EiEEZNS1_24adjacent_difference_implIS3_Lb1ELb0EPKiPiN6thrust23THRUST_200600_302600_NS4plusIiEEEE10hipError_tPvRmT2_T3_mT4_P12ihipStream_tbEUlT_E_NS1_11comp_targetILNS1_3genE9ELNS1_11target_archE1100ELNS1_3gpuE3ELNS1_3repE0EEENS1_30default_config_static_selectorELNS0_4arch9wavefront6targetE1EEEvT1_
	.p2align	8
	.type	_ZN7rocprim17ROCPRIM_400000_NS6detail17trampoline_kernelINS0_14default_configENS1_35adjacent_difference_config_selectorILb1EiEEZNS1_24adjacent_difference_implIS3_Lb1ELb0EPKiPiN6thrust23THRUST_200600_302600_NS4plusIiEEEE10hipError_tPvRmT2_T3_mT4_P12ihipStream_tbEUlT_E_NS1_11comp_targetILNS1_3genE9ELNS1_11target_archE1100ELNS1_3gpuE3ELNS1_3repE0EEENS1_30default_config_static_selectorELNS0_4arch9wavefront6targetE1EEEvT1_,@function
_ZN7rocprim17ROCPRIM_400000_NS6detail17trampoline_kernelINS0_14default_configENS1_35adjacent_difference_config_selectorILb1EiEEZNS1_24adjacent_difference_implIS3_Lb1ELb0EPKiPiN6thrust23THRUST_200600_302600_NS4plusIiEEEE10hipError_tPvRmT2_T3_mT4_P12ihipStream_tbEUlT_E_NS1_11comp_targetILNS1_3genE9ELNS1_11target_archE1100ELNS1_3gpuE3ELNS1_3repE0EEENS1_30default_config_static_selectorELNS0_4arch9wavefront6targetE1EEEvT1_: ; @_ZN7rocprim17ROCPRIM_400000_NS6detail17trampoline_kernelINS0_14default_configENS1_35adjacent_difference_config_selectorILb1EiEEZNS1_24adjacent_difference_implIS3_Lb1ELb0EPKiPiN6thrust23THRUST_200600_302600_NS4plusIiEEEE10hipError_tPvRmT2_T3_mT4_P12ihipStream_tbEUlT_E_NS1_11comp_targetILNS1_3genE9ELNS1_11target_archE1100ELNS1_3gpuE3ELNS1_3repE0EEENS1_30default_config_static_selectorELNS0_4arch9wavefront6targetE1EEEvT1_
; %bb.0:
	.section	.rodata,"a",@progbits
	.p2align	6, 0x0
	.amdhsa_kernel _ZN7rocprim17ROCPRIM_400000_NS6detail17trampoline_kernelINS0_14default_configENS1_35adjacent_difference_config_selectorILb1EiEEZNS1_24adjacent_difference_implIS3_Lb1ELb0EPKiPiN6thrust23THRUST_200600_302600_NS4plusIiEEEE10hipError_tPvRmT2_T3_mT4_P12ihipStream_tbEUlT_E_NS1_11comp_targetILNS1_3genE9ELNS1_11target_archE1100ELNS1_3gpuE3ELNS1_3repE0EEENS1_30default_config_static_selectorELNS0_4arch9wavefront6targetE1EEEvT1_
		.amdhsa_group_segment_fixed_size 0
		.amdhsa_private_segment_fixed_size 0
		.amdhsa_kernarg_size 56
		.amdhsa_user_sgpr_count 6
		.amdhsa_user_sgpr_private_segment_buffer 1
		.amdhsa_user_sgpr_dispatch_ptr 0
		.amdhsa_user_sgpr_queue_ptr 0
		.amdhsa_user_sgpr_kernarg_segment_ptr 1
		.amdhsa_user_sgpr_dispatch_id 0
		.amdhsa_user_sgpr_flat_scratch_init 0
		.amdhsa_user_sgpr_kernarg_preload_length 0
		.amdhsa_user_sgpr_kernarg_preload_offset 0
		.amdhsa_user_sgpr_private_segment_size 0
		.amdhsa_uses_dynamic_stack 0
		.amdhsa_system_sgpr_private_segment_wavefront_offset 0
		.amdhsa_system_sgpr_workgroup_id_x 1
		.amdhsa_system_sgpr_workgroup_id_y 0
		.amdhsa_system_sgpr_workgroup_id_z 0
		.amdhsa_system_sgpr_workgroup_info 0
		.amdhsa_system_vgpr_workitem_id 0
		.amdhsa_next_free_vgpr 1
		.amdhsa_next_free_sgpr 0
		.amdhsa_accum_offset 4
		.amdhsa_reserve_vcc 0
		.amdhsa_reserve_flat_scratch 0
		.amdhsa_float_round_mode_32 0
		.amdhsa_float_round_mode_16_64 0
		.amdhsa_float_denorm_mode_32 3
		.amdhsa_float_denorm_mode_16_64 3
		.amdhsa_dx10_clamp 1
		.amdhsa_ieee_mode 1
		.amdhsa_fp16_overflow 0
		.amdhsa_tg_split 0
		.amdhsa_exception_fp_ieee_invalid_op 0
		.amdhsa_exception_fp_denorm_src 0
		.amdhsa_exception_fp_ieee_div_zero 0
		.amdhsa_exception_fp_ieee_overflow 0
		.amdhsa_exception_fp_ieee_underflow 0
		.amdhsa_exception_fp_ieee_inexact 0
		.amdhsa_exception_int_div_zero 0
	.end_amdhsa_kernel
	.section	.text._ZN7rocprim17ROCPRIM_400000_NS6detail17trampoline_kernelINS0_14default_configENS1_35adjacent_difference_config_selectorILb1EiEEZNS1_24adjacent_difference_implIS3_Lb1ELb0EPKiPiN6thrust23THRUST_200600_302600_NS4plusIiEEEE10hipError_tPvRmT2_T3_mT4_P12ihipStream_tbEUlT_E_NS1_11comp_targetILNS1_3genE9ELNS1_11target_archE1100ELNS1_3gpuE3ELNS1_3repE0EEENS1_30default_config_static_selectorELNS0_4arch9wavefront6targetE1EEEvT1_,"axG",@progbits,_ZN7rocprim17ROCPRIM_400000_NS6detail17trampoline_kernelINS0_14default_configENS1_35adjacent_difference_config_selectorILb1EiEEZNS1_24adjacent_difference_implIS3_Lb1ELb0EPKiPiN6thrust23THRUST_200600_302600_NS4plusIiEEEE10hipError_tPvRmT2_T3_mT4_P12ihipStream_tbEUlT_E_NS1_11comp_targetILNS1_3genE9ELNS1_11target_archE1100ELNS1_3gpuE3ELNS1_3repE0EEENS1_30default_config_static_selectorELNS0_4arch9wavefront6targetE1EEEvT1_,comdat
.Lfunc_end589:
	.size	_ZN7rocprim17ROCPRIM_400000_NS6detail17trampoline_kernelINS0_14default_configENS1_35adjacent_difference_config_selectorILb1EiEEZNS1_24adjacent_difference_implIS3_Lb1ELb0EPKiPiN6thrust23THRUST_200600_302600_NS4plusIiEEEE10hipError_tPvRmT2_T3_mT4_P12ihipStream_tbEUlT_E_NS1_11comp_targetILNS1_3genE9ELNS1_11target_archE1100ELNS1_3gpuE3ELNS1_3repE0EEENS1_30default_config_static_selectorELNS0_4arch9wavefront6targetE1EEEvT1_, .Lfunc_end589-_ZN7rocprim17ROCPRIM_400000_NS6detail17trampoline_kernelINS0_14default_configENS1_35adjacent_difference_config_selectorILb1EiEEZNS1_24adjacent_difference_implIS3_Lb1ELb0EPKiPiN6thrust23THRUST_200600_302600_NS4plusIiEEEE10hipError_tPvRmT2_T3_mT4_P12ihipStream_tbEUlT_E_NS1_11comp_targetILNS1_3genE9ELNS1_11target_archE1100ELNS1_3gpuE3ELNS1_3repE0EEENS1_30default_config_static_selectorELNS0_4arch9wavefront6targetE1EEEvT1_
                                        ; -- End function
	.section	.AMDGPU.csdata,"",@progbits
; Kernel info:
; codeLenInByte = 0
; NumSgprs: 4
; NumVgprs: 0
; NumAgprs: 0
; TotalNumVgprs: 0
; ScratchSize: 0
; MemoryBound: 0
; FloatMode: 240
; IeeeMode: 1
; LDSByteSize: 0 bytes/workgroup (compile time only)
; SGPRBlocks: 0
; VGPRBlocks: 0
; NumSGPRsForWavesPerEU: 4
; NumVGPRsForWavesPerEU: 1
; AccumOffset: 4
; Occupancy: 8
; WaveLimiterHint : 0
; COMPUTE_PGM_RSRC2:SCRATCH_EN: 0
; COMPUTE_PGM_RSRC2:USER_SGPR: 6
; COMPUTE_PGM_RSRC2:TRAP_HANDLER: 0
; COMPUTE_PGM_RSRC2:TGID_X_EN: 1
; COMPUTE_PGM_RSRC2:TGID_Y_EN: 0
; COMPUTE_PGM_RSRC2:TGID_Z_EN: 0
; COMPUTE_PGM_RSRC2:TIDIG_COMP_CNT: 0
; COMPUTE_PGM_RSRC3_GFX90A:ACCUM_OFFSET: 0
; COMPUTE_PGM_RSRC3_GFX90A:TG_SPLIT: 0
	.section	.text._ZN7rocprim17ROCPRIM_400000_NS6detail17trampoline_kernelINS0_14default_configENS1_35adjacent_difference_config_selectorILb1EiEEZNS1_24adjacent_difference_implIS3_Lb1ELb0EPKiPiN6thrust23THRUST_200600_302600_NS4plusIiEEEE10hipError_tPvRmT2_T3_mT4_P12ihipStream_tbEUlT_E_NS1_11comp_targetILNS1_3genE8ELNS1_11target_archE1030ELNS1_3gpuE2ELNS1_3repE0EEENS1_30default_config_static_selectorELNS0_4arch9wavefront6targetE1EEEvT1_,"axG",@progbits,_ZN7rocprim17ROCPRIM_400000_NS6detail17trampoline_kernelINS0_14default_configENS1_35adjacent_difference_config_selectorILb1EiEEZNS1_24adjacent_difference_implIS3_Lb1ELb0EPKiPiN6thrust23THRUST_200600_302600_NS4plusIiEEEE10hipError_tPvRmT2_T3_mT4_P12ihipStream_tbEUlT_E_NS1_11comp_targetILNS1_3genE8ELNS1_11target_archE1030ELNS1_3gpuE2ELNS1_3repE0EEENS1_30default_config_static_selectorELNS0_4arch9wavefront6targetE1EEEvT1_,comdat
	.protected	_ZN7rocprim17ROCPRIM_400000_NS6detail17trampoline_kernelINS0_14default_configENS1_35adjacent_difference_config_selectorILb1EiEEZNS1_24adjacent_difference_implIS3_Lb1ELb0EPKiPiN6thrust23THRUST_200600_302600_NS4plusIiEEEE10hipError_tPvRmT2_T3_mT4_P12ihipStream_tbEUlT_E_NS1_11comp_targetILNS1_3genE8ELNS1_11target_archE1030ELNS1_3gpuE2ELNS1_3repE0EEENS1_30default_config_static_selectorELNS0_4arch9wavefront6targetE1EEEvT1_ ; -- Begin function _ZN7rocprim17ROCPRIM_400000_NS6detail17trampoline_kernelINS0_14default_configENS1_35adjacent_difference_config_selectorILb1EiEEZNS1_24adjacent_difference_implIS3_Lb1ELb0EPKiPiN6thrust23THRUST_200600_302600_NS4plusIiEEEE10hipError_tPvRmT2_T3_mT4_P12ihipStream_tbEUlT_E_NS1_11comp_targetILNS1_3genE8ELNS1_11target_archE1030ELNS1_3gpuE2ELNS1_3repE0EEENS1_30default_config_static_selectorELNS0_4arch9wavefront6targetE1EEEvT1_
	.globl	_ZN7rocprim17ROCPRIM_400000_NS6detail17trampoline_kernelINS0_14default_configENS1_35adjacent_difference_config_selectorILb1EiEEZNS1_24adjacent_difference_implIS3_Lb1ELb0EPKiPiN6thrust23THRUST_200600_302600_NS4plusIiEEEE10hipError_tPvRmT2_T3_mT4_P12ihipStream_tbEUlT_E_NS1_11comp_targetILNS1_3genE8ELNS1_11target_archE1030ELNS1_3gpuE2ELNS1_3repE0EEENS1_30default_config_static_selectorELNS0_4arch9wavefront6targetE1EEEvT1_
	.p2align	8
	.type	_ZN7rocprim17ROCPRIM_400000_NS6detail17trampoline_kernelINS0_14default_configENS1_35adjacent_difference_config_selectorILb1EiEEZNS1_24adjacent_difference_implIS3_Lb1ELb0EPKiPiN6thrust23THRUST_200600_302600_NS4plusIiEEEE10hipError_tPvRmT2_T3_mT4_P12ihipStream_tbEUlT_E_NS1_11comp_targetILNS1_3genE8ELNS1_11target_archE1030ELNS1_3gpuE2ELNS1_3repE0EEENS1_30default_config_static_selectorELNS0_4arch9wavefront6targetE1EEEvT1_,@function
_ZN7rocprim17ROCPRIM_400000_NS6detail17trampoline_kernelINS0_14default_configENS1_35adjacent_difference_config_selectorILb1EiEEZNS1_24adjacent_difference_implIS3_Lb1ELb0EPKiPiN6thrust23THRUST_200600_302600_NS4plusIiEEEE10hipError_tPvRmT2_T3_mT4_P12ihipStream_tbEUlT_E_NS1_11comp_targetILNS1_3genE8ELNS1_11target_archE1030ELNS1_3gpuE2ELNS1_3repE0EEENS1_30default_config_static_selectorELNS0_4arch9wavefront6targetE1EEEvT1_: ; @_ZN7rocprim17ROCPRIM_400000_NS6detail17trampoline_kernelINS0_14default_configENS1_35adjacent_difference_config_selectorILb1EiEEZNS1_24adjacent_difference_implIS3_Lb1ELb0EPKiPiN6thrust23THRUST_200600_302600_NS4plusIiEEEE10hipError_tPvRmT2_T3_mT4_P12ihipStream_tbEUlT_E_NS1_11comp_targetILNS1_3genE8ELNS1_11target_archE1030ELNS1_3gpuE2ELNS1_3repE0EEENS1_30default_config_static_selectorELNS0_4arch9wavefront6targetE1EEEvT1_
; %bb.0:
	.section	.rodata,"a",@progbits
	.p2align	6, 0x0
	.amdhsa_kernel _ZN7rocprim17ROCPRIM_400000_NS6detail17trampoline_kernelINS0_14default_configENS1_35adjacent_difference_config_selectorILb1EiEEZNS1_24adjacent_difference_implIS3_Lb1ELb0EPKiPiN6thrust23THRUST_200600_302600_NS4plusIiEEEE10hipError_tPvRmT2_T3_mT4_P12ihipStream_tbEUlT_E_NS1_11comp_targetILNS1_3genE8ELNS1_11target_archE1030ELNS1_3gpuE2ELNS1_3repE0EEENS1_30default_config_static_selectorELNS0_4arch9wavefront6targetE1EEEvT1_
		.amdhsa_group_segment_fixed_size 0
		.amdhsa_private_segment_fixed_size 0
		.amdhsa_kernarg_size 56
		.amdhsa_user_sgpr_count 6
		.amdhsa_user_sgpr_private_segment_buffer 1
		.amdhsa_user_sgpr_dispatch_ptr 0
		.amdhsa_user_sgpr_queue_ptr 0
		.amdhsa_user_sgpr_kernarg_segment_ptr 1
		.amdhsa_user_sgpr_dispatch_id 0
		.amdhsa_user_sgpr_flat_scratch_init 0
		.amdhsa_user_sgpr_kernarg_preload_length 0
		.amdhsa_user_sgpr_kernarg_preload_offset 0
		.amdhsa_user_sgpr_private_segment_size 0
		.amdhsa_uses_dynamic_stack 0
		.amdhsa_system_sgpr_private_segment_wavefront_offset 0
		.amdhsa_system_sgpr_workgroup_id_x 1
		.amdhsa_system_sgpr_workgroup_id_y 0
		.amdhsa_system_sgpr_workgroup_id_z 0
		.amdhsa_system_sgpr_workgroup_info 0
		.amdhsa_system_vgpr_workitem_id 0
		.amdhsa_next_free_vgpr 1
		.amdhsa_next_free_sgpr 0
		.amdhsa_accum_offset 4
		.amdhsa_reserve_vcc 0
		.amdhsa_reserve_flat_scratch 0
		.amdhsa_float_round_mode_32 0
		.amdhsa_float_round_mode_16_64 0
		.amdhsa_float_denorm_mode_32 3
		.amdhsa_float_denorm_mode_16_64 3
		.amdhsa_dx10_clamp 1
		.amdhsa_ieee_mode 1
		.amdhsa_fp16_overflow 0
		.amdhsa_tg_split 0
		.amdhsa_exception_fp_ieee_invalid_op 0
		.amdhsa_exception_fp_denorm_src 0
		.amdhsa_exception_fp_ieee_div_zero 0
		.amdhsa_exception_fp_ieee_overflow 0
		.amdhsa_exception_fp_ieee_underflow 0
		.amdhsa_exception_fp_ieee_inexact 0
		.amdhsa_exception_int_div_zero 0
	.end_amdhsa_kernel
	.section	.text._ZN7rocprim17ROCPRIM_400000_NS6detail17trampoline_kernelINS0_14default_configENS1_35adjacent_difference_config_selectorILb1EiEEZNS1_24adjacent_difference_implIS3_Lb1ELb0EPKiPiN6thrust23THRUST_200600_302600_NS4plusIiEEEE10hipError_tPvRmT2_T3_mT4_P12ihipStream_tbEUlT_E_NS1_11comp_targetILNS1_3genE8ELNS1_11target_archE1030ELNS1_3gpuE2ELNS1_3repE0EEENS1_30default_config_static_selectorELNS0_4arch9wavefront6targetE1EEEvT1_,"axG",@progbits,_ZN7rocprim17ROCPRIM_400000_NS6detail17trampoline_kernelINS0_14default_configENS1_35adjacent_difference_config_selectorILb1EiEEZNS1_24adjacent_difference_implIS3_Lb1ELb0EPKiPiN6thrust23THRUST_200600_302600_NS4plusIiEEEE10hipError_tPvRmT2_T3_mT4_P12ihipStream_tbEUlT_E_NS1_11comp_targetILNS1_3genE8ELNS1_11target_archE1030ELNS1_3gpuE2ELNS1_3repE0EEENS1_30default_config_static_selectorELNS0_4arch9wavefront6targetE1EEEvT1_,comdat
.Lfunc_end590:
	.size	_ZN7rocprim17ROCPRIM_400000_NS6detail17trampoline_kernelINS0_14default_configENS1_35adjacent_difference_config_selectorILb1EiEEZNS1_24adjacent_difference_implIS3_Lb1ELb0EPKiPiN6thrust23THRUST_200600_302600_NS4plusIiEEEE10hipError_tPvRmT2_T3_mT4_P12ihipStream_tbEUlT_E_NS1_11comp_targetILNS1_3genE8ELNS1_11target_archE1030ELNS1_3gpuE2ELNS1_3repE0EEENS1_30default_config_static_selectorELNS0_4arch9wavefront6targetE1EEEvT1_, .Lfunc_end590-_ZN7rocprim17ROCPRIM_400000_NS6detail17trampoline_kernelINS0_14default_configENS1_35adjacent_difference_config_selectorILb1EiEEZNS1_24adjacent_difference_implIS3_Lb1ELb0EPKiPiN6thrust23THRUST_200600_302600_NS4plusIiEEEE10hipError_tPvRmT2_T3_mT4_P12ihipStream_tbEUlT_E_NS1_11comp_targetILNS1_3genE8ELNS1_11target_archE1030ELNS1_3gpuE2ELNS1_3repE0EEENS1_30default_config_static_selectorELNS0_4arch9wavefront6targetE1EEEvT1_
                                        ; -- End function
	.section	.AMDGPU.csdata,"",@progbits
; Kernel info:
; codeLenInByte = 0
; NumSgprs: 4
; NumVgprs: 0
; NumAgprs: 0
; TotalNumVgprs: 0
; ScratchSize: 0
; MemoryBound: 0
; FloatMode: 240
; IeeeMode: 1
; LDSByteSize: 0 bytes/workgroup (compile time only)
; SGPRBlocks: 0
; VGPRBlocks: 0
; NumSGPRsForWavesPerEU: 4
; NumVGPRsForWavesPerEU: 1
; AccumOffset: 4
; Occupancy: 8
; WaveLimiterHint : 0
; COMPUTE_PGM_RSRC2:SCRATCH_EN: 0
; COMPUTE_PGM_RSRC2:USER_SGPR: 6
; COMPUTE_PGM_RSRC2:TRAP_HANDLER: 0
; COMPUTE_PGM_RSRC2:TGID_X_EN: 1
; COMPUTE_PGM_RSRC2:TGID_Y_EN: 0
; COMPUTE_PGM_RSRC2:TGID_Z_EN: 0
; COMPUTE_PGM_RSRC2:TIDIG_COMP_CNT: 0
; COMPUTE_PGM_RSRC3_GFX90A:ACCUM_OFFSET: 0
; COMPUTE_PGM_RSRC3_GFX90A:TG_SPLIT: 0
	.section	.text._ZN7rocprim17ROCPRIM_400000_NS6detail17trampoline_kernelINS0_14default_configENS1_35adjacent_difference_config_selectorILb0EjEEZNS1_24adjacent_difference_implIS3_Lb0ELb0EPKjPjN6thrust23THRUST_200600_302600_NS4plusIjEEEE10hipError_tPvRmT2_T3_mT4_P12ihipStream_tbEUlT_E_NS1_11comp_targetILNS1_3genE0ELNS1_11target_archE4294967295ELNS1_3gpuE0ELNS1_3repE0EEENS1_30default_config_static_selectorELNS0_4arch9wavefront6targetE1EEEvT1_,"axG",@progbits,_ZN7rocprim17ROCPRIM_400000_NS6detail17trampoline_kernelINS0_14default_configENS1_35adjacent_difference_config_selectorILb0EjEEZNS1_24adjacent_difference_implIS3_Lb0ELb0EPKjPjN6thrust23THRUST_200600_302600_NS4plusIjEEEE10hipError_tPvRmT2_T3_mT4_P12ihipStream_tbEUlT_E_NS1_11comp_targetILNS1_3genE0ELNS1_11target_archE4294967295ELNS1_3gpuE0ELNS1_3repE0EEENS1_30default_config_static_selectorELNS0_4arch9wavefront6targetE1EEEvT1_,comdat
	.protected	_ZN7rocprim17ROCPRIM_400000_NS6detail17trampoline_kernelINS0_14default_configENS1_35adjacent_difference_config_selectorILb0EjEEZNS1_24adjacent_difference_implIS3_Lb0ELb0EPKjPjN6thrust23THRUST_200600_302600_NS4plusIjEEEE10hipError_tPvRmT2_T3_mT4_P12ihipStream_tbEUlT_E_NS1_11comp_targetILNS1_3genE0ELNS1_11target_archE4294967295ELNS1_3gpuE0ELNS1_3repE0EEENS1_30default_config_static_selectorELNS0_4arch9wavefront6targetE1EEEvT1_ ; -- Begin function _ZN7rocprim17ROCPRIM_400000_NS6detail17trampoline_kernelINS0_14default_configENS1_35adjacent_difference_config_selectorILb0EjEEZNS1_24adjacent_difference_implIS3_Lb0ELb0EPKjPjN6thrust23THRUST_200600_302600_NS4plusIjEEEE10hipError_tPvRmT2_T3_mT4_P12ihipStream_tbEUlT_E_NS1_11comp_targetILNS1_3genE0ELNS1_11target_archE4294967295ELNS1_3gpuE0ELNS1_3repE0EEENS1_30default_config_static_selectorELNS0_4arch9wavefront6targetE1EEEvT1_
	.globl	_ZN7rocprim17ROCPRIM_400000_NS6detail17trampoline_kernelINS0_14default_configENS1_35adjacent_difference_config_selectorILb0EjEEZNS1_24adjacent_difference_implIS3_Lb0ELb0EPKjPjN6thrust23THRUST_200600_302600_NS4plusIjEEEE10hipError_tPvRmT2_T3_mT4_P12ihipStream_tbEUlT_E_NS1_11comp_targetILNS1_3genE0ELNS1_11target_archE4294967295ELNS1_3gpuE0ELNS1_3repE0EEENS1_30default_config_static_selectorELNS0_4arch9wavefront6targetE1EEEvT1_
	.p2align	8
	.type	_ZN7rocprim17ROCPRIM_400000_NS6detail17trampoline_kernelINS0_14default_configENS1_35adjacent_difference_config_selectorILb0EjEEZNS1_24adjacent_difference_implIS3_Lb0ELb0EPKjPjN6thrust23THRUST_200600_302600_NS4plusIjEEEE10hipError_tPvRmT2_T3_mT4_P12ihipStream_tbEUlT_E_NS1_11comp_targetILNS1_3genE0ELNS1_11target_archE4294967295ELNS1_3gpuE0ELNS1_3repE0EEENS1_30default_config_static_selectorELNS0_4arch9wavefront6targetE1EEEvT1_,@function
_ZN7rocprim17ROCPRIM_400000_NS6detail17trampoline_kernelINS0_14default_configENS1_35adjacent_difference_config_selectorILb0EjEEZNS1_24adjacent_difference_implIS3_Lb0ELb0EPKjPjN6thrust23THRUST_200600_302600_NS4plusIjEEEE10hipError_tPvRmT2_T3_mT4_P12ihipStream_tbEUlT_E_NS1_11comp_targetILNS1_3genE0ELNS1_11target_archE4294967295ELNS1_3gpuE0ELNS1_3repE0EEENS1_30default_config_static_selectorELNS0_4arch9wavefront6targetE1EEEvT1_: ; @_ZN7rocprim17ROCPRIM_400000_NS6detail17trampoline_kernelINS0_14default_configENS1_35adjacent_difference_config_selectorILb0EjEEZNS1_24adjacent_difference_implIS3_Lb0ELb0EPKjPjN6thrust23THRUST_200600_302600_NS4plusIjEEEE10hipError_tPvRmT2_T3_mT4_P12ihipStream_tbEUlT_E_NS1_11comp_targetILNS1_3genE0ELNS1_11target_archE4294967295ELNS1_3gpuE0ELNS1_3repE0EEENS1_30default_config_static_selectorELNS0_4arch9wavefront6targetE1EEEvT1_
; %bb.0:
	.section	.rodata,"a",@progbits
	.p2align	6, 0x0
	.amdhsa_kernel _ZN7rocprim17ROCPRIM_400000_NS6detail17trampoline_kernelINS0_14default_configENS1_35adjacent_difference_config_selectorILb0EjEEZNS1_24adjacent_difference_implIS3_Lb0ELb0EPKjPjN6thrust23THRUST_200600_302600_NS4plusIjEEEE10hipError_tPvRmT2_T3_mT4_P12ihipStream_tbEUlT_E_NS1_11comp_targetILNS1_3genE0ELNS1_11target_archE4294967295ELNS1_3gpuE0ELNS1_3repE0EEENS1_30default_config_static_selectorELNS0_4arch9wavefront6targetE1EEEvT1_
		.amdhsa_group_segment_fixed_size 0
		.amdhsa_private_segment_fixed_size 0
		.amdhsa_kernarg_size 56
		.amdhsa_user_sgpr_count 6
		.amdhsa_user_sgpr_private_segment_buffer 1
		.amdhsa_user_sgpr_dispatch_ptr 0
		.amdhsa_user_sgpr_queue_ptr 0
		.amdhsa_user_sgpr_kernarg_segment_ptr 1
		.amdhsa_user_sgpr_dispatch_id 0
		.amdhsa_user_sgpr_flat_scratch_init 0
		.amdhsa_user_sgpr_kernarg_preload_length 0
		.amdhsa_user_sgpr_kernarg_preload_offset 0
		.amdhsa_user_sgpr_private_segment_size 0
		.amdhsa_uses_dynamic_stack 0
		.amdhsa_system_sgpr_private_segment_wavefront_offset 0
		.amdhsa_system_sgpr_workgroup_id_x 1
		.amdhsa_system_sgpr_workgroup_id_y 0
		.amdhsa_system_sgpr_workgroup_id_z 0
		.amdhsa_system_sgpr_workgroup_info 0
		.amdhsa_system_vgpr_workitem_id 0
		.amdhsa_next_free_vgpr 1
		.amdhsa_next_free_sgpr 0
		.amdhsa_accum_offset 4
		.amdhsa_reserve_vcc 0
		.amdhsa_reserve_flat_scratch 0
		.amdhsa_float_round_mode_32 0
		.amdhsa_float_round_mode_16_64 0
		.amdhsa_float_denorm_mode_32 3
		.amdhsa_float_denorm_mode_16_64 3
		.amdhsa_dx10_clamp 1
		.amdhsa_ieee_mode 1
		.amdhsa_fp16_overflow 0
		.amdhsa_tg_split 0
		.amdhsa_exception_fp_ieee_invalid_op 0
		.amdhsa_exception_fp_denorm_src 0
		.amdhsa_exception_fp_ieee_div_zero 0
		.amdhsa_exception_fp_ieee_overflow 0
		.amdhsa_exception_fp_ieee_underflow 0
		.amdhsa_exception_fp_ieee_inexact 0
		.amdhsa_exception_int_div_zero 0
	.end_amdhsa_kernel
	.section	.text._ZN7rocprim17ROCPRIM_400000_NS6detail17trampoline_kernelINS0_14default_configENS1_35adjacent_difference_config_selectorILb0EjEEZNS1_24adjacent_difference_implIS3_Lb0ELb0EPKjPjN6thrust23THRUST_200600_302600_NS4plusIjEEEE10hipError_tPvRmT2_T3_mT4_P12ihipStream_tbEUlT_E_NS1_11comp_targetILNS1_3genE0ELNS1_11target_archE4294967295ELNS1_3gpuE0ELNS1_3repE0EEENS1_30default_config_static_selectorELNS0_4arch9wavefront6targetE1EEEvT1_,"axG",@progbits,_ZN7rocprim17ROCPRIM_400000_NS6detail17trampoline_kernelINS0_14default_configENS1_35adjacent_difference_config_selectorILb0EjEEZNS1_24adjacent_difference_implIS3_Lb0ELb0EPKjPjN6thrust23THRUST_200600_302600_NS4plusIjEEEE10hipError_tPvRmT2_T3_mT4_P12ihipStream_tbEUlT_E_NS1_11comp_targetILNS1_3genE0ELNS1_11target_archE4294967295ELNS1_3gpuE0ELNS1_3repE0EEENS1_30default_config_static_selectorELNS0_4arch9wavefront6targetE1EEEvT1_,comdat
.Lfunc_end591:
	.size	_ZN7rocprim17ROCPRIM_400000_NS6detail17trampoline_kernelINS0_14default_configENS1_35adjacent_difference_config_selectorILb0EjEEZNS1_24adjacent_difference_implIS3_Lb0ELb0EPKjPjN6thrust23THRUST_200600_302600_NS4plusIjEEEE10hipError_tPvRmT2_T3_mT4_P12ihipStream_tbEUlT_E_NS1_11comp_targetILNS1_3genE0ELNS1_11target_archE4294967295ELNS1_3gpuE0ELNS1_3repE0EEENS1_30default_config_static_selectorELNS0_4arch9wavefront6targetE1EEEvT1_, .Lfunc_end591-_ZN7rocprim17ROCPRIM_400000_NS6detail17trampoline_kernelINS0_14default_configENS1_35adjacent_difference_config_selectorILb0EjEEZNS1_24adjacent_difference_implIS3_Lb0ELb0EPKjPjN6thrust23THRUST_200600_302600_NS4plusIjEEEE10hipError_tPvRmT2_T3_mT4_P12ihipStream_tbEUlT_E_NS1_11comp_targetILNS1_3genE0ELNS1_11target_archE4294967295ELNS1_3gpuE0ELNS1_3repE0EEENS1_30default_config_static_selectorELNS0_4arch9wavefront6targetE1EEEvT1_
                                        ; -- End function
	.section	.AMDGPU.csdata,"",@progbits
; Kernel info:
; codeLenInByte = 0
; NumSgprs: 4
; NumVgprs: 0
; NumAgprs: 0
; TotalNumVgprs: 0
; ScratchSize: 0
; MemoryBound: 0
; FloatMode: 240
; IeeeMode: 1
; LDSByteSize: 0 bytes/workgroup (compile time only)
; SGPRBlocks: 0
; VGPRBlocks: 0
; NumSGPRsForWavesPerEU: 4
; NumVGPRsForWavesPerEU: 1
; AccumOffset: 4
; Occupancy: 8
; WaveLimiterHint : 0
; COMPUTE_PGM_RSRC2:SCRATCH_EN: 0
; COMPUTE_PGM_RSRC2:USER_SGPR: 6
; COMPUTE_PGM_RSRC2:TRAP_HANDLER: 0
; COMPUTE_PGM_RSRC2:TGID_X_EN: 1
; COMPUTE_PGM_RSRC2:TGID_Y_EN: 0
; COMPUTE_PGM_RSRC2:TGID_Z_EN: 0
; COMPUTE_PGM_RSRC2:TIDIG_COMP_CNT: 0
; COMPUTE_PGM_RSRC3_GFX90A:ACCUM_OFFSET: 0
; COMPUTE_PGM_RSRC3_GFX90A:TG_SPLIT: 0
	.section	.text._ZN7rocprim17ROCPRIM_400000_NS6detail17trampoline_kernelINS0_14default_configENS1_35adjacent_difference_config_selectorILb0EjEEZNS1_24adjacent_difference_implIS3_Lb0ELb0EPKjPjN6thrust23THRUST_200600_302600_NS4plusIjEEEE10hipError_tPvRmT2_T3_mT4_P12ihipStream_tbEUlT_E_NS1_11comp_targetILNS1_3genE10ELNS1_11target_archE1201ELNS1_3gpuE5ELNS1_3repE0EEENS1_30default_config_static_selectorELNS0_4arch9wavefront6targetE1EEEvT1_,"axG",@progbits,_ZN7rocprim17ROCPRIM_400000_NS6detail17trampoline_kernelINS0_14default_configENS1_35adjacent_difference_config_selectorILb0EjEEZNS1_24adjacent_difference_implIS3_Lb0ELb0EPKjPjN6thrust23THRUST_200600_302600_NS4plusIjEEEE10hipError_tPvRmT2_T3_mT4_P12ihipStream_tbEUlT_E_NS1_11comp_targetILNS1_3genE10ELNS1_11target_archE1201ELNS1_3gpuE5ELNS1_3repE0EEENS1_30default_config_static_selectorELNS0_4arch9wavefront6targetE1EEEvT1_,comdat
	.protected	_ZN7rocprim17ROCPRIM_400000_NS6detail17trampoline_kernelINS0_14default_configENS1_35adjacent_difference_config_selectorILb0EjEEZNS1_24adjacent_difference_implIS3_Lb0ELb0EPKjPjN6thrust23THRUST_200600_302600_NS4plusIjEEEE10hipError_tPvRmT2_T3_mT4_P12ihipStream_tbEUlT_E_NS1_11comp_targetILNS1_3genE10ELNS1_11target_archE1201ELNS1_3gpuE5ELNS1_3repE0EEENS1_30default_config_static_selectorELNS0_4arch9wavefront6targetE1EEEvT1_ ; -- Begin function _ZN7rocprim17ROCPRIM_400000_NS6detail17trampoline_kernelINS0_14default_configENS1_35adjacent_difference_config_selectorILb0EjEEZNS1_24adjacent_difference_implIS3_Lb0ELb0EPKjPjN6thrust23THRUST_200600_302600_NS4plusIjEEEE10hipError_tPvRmT2_T3_mT4_P12ihipStream_tbEUlT_E_NS1_11comp_targetILNS1_3genE10ELNS1_11target_archE1201ELNS1_3gpuE5ELNS1_3repE0EEENS1_30default_config_static_selectorELNS0_4arch9wavefront6targetE1EEEvT1_
	.globl	_ZN7rocprim17ROCPRIM_400000_NS6detail17trampoline_kernelINS0_14default_configENS1_35adjacent_difference_config_selectorILb0EjEEZNS1_24adjacent_difference_implIS3_Lb0ELb0EPKjPjN6thrust23THRUST_200600_302600_NS4plusIjEEEE10hipError_tPvRmT2_T3_mT4_P12ihipStream_tbEUlT_E_NS1_11comp_targetILNS1_3genE10ELNS1_11target_archE1201ELNS1_3gpuE5ELNS1_3repE0EEENS1_30default_config_static_selectorELNS0_4arch9wavefront6targetE1EEEvT1_
	.p2align	8
	.type	_ZN7rocprim17ROCPRIM_400000_NS6detail17trampoline_kernelINS0_14default_configENS1_35adjacent_difference_config_selectorILb0EjEEZNS1_24adjacent_difference_implIS3_Lb0ELb0EPKjPjN6thrust23THRUST_200600_302600_NS4plusIjEEEE10hipError_tPvRmT2_T3_mT4_P12ihipStream_tbEUlT_E_NS1_11comp_targetILNS1_3genE10ELNS1_11target_archE1201ELNS1_3gpuE5ELNS1_3repE0EEENS1_30default_config_static_selectorELNS0_4arch9wavefront6targetE1EEEvT1_,@function
_ZN7rocprim17ROCPRIM_400000_NS6detail17trampoline_kernelINS0_14default_configENS1_35adjacent_difference_config_selectorILb0EjEEZNS1_24adjacent_difference_implIS3_Lb0ELb0EPKjPjN6thrust23THRUST_200600_302600_NS4plusIjEEEE10hipError_tPvRmT2_T3_mT4_P12ihipStream_tbEUlT_E_NS1_11comp_targetILNS1_3genE10ELNS1_11target_archE1201ELNS1_3gpuE5ELNS1_3repE0EEENS1_30default_config_static_selectorELNS0_4arch9wavefront6targetE1EEEvT1_: ; @_ZN7rocprim17ROCPRIM_400000_NS6detail17trampoline_kernelINS0_14default_configENS1_35adjacent_difference_config_selectorILb0EjEEZNS1_24adjacent_difference_implIS3_Lb0ELb0EPKjPjN6thrust23THRUST_200600_302600_NS4plusIjEEEE10hipError_tPvRmT2_T3_mT4_P12ihipStream_tbEUlT_E_NS1_11comp_targetILNS1_3genE10ELNS1_11target_archE1201ELNS1_3gpuE5ELNS1_3repE0EEENS1_30default_config_static_selectorELNS0_4arch9wavefront6targetE1EEEvT1_
; %bb.0:
	.section	.rodata,"a",@progbits
	.p2align	6, 0x0
	.amdhsa_kernel _ZN7rocprim17ROCPRIM_400000_NS6detail17trampoline_kernelINS0_14default_configENS1_35adjacent_difference_config_selectorILb0EjEEZNS1_24adjacent_difference_implIS3_Lb0ELb0EPKjPjN6thrust23THRUST_200600_302600_NS4plusIjEEEE10hipError_tPvRmT2_T3_mT4_P12ihipStream_tbEUlT_E_NS1_11comp_targetILNS1_3genE10ELNS1_11target_archE1201ELNS1_3gpuE5ELNS1_3repE0EEENS1_30default_config_static_selectorELNS0_4arch9wavefront6targetE1EEEvT1_
		.amdhsa_group_segment_fixed_size 0
		.amdhsa_private_segment_fixed_size 0
		.amdhsa_kernarg_size 56
		.amdhsa_user_sgpr_count 6
		.amdhsa_user_sgpr_private_segment_buffer 1
		.amdhsa_user_sgpr_dispatch_ptr 0
		.amdhsa_user_sgpr_queue_ptr 0
		.amdhsa_user_sgpr_kernarg_segment_ptr 1
		.amdhsa_user_sgpr_dispatch_id 0
		.amdhsa_user_sgpr_flat_scratch_init 0
		.amdhsa_user_sgpr_kernarg_preload_length 0
		.amdhsa_user_sgpr_kernarg_preload_offset 0
		.amdhsa_user_sgpr_private_segment_size 0
		.amdhsa_uses_dynamic_stack 0
		.amdhsa_system_sgpr_private_segment_wavefront_offset 0
		.amdhsa_system_sgpr_workgroup_id_x 1
		.amdhsa_system_sgpr_workgroup_id_y 0
		.amdhsa_system_sgpr_workgroup_id_z 0
		.amdhsa_system_sgpr_workgroup_info 0
		.amdhsa_system_vgpr_workitem_id 0
		.amdhsa_next_free_vgpr 1
		.amdhsa_next_free_sgpr 0
		.amdhsa_accum_offset 4
		.amdhsa_reserve_vcc 0
		.amdhsa_reserve_flat_scratch 0
		.amdhsa_float_round_mode_32 0
		.amdhsa_float_round_mode_16_64 0
		.amdhsa_float_denorm_mode_32 3
		.amdhsa_float_denorm_mode_16_64 3
		.amdhsa_dx10_clamp 1
		.amdhsa_ieee_mode 1
		.amdhsa_fp16_overflow 0
		.amdhsa_tg_split 0
		.amdhsa_exception_fp_ieee_invalid_op 0
		.amdhsa_exception_fp_denorm_src 0
		.amdhsa_exception_fp_ieee_div_zero 0
		.amdhsa_exception_fp_ieee_overflow 0
		.amdhsa_exception_fp_ieee_underflow 0
		.amdhsa_exception_fp_ieee_inexact 0
		.amdhsa_exception_int_div_zero 0
	.end_amdhsa_kernel
	.section	.text._ZN7rocprim17ROCPRIM_400000_NS6detail17trampoline_kernelINS0_14default_configENS1_35adjacent_difference_config_selectorILb0EjEEZNS1_24adjacent_difference_implIS3_Lb0ELb0EPKjPjN6thrust23THRUST_200600_302600_NS4plusIjEEEE10hipError_tPvRmT2_T3_mT4_P12ihipStream_tbEUlT_E_NS1_11comp_targetILNS1_3genE10ELNS1_11target_archE1201ELNS1_3gpuE5ELNS1_3repE0EEENS1_30default_config_static_selectorELNS0_4arch9wavefront6targetE1EEEvT1_,"axG",@progbits,_ZN7rocprim17ROCPRIM_400000_NS6detail17trampoline_kernelINS0_14default_configENS1_35adjacent_difference_config_selectorILb0EjEEZNS1_24adjacent_difference_implIS3_Lb0ELb0EPKjPjN6thrust23THRUST_200600_302600_NS4plusIjEEEE10hipError_tPvRmT2_T3_mT4_P12ihipStream_tbEUlT_E_NS1_11comp_targetILNS1_3genE10ELNS1_11target_archE1201ELNS1_3gpuE5ELNS1_3repE0EEENS1_30default_config_static_selectorELNS0_4arch9wavefront6targetE1EEEvT1_,comdat
.Lfunc_end592:
	.size	_ZN7rocprim17ROCPRIM_400000_NS6detail17trampoline_kernelINS0_14default_configENS1_35adjacent_difference_config_selectorILb0EjEEZNS1_24adjacent_difference_implIS3_Lb0ELb0EPKjPjN6thrust23THRUST_200600_302600_NS4plusIjEEEE10hipError_tPvRmT2_T3_mT4_P12ihipStream_tbEUlT_E_NS1_11comp_targetILNS1_3genE10ELNS1_11target_archE1201ELNS1_3gpuE5ELNS1_3repE0EEENS1_30default_config_static_selectorELNS0_4arch9wavefront6targetE1EEEvT1_, .Lfunc_end592-_ZN7rocprim17ROCPRIM_400000_NS6detail17trampoline_kernelINS0_14default_configENS1_35adjacent_difference_config_selectorILb0EjEEZNS1_24adjacent_difference_implIS3_Lb0ELb0EPKjPjN6thrust23THRUST_200600_302600_NS4plusIjEEEE10hipError_tPvRmT2_T3_mT4_P12ihipStream_tbEUlT_E_NS1_11comp_targetILNS1_3genE10ELNS1_11target_archE1201ELNS1_3gpuE5ELNS1_3repE0EEENS1_30default_config_static_selectorELNS0_4arch9wavefront6targetE1EEEvT1_
                                        ; -- End function
	.section	.AMDGPU.csdata,"",@progbits
; Kernel info:
; codeLenInByte = 0
; NumSgprs: 4
; NumVgprs: 0
; NumAgprs: 0
; TotalNumVgprs: 0
; ScratchSize: 0
; MemoryBound: 0
; FloatMode: 240
; IeeeMode: 1
; LDSByteSize: 0 bytes/workgroup (compile time only)
; SGPRBlocks: 0
; VGPRBlocks: 0
; NumSGPRsForWavesPerEU: 4
; NumVGPRsForWavesPerEU: 1
; AccumOffset: 4
; Occupancy: 8
; WaveLimiterHint : 0
; COMPUTE_PGM_RSRC2:SCRATCH_EN: 0
; COMPUTE_PGM_RSRC2:USER_SGPR: 6
; COMPUTE_PGM_RSRC2:TRAP_HANDLER: 0
; COMPUTE_PGM_RSRC2:TGID_X_EN: 1
; COMPUTE_PGM_RSRC2:TGID_Y_EN: 0
; COMPUTE_PGM_RSRC2:TGID_Z_EN: 0
; COMPUTE_PGM_RSRC2:TIDIG_COMP_CNT: 0
; COMPUTE_PGM_RSRC3_GFX90A:ACCUM_OFFSET: 0
; COMPUTE_PGM_RSRC3_GFX90A:TG_SPLIT: 0
	.section	.text._ZN7rocprim17ROCPRIM_400000_NS6detail17trampoline_kernelINS0_14default_configENS1_35adjacent_difference_config_selectorILb0EjEEZNS1_24adjacent_difference_implIS3_Lb0ELb0EPKjPjN6thrust23THRUST_200600_302600_NS4plusIjEEEE10hipError_tPvRmT2_T3_mT4_P12ihipStream_tbEUlT_E_NS1_11comp_targetILNS1_3genE5ELNS1_11target_archE942ELNS1_3gpuE9ELNS1_3repE0EEENS1_30default_config_static_selectorELNS0_4arch9wavefront6targetE1EEEvT1_,"axG",@progbits,_ZN7rocprim17ROCPRIM_400000_NS6detail17trampoline_kernelINS0_14default_configENS1_35adjacent_difference_config_selectorILb0EjEEZNS1_24adjacent_difference_implIS3_Lb0ELb0EPKjPjN6thrust23THRUST_200600_302600_NS4plusIjEEEE10hipError_tPvRmT2_T3_mT4_P12ihipStream_tbEUlT_E_NS1_11comp_targetILNS1_3genE5ELNS1_11target_archE942ELNS1_3gpuE9ELNS1_3repE0EEENS1_30default_config_static_selectorELNS0_4arch9wavefront6targetE1EEEvT1_,comdat
	.protected	_ZN7rocprim17ROCPRIM_400000_NS6detail17trampoline_kernelINS0_14default_configENS1_35adjacent_difference_config_selectorILb0EjEEZNS1_24adjacent_difference_implIS3_Lb0ELb0EPKjPjN6thrust23THRUST_200600_302600_NS4plusIjEEEE10hipError_tPvRmT2_T3_mT4_P12ihipStream_tbEUlT_E_NS1_11comp_targetILNS1_3genE5ELNS1_11target_archE942ELNS1_3gpuE9ELNS1_3repE0EEENS1_30default_config_static_selectorELNS0_4arch9wavefront6targetE1EEEvT1_ ; -- Begin function _ZN7rocprim17ROCPRIM_400000_NS6detail17trampoline_kernelINS0_14default_configENS1_35adjacent_difference_config_selectorILb0EjEEZNS1_24adjacent_difference_implIS3_Lb0ELb0EPKjPjN6thrust23THRUST_200600_302600_NS4plusIjEEEE10hipError_tPvRmT2_T3_mT4_P12ihipStream_tbEUlT_E_NS1_11comp_targetILNS1_3genE5ELNS1_11target_archE942ELNS1_3gpuE9ELNS1_3repE0EEENS1_30default_config_static_selectorELNS0_4arch9wavefront6targetE1EEEvT1_
	.globl	_ZN7rocprim17ROCPRIM_400000_NS6detail17trampoline_kernelINS0_14default_configENS1_35adjacent_difference_config_selectorILb0EjEEZNS1_24adjacent_difference_implIS3_Lb0ELb0EPKjPjN6thrust23THRUST_200600_302600_NS4plusIjEEEE10hipError_tPvRmT2_T3_mT4_P12ihipStream_tbEUlT_E_NS1_11comp_targetILNS1_3genE5ELNS1_11target_archE942ELNS1_3gpuE9ELNS1_3repE0EEENS1_30default_config_static_selectorELNS0_4arch9wavefront6targetE1EEEvT1_
	.p2align	8
	.type	_ZN7rocprim17ROCPRIM_400000_NS6detail17trampoline_kernelINS0_14default_configENS1_35adjacent_difference_config_selectorILb0EjEEZNS1_24adjacent_difference_implIS3_Lb0ELb0EPKjPjN6thrust23THRUST_200600_302600_NS4plusIjEEEE10hipError_tPvRmT2_T3_mT4_P12ihipStream_tbEUlT_E_NS1_11comp_targetILNS1_3genE5ELNS1_11target_archE942ELNS1_3gpuE9ELNS1_3repE0EEENS1_30default_config_static_selectorELNS0_4arch9wavefront6targetE1EEEvT1_,@function
_ZN7rocprim17ROCPRIM_400000_NS6detail17trampoline_kernelINS0_14default_configENS1_35adjacent_difference_config_selectorILb0EjEEZNS1_24adjacent_difference_implIS3_Lb0ELb0EPKjPjN6thrust23THRUST_200600_302600_NS4plusIjEEEE10hipError_tPvRmT2_T3_mT4_P12ihipStream_tbEUlT_E_NS1_11comp_targetILNS1_3genE5ELNS1_11target_archE942ELNS1_3gpuE9ELNS1_3repE0EEENS1_30default_config_static_selectorELNS0_4arch9wavefront6targetE1EEEvT1_: ; @_ZN7rocprim17ROCPRIM_400000_NS6detail17trampoline_kernelINS0_14default_configENS1_35adjacent_difference_config_selectorILb0EjEEZNS1_24adjacent_difference_implIS3_Lb0ELb0EPKjPjN6thrust23THRUST_200600_302600_NS4plusIjEEEE10hipError_tPvRmT2_T3_mT4_P12ihipStream_tbEUlT_E_NS1_11comp_targetILNS1_3genE5ELNS1_11target_archE942ELNS1_3gpuE9ELNS1_3repE0EEENS1_30default_config_static_selectorELNS0_4arch9wavefront6targetE1EEEvT1_
; %bb.0:
	.section	.rodata,"a",@progbits
	.p2align	6, 0x0
	.amdhsa_kernel _ZN7rocprim17ROCPRIM_400000_NS6detail17trampoline_kernelINS0_14default_configENS1_35adjacent_difference_config_selectorILb0EjEEZNS1_24adjacent_difference_implIS3_Lb0ELb0EPKjPjN6thrust23THRUST_200600_302600_NS4plusIjEEEE10hipError_tPvRmT2_T3_mT4_P12ihipStream_tbEUlT_E_NS1_11comp_targetILNS1_3genE5ELNS1_11target_archE942ELNS1_3gpuE9ELNS1_3repE0EEENS1_30default_config_static_selectorELNS0_4arch9wavefront6targetE1EEEvT1_
		.amdhsa_group_segment_fixed_size 0
		.amdhsa_private_segment_fixed_size 0
		.amdhsa_kernarg_size 56
		.amdhsa_user_sgpr_count 6
		.amdhsa_user_sgpr_private_segment_buffer 1
		.amdhsa_user_sgpr_dispatch_ptr 0
		.amdhsa_user_sgpr_queue_ptr 0
		.amdhsa_user_sgpr_kernarg_segment_ptr 1
		.amdhsa_user_sgpr_dispatch_id 0
		.amdhsa_user_sgpr_flat_scratch_init 0
		.amdhsa_user_sgpr_kernarg_preload_length 0
		.amdhsa_user_sgpr_kernarg_preload_offset 0
		.amdhsa_user_sgpr_private_segment_size 0
		.amdhsa_uses_dynamic_stack 0
		.amdhsa_system_sgpr_private_segment_wavefront_offset 0
		.amdhsa_system_sgpr_workgroup_id_x 1
		.amdhsa_system_sgpr_workgroup_id_y 0
		.amdhsa_system_sgpr_workgroup_id_z 0
		.amdhsa_system_sgpr_workgroup_info 0
		.amdhsa_system_vgpr_workitem_id 0
		.amdhsa_next_free_vgpr 1
		.amdhsa_next_free_sgpr 0
		.amdhsa_accum_offset 4
		.amdhsa_reserve_vcc 0
		.amdhsa_reserve_flat_scratch 0
		.amdhsa_float_round_mode_32 0
		.amdhsa_float_round_mode_16_64 0
		.amdhsa_float_denorm_mode_32 3
		.amdhsa_float_denorm_mode_16_64 3
		.amdhsa_dx10_clamp 1
		.amdhsa_ieee_mode 1
		.amdhsa_fp16_overflow 0
		.amdhsa_tg_split 0
		.amdhsa_exception_fp_ieee_invalid_op 0
		.amdhsa_exception_fp_denorm_src 0
		.amdhsa_exception_fp_ieee_div_zero 0
		.amdhsa_exception_fp_ieee_overflow 0
		.amdhsa_exception_fp_ieee_underflow 0
		.amdhsa_exception_fp_ieee_inexact 0
		.amdhsa_exception_int_div_zero 0
	.end_amdhsa_kernel
	.section	.text._ZN7rocprim17ROCPRIM_400000_NS6detail17trampoline_kernelINS0_14default_configENS1_35adjacent_difference_config_selectorILb0EjEEZNS1_24adjacent_difference_implIS3_Lb0ELb0EPKjPjN6thrust23THRUST_200600_302600_NS4plusIjEEEE10hipError_tPvRmT2_T3_mT4_P12ihipStream_tbEUlT_E_NS1_11comp_targetILNS1_3genE5ELNS1_11target_archE942ELNS1_3gpuE9ELNS1_3repE0EEENS1_30default_config_static_selectorELNS0_4arch9wavefront6targetE1EEEvT1_,"axG",@progbits,_ZN7rocprim17ROCPRIM_400000_NS6detail17trampoline_kernelINS0_14default_configENS1_35adjacent_difference_config_selectorILb0EjEEZNS1_24adjacent_difference_implIS3_Lb0ELb0EPKjPjN6thrust23THRUST_200600_302600_NS4plusIjEEEE10hipError_tPvRmT2_T3_mT4_P12ihipStream_tbEUlT_E_NS1_11comp_targetILNS1_3genE5ELNS1_11target_archE942ELNS1_3gpuE9ELNS1_3repE0EEENS1_30default_config_static_selectorELNS0_4arch9wavefront6targetE1EEEvT1_,comdat
.Lfunc_end593:
	.size	_ZN7rocprim17ROCPRIM_400000_NS6detail17trampoline_kernelINS0_14default_configENS1_35adjacent_difference_config_selectorILb0EjEEZNS1_24adjacent_difference_implIS3_Lb0ELb0EPKjPjN6thrust23THRUST_200600_302600_NS4plusIjEEEE10hipError_tPvRmT2_T3_mT4_P12ihipStream_tbEUlT_E_NS1_11comp_targetILNS1_3genE5ELNS1_11target_archE942ELNS1_3gpuE9ELNS1_3repE0EEENS1_30default_config_static_selectorELNS0_4arch9wavefront6targetE1EEEvT1_, .Lfunc_end593-_ZN7rocprim17ROCPRIM_400000_NS6detail17trampoline_kernelINS0_14default_configENS1_35adjacent_difference_config_selectorILb0EjEEZNS1_24adjacent_difference_implIS3_Lb0ELb0EPKjPjN6thrust23THRUST_200600_302600_NS4plusIjEEEE10hipError_tPvRmT2_T3_mT4_P12ihipStream_tbEUlT_E_NS1_11comp_targetILNS1_3genE5ELNS1_11target_archE942ELNS1_3gpuE9ELNS1_3repE0EEENS1_30default_config_static_selectorELNS0_4arch9wavefront6targetE1EEEvT1_
                                        ; -- End function
	.section	.AMDGPU.csdata,"",@progbits
; Kernel info:
; codeLenInByte = 0
; NumSgprs: 4
; NumVgprs: 0
; NumAgprs: 0
; TotalNumVgprs: 0
; ScratchSize: 0
; MemoryBound: 0
; FloatMode: 240
; IeeeMode: 1
; LDSByteSize: 0 bytes/workgroup (compile time only)
; SGPRBlocks: 0
; VGPRBlocks: 0
; NumSGPRsForWavesPerEU: 4
; NumVGPRsForWavesPerEU: 1
; AccumOffset: 4
; Occupancy: 8
; WaveLimiterHint : 0
; COMPUTE_PGM_RSRC2:SCRATCH_EN: 0
; COMPUTE_PGM_RSRC2:USER_SGPR: 6
; COMPUTE_PGM_RSRC2:TRAP_HANDLER: 0
; COMPUTE_PGM_RSRC2:TGID_X_EN: 1
; COMPUTE_PGM_RSRC2:TGID_Y_EN: 0
; COMPUTE_PGM_RSRC2:TGID_Z_EN: 0
; COMPUTE_PGM_RSRC2:TIDIG_COMP_CNT: 0
; COMPUTE_PGM_RSRC3_GFX90A:ACCUM_OFFSET: 0
; COMPUTE_PGM_RSRC3_GFX90A:TG_SPLIT: 0
	.section	.text._ZN7rocprim17ROCPRIM_400000_NS6detail17trampoline_kernelINS0_14default_configENS1_35adjacent_difference_config_selectorILb0EjEEZNS1_24adjacent_difference_implIS3_Lb0ELb0EPKjPjN6thrust23THRUST_200600_302600_NS4plusIjEEEE10hipError_tPvRmT2_T3_mT4_P12ihipStream_tbEUlT_E_NS1_11comp_targetILNS1_3genE4ELNS1_11target_archE910ELNS1_3gpuE8ELNS1_3repE0EEENS1_30default_config_static_selectorELNS0_4arch9wavefront6targetE1EEEvT1_,"axG",@progbits,_ZN7rocprim17ROCPRIM_400000_NS6detail17trampoline_kernelINS0_14default_configENS1_35adjacent_difference_config_selectorILb0EjEEZNS1_24adjacent_difference_implIS3_Lb0ELb0EPKjPjN6thrust23THRUST_200600_302600_NS4plusIjEEEE10hipError_tPvRmT2_T3_mT4_P12ihipStream_tbEUlT_E_NS1_11comp_targetILNS1_3genE4ELNS1_11target_archE910ELNS1_3gpuE8ELNS1_3repE0EEENS1_30default_config_static_selectorELNS0_4arch9wavefront6targetE1EEEvT1_,comdat
	.protected	_ZN7rocprim17ROCPRIM_400000_NS6detail17trampoline_kernelINS0_14default_configENS1_35adjacent_difference_config_selectorILb0EjEEZNS1_24adjacent_difference_implIS3_Lb0ELb0EPKjPjN6thrust23THRUST_200600_302600_NS4plusIjEEEE10hipError_tPvRmT2_T3_mT4_P12ihipStream_tbEUlT_E_NS1_11comp_targetILNS1_3genE4ELNS1_11target_archE910ELNS1_3gpuE8ELNS1_3repE0EEENS1_30default_config_static_selectorELNS0_4arch9wavefront6targetE1EEEvT1_ ; -- Begin function _ZN7rocprim17ROCPRIM_400000_NS6detail17trampoline_kernelINS0_14default_configENS1_35adjacent_difference_config_selectorILb0EjEEZNS1_24adjacent_difference_implIS3_Lb0ELb0EPKjPjN6thrust23THRUST_200600_302600_NS4plusIjEEEE10hipError_tPvRmT2_T3_mT4_P12ihipStream_tbEUlT_E_NS1_11comp_targetILNS1_3genE4ELNS1_11target_archE910ELNS1_3gpuE8ELNS1_3repE0EEENS1_30default_config_static_selectorELNS0_4arch9wavefront6targetE1EEEvT1_
	.globl	_ZN7rocprim17ROCPRIM_400000_NS6detail17trampoline_kernelINS0_14default_configENS1_35adjacent_difference_config_selectorILb0EjEEZNS1_24adjacent_difference_implIS3_Lb0ELb0EPKjPjN6thrust23THRUST_200600_302600_NS4plusIjEEEE10hipError_tPvRmT2_T3_mT4_P12ihipStream_tbEUlT_E_NS1_11comp_targetILNS1_3genE4ELNS1_11target_archE910ELNS1_3gpuE8ELNS1_3repE0EEENS1_30default_config_static_selectorELNS0_4arch9wavefront6targetE1EEEvT1_
	.p2align	8
	.type	_ZN7rocprim17ROCPRIM_400000_NS6detail17trampoline_kernelINS0_14default_configENS1_35adjacent_difference_config_selectorILb0EjEEZNS1_24adjacent_difference_implIS3_Lb0ELb0EPKjPjN6thrust23THRUST_200600_302600_NS4plusIjEEEE10hipError_tPvRmT2_T3_mT4_P12ihipStream_tbEUlT_E_NS1_11comp_targetILNS1_3genE4ELNS1_11target_archE910ELNS1_3gpuE8ELNS1_3repE0EEENS1_30default_config_static_selectorELNS0_4arch9wavefront6targetE1EEEvT1_,@function
_ZN7rocprim17ROCPRIM_400000_NS6detail17trampoline_kernelINS0_14default_configENS1_35adjacent_difference_config_selectorILb0EjEEZNS1_24adjacent_difference_implIS3_Lb0ELb0EPKjPjN6thrust23THRUST_200600_302600_NS4plusIjEEEE10hipError_tPvRmT2_T3_mT4_P12ihipStream_tbEUlT_E_NS1_11comp_targetILNS1_3genE4ELNS1_11target_archE910ELNS1_3gpuE8ELNS1_3repE0EEENS1_30default_config_static_selectorELNS0_4arch9wavefront6targetE1EEEvT1_: ; @_ZN7rocprim17ROCPRIM_400000_NS6detail17trampoline_kernelINS0_14default_configENS1_35adjacent_difference_config_selectorILb0EjEEZNS1_24adjacent_difference_implIS3_Lb0ELb0EPKjPjN6thrust23THRUST_200600_302600_NS4plusIjEEEE10hipError_tPvRmT2_T3_mT4_P12ihipStream_tbEUlT_E_NS1_11comp_targetILNS1_3genE4ELNS1_11target_archE910ELNS1_3gpuE8ELNS1_3repE0EEENS1_30default_config_static_selectorELNS0_4arch9wavefront6targetE1EEEvT1_
; %bb.0:
	s_load_dwordx8 s[8:15], s[4:5], 0x0
	s_mov_b32 s2, 0x59999780
	s_movk_i32 s7, 0xa00
	s_load_dwordx2 s[0:1], s[4:5], 0x30
	s_mul_i32 s4, s6, 0xa00
	s_waitcnt lgkmcnt(0)
	s_lshl_b64 s[10:11], s[10:11], 2
	s_add_u32 s20, s8, s10
	s_addc_u32 s21, s9, s11
	s_add_u32 s2, 0xe0, s2
	s_addc_u32 s8, 0, 0
	v_add_co_u32_e64 v1, s[2:3], s2, 2.0
	s_cmp_lg_u64 s[2:3], 0
	s_addc_u32 s2, s8, 0x199999
	v_readfirstlane_b32 s8, v1
	s_mul_hi_u32 s9, s8, 0xfffff600
	s_mul_i32 s3, s2, 0xfffff600
	s_sub_i32 s9, s9, s8
	s_add_i32 s9, s9, s3
	s_mul_i32 s17, s8, 0xfffff600
	s_mul_hi_u32 s3, s8, s9
	s_mul_i32 s16, s8, s9
	s_mul_hi_u32 s8, s8, s17
	s_add_u32 s8, s8, s16
	s_addc_u32 s3, 0, s3
	s_mul_hi_u32 s18, s2, s17
	s_mul_i32 s17, s2, s17
	s_add_u32 s8, s8, s17
	s_mul_hi_u32 s16, s2, s9
	s_addc_u32 s3, s3, s18
	s_addc_u32 s8, s16, 0
	s_mul_i32 s9, s2, s9
	s_add_u32 s3, s3, s9
	s_addc_u32 s8, 0, s8
	v_add_co_u32_e32 v1, vcc, s3, v1
	s_cmp_lg_u64 vcc, 0
	s_addc_u32 s2, s2, s8
	v_readfirstlane_b32 s9, v1
	s_mul_i32 s8, s14, s2
	s_mul_hi_u32 s16, s14, s9
	s_mul_hi_u32 s3, s14, s2
	s_add_u32 s8, s16, s8
	s_addc_u32 s3, 0, s3
	s_mul_hi_u32 s17, s15, s9
	s_mul_i32 s9, s15, s9
	s_add_u32 s8, s8, s9
	s_mul_hi_u32 s16, s15, s2
	s_addc_u32 s3, s3, s17
	s_addc_u32 s8, s16, 0
	s_mul_i32 s2, s15, s2
	s_add_u32 s2, s3, s2
	s_addc_u32 s3, 0, s8
	s_add_u32 s8, s2, 1
	s_addc_u32 s9, s3, 0
	s_add_u32 s16, s2, 2
	s_mul_i32 s18, s3, 0xa00
	s_mul_hi_u32 s19, s2, 0xa00
	s_addc_u32 s17, s3, 0
	s_add_i32 s19, s19, s18
	s_mul_i32 s18, s2, 0xa00
	v_mov_b32_e32 v1, s18
	v_sub_co_u32_e32 v1, vcc, s14, v1
	s_cmp_lg_u64 vcc, 0
	s_subb_u32 s18, s15, s19
	v_subrev_co_u32_e32 v2, vcc, s7, v1
	s_cmp_lg_u64 vcc, 0
	s_subb_u32 s7, s18, 0
	v_readfirstlane_b32 s19, v2
	s_cmpk_gt_u32 s19, 0x9ff
	s_cselect_b32 s19, -1, 0
	s_cmp_eq_u32 s7, 0
	s_cselect_b32 s7, s19, -1
	s_cmp_lg_u32 s7, 0
	s_cselect_b32 s7, s16, s8
	s_cselect_b32 s8, s17, s9
	v_readfirstlane_b32 s9, v1
	s_cmpk_gt_u32 s9, 0x9ff
	s_cselect_b32 s9, -1, 0
	s_cmp_eq_u32 s18, 0
	s_cselect_b32 s9, s9, -1
	s_cmp_lg_u32 s9, 0
	s_cselect_b32 s8, s8, s3
	s_cselect_b32 s7, s7, s2
	s_mul_i32 s2, s8, 0xa00
	s_mul_hi_u32 s3, s7, 0xa00
	s_add_i32 s3, s3, s2
	s_mul_i32 s2, s7, 0xa00
	s_sub_u32 s2, s14, s2
	s_subb_u32 s3, s15, s3
	s_cmp_lg_u64 s[2:3], 0
	s_cselect_b64 s[2:3], -1, 0
	v_cndmask_b32_e64 v1, 0, 1, s[2:3]
	v_readfirstlane_b32 s2, v1
	s_add_u32 s2, s7, s2
	s_addc_u32 s3, s8, 0
	s_add_u32 s6, s0, s6
	s_addc_u32 s7, s1, 0
	s_add_u32 s8, s2, -1
	s_addc_u32 s9, s3, -1
	v_pk_mov_b32 v[2:3], s[8:9], s[8:9] op_sel:[0,1]
	v_cmp_ge_u64_e64 s[0:1], s[6:7], v[2:3]
	s_mov_b32 s5, 0
	s_mov_b64 s[16:17], -1
	s_and_b64 vcc, exec, s[0:1]
	s_mul_i32 s15, s8, 0xfffff600
	s_cbranch_vccz .LBB594_12
; %bb.1:
	s_add_i32 s22, s15, s14
	s_lshl_b64 s[16:17], s[4:5], 2
	s_add_u32 s16, s20, s16
	s_addc_u32 s17, s21, s17
	v_cmp_gt_u32_e32 vcc, s22, v0
                                        ; implicit-def: $vgpr2_vgpr3_vgpr4_vgpr5_vgpr6
	s_and_saveexec_b64 s[18:19], vcc
	s_cbranch_execz .LBB594_3
; %bb.2:
	v_lshlrev_b32_e32 v1, 2, v0
	global_load_dword v2, v1, s[16:17]
.LBB594_3:
	s_or_b64 exec, exec, s[18:19]
	v_or_b32_e32 v1, 0x200, v0
	v_cmp_gt_u32_e32 vcc, s22, v1
	s_and_saveexec_b64 s[18:19], vcc
	s_cbranch_execz .LBB594_5
; %bb.4:
	v_lshlrev_b32_e32 v1, 2, v0
	global_load_dword v3, v1, s[16:17] offset:2048
.LBB594_5:
	s_or_b64 exec, exec, s[18:19]
	v_or_b32_e32 v1, 0x400, v0
	v_cmp_gt_u32_e32 vcc, s22, v1
	s_and_saveexec_b64 s[18:19], vcc
	s_cbranch_execz .LBB594_7
; %bb.6:
	v_lshlrev_b32_e32 v1, 2, v1
	global_load_dword v4, v1, s[16:17]
.LBB594_7:
	s_or_b64 exec, exec, s[18:19]
	v_or_b32_e32 v1, 0x600, v0
	v_cmp_gt_u32_e32 vcc, s22, v1
	s_and_saveexec_b64 s[18:19], vcc
	s_cbranch_execz .LBB594_9
; %bb.8:
	v_lshlrev_b32_e32 v1, 2, v1
	global_load_dword v5, v1, s[16:17]
.LBB594_9:
	s_or_b64 exec, exec, s[18:19]
	v_or_b32_e32 v1, 0x800, v0
	v_cmp_gt_u32_e32 vcc, s22, v1
	s_and_saveexec_b64 s[18:19], vcc
	s_cbranch_execz .LBB594_11
; %bb.10:
	v_lshlrev_b32_e32 v1, 2, v1
	global_load_dword v6, v1, s[16:17]
.LBB594_11:
	s_or_b64 exec, exec, s[18:19]
	v_lshlrev_b32_e32 v1, 2, v0
	s_mov_b64 s[16:17], 0
	s_waitcnt vmcnt(0)
	ds_write2st64_b32 v1, v2, v3 offset1:8
	ds_write2st64_b32 v1, v4, v5 offset0:16 offset1:24
	ds_write_b32 v1, v6 offset:8192
	s_waitcnt lgkmcnt(0)
	s_barrier
.LBB594_12:
	s_and_b64 vcc, exec, s[16:17]
	v_lshlrev_b32_e32 v1, 2, v0
	s_cbranch_vccz .LBB594_14
; %bb.13:
	s_lshl_b64 s[16:17], s[4:5], 2
	s_add_u32 s16, s20, s16
	s_addc_u32 s17, s21, s17
	v_mov_b32_e32 v2, s17
	v_add_co_u32_e32 v4, vcc, s16, v1
	v_addc_co_u32_e32 v5, vcc, 0, v2, vcc
	v_add_co_u32_e32 v2, vcc, 0x1000, v4
	v_addc_co_u32_e32 v3, vcc, 0, v5, vcc
	global_load_dword v6, v1, s[16:17]
	global_load_dword v7, v1, s[16:17] offset:2048
	global_load_dword v8, v[2:3], off
	global_load_dword v9, v[2:3], off offset:2048
	v_add_co_u32_e32 v2, vcc, 0x2000, v4
	v_addc_co_u32_e32 v3, vcc, 0, v5, vcc
	global_load_dword v2, v[2:3], off
	s_waitcnt vmcnt(3)
	ds_write2st64_b32 v1, v6, v7 offset1:8
	s_waitcnt vmcnt(1)
	ds_write2st64_b32 v1, v8, v9 offset0:16 offset1:24
	s_waitcnt vmcnt(0)
	ds_write_b32 v1, v2 offset:8192
	s_waitcnt lgkmcnt(0)
	s_barrier
.LBB594_14:
	v_mul_u32_u24_e32 v2, 5, v0
	v_lshlrev_b32_e32 v3, 2, v2
	ds_read_b32 v2, v3
	ds_read2_b32 v[20:21], v3 offset0:1 offset1:2
	ds_read2_b32 v[22:23], v3 offset0:3 offset1:4
	s_cmp_eq_u64 s[6:7], 0
	s_waitcnt lgkmcnt(0)
	s_barrier
	s_cbranch_scc1 .LBB594_19
; %bb.15:
	s_lshl_b64 s[16:17], s[4:5], 2
	s_add_u32 s5, s20, s16
	s_addc_u32 s17, s21, s17
	s_add_u32 s16, s5, -4
	s_addc_u32 s17, s17, -1
	s_load_dword s5, s[16:17], 0x0
	s_cmp_eq_u64 s[6:7], s[8:9]
	s_cbranch_scc1 .LBB594_20
; %bb.16:
	v_cmp_ne_u32_e32 vcc, 0, v0
	s_waitcnt lgkmcnt(0)
	v_mov_b32_e32 v3, s5
	ds_write_b32 v1, v23
	s_waitcnt lgkmcnt(0)
	s_barrier
	s_and_saveexec_b64 s[8:9], vcc
	s_cbranch_execz .LBB594_18
; %bb.17:
	v_add_u32_e32 v3, -4, v1
	ds_read_b32 v3, v3
.LBB594_18:
	s_or_b64 exec, exec, s[8:9]
	v_add_u32_e32 v8, v23, v22
	v_add_u32_e32 v9, v22, v21
	v_add_u32_e32 v12, v21, v20
	v_add_u32_e32 v15, v20, v2
	s_cbranch_execz .LBB594_21
	s_branch .LBB594_24
.LBB594_19:
                                        ; implicit-def: $vgpr14_vgpr15_vgpr16_vgpr17_vgpr18
                                        ; implicit-def: $vgpr10_vgpr11_vgpr12_vgpr13_vgpr14
	s_mov_b64 s[6:7], 0
                                        ; implicit-def: $vgpr6_vgpr7_vgpr8_vgpr9_vgpr10
                                        ; implicit-def: $vgpr3
                                        ; implicit-def: $vgpr4_vgpr5_vgpr6_vgpr7_vgpr8
	s_branch .LBB594_25
.LBB594_20:
                                        ; implicit-def: $vgpr14_vgpr15_vgpr16_vgpr17_vgpr18
                                        ; implicit-def: $vgpr10_vgpr11_vgpr12_vgpr13_vgpr14
                                        ; implicit-def: $vgpr3
                                        ; implicit-def: $vgpr6_vgpr7_vgpr8_vgpr9_vgpr10
                                        ; implicit-def: $vgpr4_vgpr5_vgpr6_vgpr7_vgpr8
.LBB594_21:
	s_waitcnt lgkmcnt(0)
	v_mul_u32_u24_e32 v3, 5, v0
	v_cmp_ne_u32_e32 vcc, 0, v0
	v_mov_b32_e32 v4, s5
	ds_write_b32 v1, v23
	s_waitcnt lgkmcnt(0)
	s_barrier
	s_and_saveexec_b64 s[8:9], vcc
	s_cbranch_execz .LBB594_23
; %bb.22:
	v_add_u32_e32 v4, -4, v1
	ds_read_b32 v4, v4
.LBB594_23:
	s_or_b64 exec, exec, s[8:9]
	s_mul_i32 s5, s6, 0xfffff600
	s_add_i32 s5, s5, s14
	v_add_u32_e32 v5, 4, v3
	v_add_u32_e32 v6, v23, v22
	v_cmp_gt_u32_e32 vcc, s5, v5
	v_add_u32_e32 v5, 3, v3
	v_cndmask_b32_e32 v8, v23, v6, vcc
	v_add_u32_e32 v6, v22, v21
	v_cmp_gt_u32_e32 vcc, s5, v5
	v_add_u32_e32 v5, 2, v3
	v_cndmask_b32_e32 v9, v22, v6, vcc
	;; [unrolled: 4-line block ×3, first 2 shown]
	v_add_u32_e32 v6, v20, v2
	v_cmp_gt_u32_e32 vcc, s5, v5
	v_cndmask_b32_e32 v15, v20, v6, vcc
	v_cmp_gt_u32_e32 vcc, s5, v3
	s_waitcnt lgkmcnt(0)
	v_cndmask_b32_e32 v3, 0, v4, vcc
.LBB594_24:
	s_mov_b64 s[6:7], -1
	s_cbranch_execnz .LBB594_33
.LBB594_25:
	s_cmp_lg_u64 s[2:3], 1
	v_add_u32_e32 v9, v22, v21
	v_add_u32_e32 v8, v23, v22
	;; [unrolled: 1-line block ×4, first 2 shown]
	v_cmp_ne_u32_e32 vcc, 0, v0
	s_cbranch_scc0 .LBB594_29
; %bb.26:
	ds_write_b32 v1, v23
	s_waitcnt lgkmcnt(0)
	s_barrier
	s_waitcnt lgkmcnt(0)
                                        ; implicit-def: $vgpr3
	s_and_saveexec_b64 s[2:3], vcc
	s_cbranch_execz .LBB594_28
; %bb.27:
	v_add_u32_e32 v3, -4, v1
	ds_read_b32 v3, v3
	s_or_b64 s[6:7], s[6:7], exec
.LBB594_28:
	s_or_b64 exec, exec, s[2:3]
	s_branch .LBB594_33
.LBB594_29:
                                        ; implicit-def: $vgpr3
	s_cbranch_execz .LBB594_33
; %bb.30:
	v_mad_u32_u24 v4, v0, 5, 4
	v_cmp_gt_u32_e32 vcc, s14, v4
	v_mad_u32_u24 v4, v0, 5, 3
	v_cndmask_b32_e32 v8, v23, v8, vcc
	v_cmp_gt_u32_e32 vcc, s14, v4
	v_mad_u32_u24 v4, v0, 5, 2
	v_cndmask_b32_e32 v9, v22, v9, vcc
	v_cmp_gt_u32_e32 vcc, s14, v4
	v_mad_u32_u24 v4, v0, 5, 1
	s_waitcnt lgkmcnt(0)
	v_mul_u32_u24_e32 v3, 5, v0
	v_cndmask_b32_e32 v12, v21, v12, vcc
	v_cmp_gt_u32_e32 vcc, s14, v4
	v_cndmask_b32_e32 v15, v20, v15, vcc
	v_cmp_ne_u32_e32 vcc, 0, v0
	v_cmp_gt_u32_e64 s[2:3], s14, v3
	s_and_b64 s[8:9], vcc, s[2:3]
	ds_write_b32 v1, v23
	s_waitcnt lgkmcnt(0)
	s_barrier
	s_waitcnt lgkmcnt(0)
                                        ; implicit-def: $vgpr3
	s_and_saveexec_b64 s[2:3], s[8:9]
	s_cbranch_execz .LBB594_32
; %bb.31:
	v_add_u32_e32 v3, -4, v1
	ds_read_b32 v3, v3
	s_or_b64 s[6:7], s[6:7], exec
.LBB594_32:
	s_or_b64 exec, exec, s[2:3]
.LBB594_33:
	s_and_saveexec_b64 s[2:3], s[6:7]
	s_cbranch_execz .LBB594_35
; %bb.34:
	s_waitcnt lgkmcnt(0)
	v_add_u32_e32 v2, v3, v2
.LBB594_35:
	s_or_b64 exec, exec, s[2:3]
	s_add_u32 s6, s12, s10
	s_addc_u32 s7, s13, s11
	s_and_b64 vcc, exec, s[0:1]
	s_waitcnt lgkmcnt(0)
	v_mul_u32_u24_e32 v3, 20, v0
	v_lshlrev_b32_e32 v13, 4, v0
	s_barrier
	s_cbranch_vccz .LBB594_45
; %bb.36:
	s_mov_b32 s5, 0
	s_add_i32 s15, s15, s14
	s_lshl_b64 s[0:1], s[4:5], 2
	v_sub_u32_e32 v4, v3, v13
	s_add_u32 s0, s6, s0
	ds_write2_b32 v3, v2, v15 offset1:1
	ds_write2_b32 v3, v12, v9 offset0:2 offset1:3
	ds_write_b32 v3, v8 offset:16
	s_waitcnt lgkmcnt(0)
	s_barrier
	ds_read2st64_b32 v[10:11], v4 offset0:8 offset1:16
	ds_read2st64_b32 v[4:5], v4 offset0:24 offset1:32
	s_addc_u32 s1, s7, s1
	v_mov_b32_e32 v7, s1
	v_add_co_u32_e32 v6, vcc, s0, v1
	v_addc_co_u32_e32 v7, vcc, 0, v7, vcc
	v_cmp_gt_u32_e32 vcc, s15, v0
	s_and_saveexec_b64 s[0:1], vcc
	s_cbranch_execz .LBB594_38
; %bb.37:
	v_sub_u32_e32 v14, 0, v13
	v_add_u32_e32 v14, v3, v14
	ds_read_b32 v14, v14
	s_waitcnt lgkmcnt(0)
	global_store_dword v[6:7], v14, off
.LBB594_38:
	s_or_b64 exec, exec, s[0:1]
	v_or_b32_e32 v14, 0x200, v0
	v_cmp_gt_u32_e32 vcc, s15, v14
	s_and_saveexec_b64 s[0:1], vcc
	s_cbranch_execz .LBB594_40
; %bb.39:
	s_waitcnt lgkmcnt(1)
	global_store_dword v[6:7], v10, off offset:2048
.LBB594_40:
	s_or_b64 exec, exec, s[0:1]
	s_waitcnt lgkmcnt(1)
	v_or_b32_e32 v10, 0x400, v0
	v_cmp_gt_u32_e32 vcc, s15, v10
	s_and_saveexec_b64 s[0:1], vcc
	s_cbranch_execz .LBB594_42
; %bb.41:
	v_add_co_u32_e32 v16, vcc, 0x1000, v6
	v_addc_co_u32_e32 v17, vcc, 0, v7, vcc
	global_store_dword v[16:17], v11, off
.LBB594_42:
	s_or_b64 exec, exec, s[0:1]
	v_or_b32_e32 v10, 0x600, v0
	v_cmp_gt_u32_e32 vcc, s15, v10
	s_and_saveexec_b64 s[0:1], vcc
	s_cbranch_execz .LBB594_44
; %bb.43:
	v_add_co_u32_e32 v10, vcc, 0x1000, v6
	v_addc_co_u32_e32 v11, vcc, 0, v7, vcc
	s_waitcnt lgkmcnt(0)
	global_store_dword v[10:11], v4, off offset:2048
.LBB594_44:
	s_or_b64 exec, exec, s[0:1]
	v_or_b32_e32 v0, 0x800, v0
	v_cmp_gt_u32_e64 s[0:1], s15, v0
	s_branch .LBB594_47
.LBB594_45:
	s_mov_b64 s[0:1], 0
                                        ; implicit-def: $vgpr5
                                        ; implicit-def: $vgpr6_vgpr7
	s_cbranch_execz .LBB594_47
; %bb.46:
	s_mov_b32 s5, 0
	s_lshl_b64 s[2:3], s[4:5], 2
	s_add_u32 s2, s6, s2
	s_addc_u32 s3, s7, s3
	v_sub_u32_e32 v0, v3, v13
	ds_write2_b32 v3, v2, v15 offset1:1
	ds_write2_b32 v3, v12, v9 offset0:2 offset1:3
	ds_write_b32 v3, v8 offset:16
	s_waitcnt lgkmcnt(0)
	s_barrier
	ds_read2st64_b32 v[2:3], v0 offset1:8
	ds_read2st64_b32 v[8:9], v0 offset0:16 offset1:24
	ds_read_b32 v5, v0 offset:8192
	v_mov_b32_e32 v0, s3
	v_add_co_u32_e32 v6, vcc, s2, v1
	v_addc_co_u32_e32 v7, vcc, 0, v0, vcc
	v_add_co_u32_e32 v0, vcc, 0x1000, v6
	s_waitcnt lgkmcnt(2)
	global_store_dword v1, v2, s[2:3]
	global_store_dword v1, v3, s[2:3] offset:2048
	v_addc_co_u32_e32 v1, vcc, 0, v7, vcc
	s_or_b64 s[0:1], s[0:1], exec
	s_waitcnt lgkmcnt(1)
	global_store_dword v[0:1], v8, off
	global_store_dword v[0:1], v9, off offset:2048
.LBB594_47:
	s_and_saveexec_b64 s[2:3], s[0:1]
	s_cbranch_execnz .LBB594_49
; %bb.48:
	s_endpgm
.LBB594_49:
	v_add_co_u32_e32 v0, vcc, 0x2000, v6
	v_addc_co_u32_e32 v1, vcc, 0, v7, vcc
	s_waitcnt lgkmcnt(0)
	global_store_dword v[0:1], v5, off
	s_endpgm
	.section	.rodata,"a",@progbits
	.p2align	6, 0x0
	.amdhsa_kernel _ZN7rocprim17ROCPRIM_400000_NS6detail17trampoline_kernelINS0_14default_configENS1_35adjacent_difference_config_selectorILb0EjEEZNS1_24adjacent_difference_implIS3_Lb0ELb0EPKjPjN6thrust23THRUST_200600_302600_NS4plusIjEEEE10hipError_tPvRmT2_T3_mT4_P12ihipStream_tbEUlT_E_NS1_11comp_targetILNS1_3genE4ELNS1_11target_archE910ELNS1_3gpuE8ELNS1_3repE0EEENS1_30default_config_static_selectorELNS0_4arch9wavefront6targetE1EEEvT1_
		.amdhsa_group_segment_fixed_size 10240
		.amdhsa_private_segment_fixed_size 0
		.amdhsa_kernarg_size 56
		.amdhsa_user_sgpr_count 6
		.amdhsa_user_sgpr_private_segment_buffer 1
		.amdhsa_user_sgpr_dispatch_ptr 0
		.amdhsa_user_sgpr_queue_ptr 0
		.amdhsa_user_sgpr_kernarg_segment_ptr 1
		.amdhsa_user_sgpr_dispatch_id 0
		.amdhsa_user_sgpr_flat_scratch_init 0
		.amdhsa_user_sgpr_kernarg_preload_length 0
		.amdhsa_user_sgpr_kernarg_preload_offset 0
		.amdhsa_user_sgpr_private_segment_size 0
		.amdhsa_uses_dynamic_stack 0
		.amdhsa_system_sgpr_private_segment_wavefront_offset 0
		.amdhsa_system_sgpr_workgroup_id_x 1
		.amdhsa_system_sgpr_workgroup_id_y 0
		.amdhsa_system_sgpr_workgroup_id_z 0
		.amdhsa_system_sgpr_workgroup_info 0
		.amdhsa_system_vgpr_workitem_id 0
		.amdhsa_next_free_vgpr 24
		.amdhsa_next_free_sgpr 23
		.amdhsa_accum_offset 24
		.amdhsa_reserve_vcc 1
		.amdhsa_reserve_flat_scratch 0
		.amdhsa_float_round_mode_32 0
		.amdhsa_float_round_mode_16_64 0
		.amdhsa_float_denorm_mode_32 3
		.amdhsa_float_denorm_mode_16_64 3
		.amdhsa_dx10_clamp 1
		.amdhsa_ieee_mode 1
		.amdhsa_fp16_overflow 0
		.amdhsa_tg_split 0
		.amdhsa_exception_fp_ieee_invalid_op 0
		.amdhsa_exception_fp_denorm_src 0
		.amdhsa_exception_fp_ieee_div_zero 0
		.amdhsa_exception_fp_ieee_overflow 0
		.amdhsa_exception_fp_ieee_underflow 0
		.amdhsa_exception_fp_ieee_inexact 0
		.amdhsa_exception_int_div_zero 0
	.end_amdhsa_kernel
	.section	.text._ZN7rocprim17ROCPRIM_400000_NS6detail17trampoline_kernelINS0_14default_configENS1_35adjacent_difference_config_selectorILb0EjEEZNS1_24adjacent_difference_implIS3_Lb0ELb0EPKjPjN6thrust23THRUST_200600_302600_NS4plusIjEEEE10hipError_tPvRmT2_T3_mT4_P12ihipStream_tbEUlT_E_NS1_11comp_targetILNS1_3genE4ELNS1_11target_archE910ELNS1_3gpuE8ELNS1_3repE0EEENS1_30default_config_static_selectorELNS0_4arch9wavefront6targetE1EEEvT1_,"axG",@progbits,_ZN7rocprim17ROCPRIM_400000_NS6detail17trampoline_kernelINS0_14default_configENS1_35adjacent_difference_config_selectorILb0EjEEZNS1_24adjacent_difference_implIS3_Lb0ELb0EPKjPjN6thrust23THRUST_200600_302600_NS4plusIjEEEE10hipError_tPvRmT2_T3_mT4_P12ihipStream_tbEUlT_E_NS1_11comp_targetILNS1_3genE4ELNS1_11target_archE910ELNS1_3gpuE8ELNS1_3repE0EEENS1_30default_config_static_selectorELNS0_4arch9wavefront6targetE1EEEvT1_,comdat
.Lfunc_end594:
	.size	_ZN7rocprim17ROCPRIM_400000_NS6detail17trampoline_kernelINS0_14default_configENS1_35adjacent_difference_config_selectorILb0EjEEZNS1_24adjacent_difference_implIS3_Lb0ELb0EPKjPjN6thrust23THRUST_200600_302600_NS4plusIjEEEE10hipError_tPvRmT2_T3_mT4_P12ihipStream_tbEUlT_E_NS1_11comp_targetILNS1_3genE4ELNS1_11target_archE910ELNS1_3gpuE8ELNS1_3repE0EEENS1_30default_config_static_selectorELNS0_4arch9wavefront6targetE1EEEvT1_, .Lfunc_end594-_ZN7rocprim17ROCPRIM_400000_NS6detail17trampoline_kernelINS0_14default_configENS1_35adjacent_difference_config_selectorILb0EjEEZNS1_24adjacent_difference_implIS3_Lb0ELb0EPKjPjN6thrust23THRUST_200600_302600_NS4plusIjEEEE10hipError_tPvRmT2_T3_mT4_P12ihipStream_tbEUlT_E_NS1_11comp_targetILNS1_3genE4ELNS1_11target_archE910ELNS1_3gpuE8ELNS1_3repE0EEENS1_30default_config_static_selectorELNS0_4arch9wavefront6targetE1EEEvT1_
                                        ; -- End function
	.section	.AMDGPU.csdata,"",@progbits
; Kernel info:
; codeLenInByte = 1944
; NumSgprs: 27
; NumVgprs: 24
; NumAgprs: 0
; TotalNumVgprs: 24
; ScratchSize: 0
; MemoryBound: 0
; FloatMode: 240
; IeeeMode: 1
; LDSByteSize: 10240 bytes/workgroup (compile time only)
; SGPRBlocks: 3
; VGPRBlocks: 2
; NumSGPRsForWavesPerEU: 27
; NumVGPRsForWavesPerEU: 24
; AccumOffset: 24
; Occupancy: 8
; WaveLimiterHint : 1
; COMPUTE_PGM_RSRC2:SCRATCH_EN: 0
; COMPUTE_PGM_RSRC2:USER_SGPR: 6
; COMPUTE_PGM_RSRC2:TRAP_HANDLER: 0
; COMPUTE_PGM_RSRC2:TGID_X_EN: 1
; COMPUTE_PGM_RSRC2:TGID_Y_EN: 0
; COMPUTE_PGM_RSRC2:TGID_Z_EN: 0
; COMPUTE_PGM_RSRC2:TIDIG_COMP_CNT: 0
; COMPUTE_PGM_RSRC3_GFX90A:ACCUM_OFFSET: 5
; COMPUTE_PGM_RSRC3_GFX90A:TG_SPLIT: 0
	.section	.text._ZN7rocprim17ROCPRIM_400000_NS6detail17trampoline_kernelINS0_14default_configENS1_35adjacent_difference_config_selectorILb0EjEEZNS1_24adjacent_difference_implIS3_Lb0ELb0EPKjPjN6thrust23THRUST_200600_302600_NS4plusIjEEEE10hipError_tPvRmT2_T3_mT4_P12ihipStream_tbEUlT_E_NS1_11comp_targetILNS1_3genE3ELNS1_11target_archE908ELNS1_3gpuE7ELNS1_3repE0EEENS1_30default_config_static_selectorELNS0_4arch9wavefront6targetE1EEEvT1_,"axG",@progbits,_ZN7rocprim17ROCPRIM_400000_NS6detail17trampoline_kernelINS0_14default_configENS1_35adjacent_difference_config_selectorILb0EjEEZNS1_24adjacent_difference_implIS3_Lb0ELb0EPKjPjN6thrust23THRUST_200600_302600_NS4plusIjEEEE10hipError_tPvRmT2_T3_mT4_P12ihipStream_tbEUlT_E_NS1_11comp_targetILNS1_3genE3ELNS1_11target_archE908ELNS1_3gpuE7ELNS1_3repE0EEENS1_30default_config_static_selectorELNS0_4arch9wavefront6targetE1EEEvT1_,comdat
	.protected	_ZN7rocprim17ROCPRIM_400000_NS6detail17trampoline_kernelINS0_14default_configENS1_35adjacent_difference_config_selectorILb0EjEEZNS1_24adjacent_difference_implIS3_Lb0ELb0EPKjPjN6thrust23THRUST_200600_302600_NS4plusIjEEEE10hipError_tPvRmT2_T3_mT4_P12ihipStream_tbEUlT_E_NS1_11comp_targetILNS1_3genE3ELNS1_11target_archE908ELNS1_3gpuE7ELNS1_3repE0EEENS1_30default_config_static_selectorELNS0_4arch9wavefront6targetE1EEEvT1_ ; -- Begin function _ZN7rocprim17ROCPRIM_400000_NS6detail17trampoline_kernelINS0_14default_configENS1_35adjacent_difference_config_selectorILb0EjEEZNS1_24adjacent_difference_implIS3_Lb0ELb0EPKjPjN6thrust23THRUST_200600_302600_NS4plusIjEEEE10hipError_tPvRmT2_T3_mT4_P12ihipStream_tbEUlT_E_NS1_11comp_targetILNS1_3genE3ELNS1_11target_archE908ELNS1_3gpuE7ELNS1_3repE0EEENS1_30default_config_static_selectorELNS0_4arch9wavefront6targetE1EEEvT1_
	.globl	_ZN7rocprim17ROCPRIM_400000_NS6detail17trampoline_kernelINS0_14default_configENS1_35adjacent_difference_config_selectorILb0EjEEZNS1_24adjacent_difference_implIS3_Lb0ELb0EPKjPjN6thrust23THRUST_200600_302600_NS4plusIjEEEE10hipError_tPvRmT2_T3_mT4_P12ihipStream_tbEUlT_E_NS1_11comp_targetILNS1_3genE3ELNS1_11target_archE908ELNS1_3gpuE7ELNS1_3repE0EEENS1_30default_config_static_selectorELNS0_4arch9wavefront6targetE1EEEvT1_
	.p2align	8
	.type	_ZN7rocprim17ROCPRIM_400000_NS6detail17trampoline_kernelINS0_14default_configENS1_35adjacent_difference_config_selectorILb0EjEEZNS1_24adjacent_difference_implIS3_Lb0ELb0EPKjPjN6thrust23THRUST_200600_302600_NS4plusIjEEEE10hipError_tPvRmT2_T3_mT4_P12ihipStream_tbEUlT_E_NS1_11comp_targetILNS1_3genE3ELNS1_11target_archE908ELNS1_3gpuE7ELNS1_3repE0EEENS1_30default_config_static_selectorELNS0_4arch9wavefront6targetE1EEEvT1_,@function
_ZN7rocprim17ROCPRIM_400000_NS6detail17trampoline_kernelINS0_14default_configENS1_35adjacent_difference_config_selectorILb0EjEEZNS1_24adjacent_difference_implIS3_Lb0ELb0EPKjPjN6thrust23THRUST_200600_302600_NS4plusIjEEEE10hipError_tPvRmT2_T3_mT4_P12ihipStream_tbEUlT_E_NS1_11comp_targetILNS1_3genE3ELNS1_11target_archE908ELNS1_3gpuE7ELNS1_3repE0EEENS1_30default_config_static_selectorELNS0_4arch9wavefront6targetE1EEEvT1_: ; @_ZN7rocprim17ROCPRIM_400000_NS6detail17trampoline_kernelINS0_14default_configENS1_35adjacent_difference_config_selectorILb0EjEEZNS1_24adjacent_difference_implIS3_Lb0ELb0EPKjPjN6thrust23THRUST_200600_302600_NS4plusIjEEEE10hipError_tPvRmT2_T3_mT4_P12ihipStream_tbEUlT_E_NS1_11comp_targetILNS1_3genE3ELNS1_11target_archE908ELNS1_3gpuE7ELNS1_3repE0EEENS1_30default_config_static_selectorELNS0_4arch9wavefront6targetE1EEEvT1_
; %bb.0:
	.section	.rodata,"a",@progbits
	.p2align	6, 0x0
	.amdhsa_kernel _ZN7rocprim17ROCPRIM_400000_NS6detail17trampoline_kernelINS0_14default_configENS1_35adjacent_difference_config_selectorILb0EjEEZNS1_24adjacent_difference_implIS3_Lb0ELb0EPKjPjN6thrust23THRUST_200600_302600_NS4plusIjEEEE10hipError_tPvRmT2_T3_mT4_P12ihipStream_tbEUlT_E_NS1_11comp_targetILNS1_3genE3ELNS1_11target_archE908ELNS1_3gpuE7ELNS1_3repE0EEENS1_30default_config_static_selectorELNS0_4arch9wavefront6targetE1EEEvT1_
		.amdhsa_group_segment_fixed_size 0
		.amdhsa_private_segment_fixed_size 0
		.amdhsa_kernarg_size 56
		.amdhsa_user_sgpr_count 6
		.amdhsa_user_sgpr_private_segment_buffer 1
		.amdhsa_user_sgpr_dispatch_ptr 0
		.amdhsa_user_sgpr_queue_ptr 0
		.amdhsa_user_sgpr_kernarg_segment_ptr 1
		.amdhsa_user_sgpr_dispatch_id 0
		.amdhsa_user_sgpr_flat_scratch_init 0
		.amdhsa_user_sgpr_kernarg_preload_length 0
		.amdhsa_user_sgpr_kernarg_preload_offset 0
		.amdhsa_user_sgpr_private_segment_size 0
		.amdhsa_uses_dynamic_stack 0
		.amdhsa_system_sgpr_private_segment_wavefront_offset 0
		.amdhsa_system_sgpr_workgroup_id_x 1
		.amdhsa_system_sgpr_workgroup_id_y 0
		.amdhsa_system_sgpr_workgroup_id_z 0
		.amdhsa_system_sgpr_workgroup_info 0
		.amdhsa_system_vgpr_workitem_id 0
		.amdhsa_next_free_vgpr 1
		.amdhsa_next_free_sgpr 0
		.amdhsa_accum_offset 4
		.amdhsa_reserve_vcc 0
		.amdhsa_reserve_flat_scratch 0
		.amdhsa_float_round_mode_32 0
		.amdhsa_float_round_mode_16_64 0
		.amdhsa_float_denorm_mode_32 3
		.amdhsa_float_denorm_mode_16_64 3
		.amdhsa_dx10_clamp 1
		.amdhsa_ieee_mode 1
		.amdhsa_fp16_overflow 0
		.amdhsa_tg_split 0
		.amdhsa_exception_fp_ieee_invalid_op 0
		.amdhsa_exception_fp_denorm_src 0
		.amdhsa_exception_fp_ieee_div_zero 0
		.amdhsa_exception_fp_ieee_overflow 0
		.amdhsa_exception_fp_ieee_underflow 0
		.amdhsa_exception_fp_ieee_inexact 0
		.amdhsa_exception_int_div_zero 0
	.end_amdhsa_kernel
	.section	.text._ZN7rocprim17ROCPRIM_400000_NS6detail17trampoline_kernelINS0_14default_configENS1_35adjacent_difference_config_selectorILb0EjEEZNS1_24adjacent_difference_implIS3_Lb0ELb0EPKjPjN6thrust23THRUST_200600_302600_NS4plusIjEEEE10hipError_tPvRmT2_T3_mT4_P12ihipStream_tbEUlT_E_NS1_11comp_targetILNS1_3genE3ELNS1_11target_archE908ELNS1_3gpuE7ELNS1_3repE0EEENS1_30default_config_static_selectorELNS0_4arch9wavefront6targetE1EEEvT1_,"axG",@progbits,_ZN7rocprim17ROCPRIM_400000_NS6detail17trampoline_kernelINS0_14default_configENS1_35adjacent_difference_config_selectorILb0EjEEZNS1_24adjacent_difference_implIS3_Lb0ELb0EPKjPjN6thrust23THRUST_200600_302600_NS4plusIjEEEE10hipError_tPvRmT2_T3_mT4_P12ihipStream_tbEUlT_E_NS1_11comp_targetILNS1_3genE3ELNS1_11target_archE908ELNS1_3gpuE7ELNS1_3repE0EEENS1_30default_config_static_selectorELNS0_4arch9wavefront6targetE1EEEvT1_,comdat
.Lfunc_end595:
	.size	_ZN7rocprim17ROCPRIM_400000_NS6detail17trampoline_kernelINS0_14default_configENS1_35adjacent_difference_config_selectorILb0EjEEZNS1_24adjacent_difference_implIS3_Lb0ELb0EPKjPjN6thrust23THRUST_200600_302600_NS4plusIjEEEE10hipError_tPvRmT2_T3_mT4_P12ihipStream_tbEUlT_E_NS1_11comp_targetILNS1_3genE3ELNS1_11target_archE908ELNS1_3gpuE7ELNS1_3repE0EEENS1_30default_config_static_selectorELNS0_4arch9wavefront6targetE1EEEvT1_, .Lfunc_end595-_ZN7rocprim17ROCPRIM_400000_NS6detail17trampoline_kernelINS0_14default_configENS1_35adjacent_difference_config_selectorILb0EjEEZNS1_24adjacent_difference_implIS3_Lb0ELb0EPKjPjN6thrust23THRUST_200600_302600_NS4plusIjEEEE10hipError_tPvRmT2_T3_mT4_P12ihipStream_tbEUlT_E_NS1_11comp_targetILNS1_3genE3ELNS1_11target_archE908ELNS1_3gpuE7ELNS1_3repE0EEENS1_30default_config_static_selectorELNS0_4arch9wavefront6targetE1EEEvT1_
                                        ; -- End function
	.section	.AMDGPU.csdata,"",@progbits
; Kernel info:
; codeLenInByte = 0
; NumSgprs: 4
; NumVgprs: 0
; NumAgprs: 0
; TotalNumVgprs: 0
; ScratchSize: 0
; MemoryBound: 0
; FloatMode: 240
; IeeeMode: 1
; LDSByteSize: 0 bytes/workgroup (compile time only)
; SGPRBlocks: 0
; VGPRBlocks: 0
; NumSGPRsForWavesPerEU: 4
; NumVGPRsForWavesPerEU: 1
; AccumOffset: 4
; Occupancy: 8
; WaveLimiterHint : 0
; COMPUTE_PGM_RSRC2:SCRATCH_EN: 0
; COMPUTE_PGM_RSRC2:USER_SGPR: 6
; COMPUTE_PGM_RSRC2:TRAP_HANDLER: 0
; COMPUTE_PGM_RSRC2:TGID_X_EN: 1
; COMPUTE_PGM_RSRC2:TGID_Y_EN: 0
; COMPUTE_PGM_RSRC2:TGID_Z_EN: 0
; COMPUTE_PGM_RSRC2:TIDIG_COMP_CNT: 0
; COMPUTE_PGM_RSRC3_GFX90A:ACCUM_OFFSET: 0
; COMPUTE_PGM_RSRC3_GFX90A:TG_SPLIT: 0
	.section	.text._ZN7rocprim17ROCPRIM_400000_NS6detail17trampoline_kernelINS0_14default_configENS1_35adjacent_difference_config_selectorILb0EjEEZNS1_24adjacent_difference_implIS3_Lb0ELb0EPKjPjN6thrust23THRUST_200600_302600_NS4plusIjEEEE10hipError_tPvRmT2_T3_mT4_P12ihipStream_tbEUlT_E_NS1_11comp_targetILNS1_3genE2ELNS1_11target_archE906ELNS1_3gpuE6ELNS1_3repE0EEENS1_30default_config_static_selectorELNS0_4arch9wavefront6targetE1EEEvT1_,"axG",@progbits,_ZN7rocprim17ROCPRIM_400000_NS6detail17trampoline_kernelINS0_14default_configENS1_35adjacent_difference_config_selectorILb0EjEEZNS1_24adjacent_difference_implIS3_Lb0ELb0EPKjPjN6thrust23THRUST_200600_302600_NS4plusIjEEEE10hipError_tPvRmT2_T3_mT4_P12ihipStream_tbEUlT_E_NS1_11comp_targetILNS1_3genE2ELNS1_11target_archE906ELNS1_3gpuE6ELNS1_3repE0EEENS1_30default_config_static_selectorELNS0_4arch9wavefront6targetE1EEEvT1_,comdat
	.protected	_ZN7rocprim17ROCPRIM_400000_NS6detail17trampoline_kernelINS0_14default_configENS1_35adjacent_difference_config_selectorILb0EjEEZNS1_24adjacent_difference_implIS3_Lb0ELb0EPKjPjN6thrust23THRUST_200600_302600_NS4plusIjEEEE10hipError_tPvRmT2_T3_mT4_P12ihipStream_tbEUlT_E_NS1_11comp_targetILNS1_3genE2ELNS1_11target_archE906ELNS1_3gpuE6ELNS1_3repE0EEENS1_30default_config_static_selectorELNS0_4arch9wavefront6targetE1EEEvT1_ ; -- Begin function _ZN7rocprim17ROCPRIM_400000_NS6detail17trampoline_kernelINS0_14default_configENS1_35adjacent_difference_config_selectorILb0EjEEZNS1_24adjacent_difference_implIS3_Lb0ELb0EPKjPjN6thrust23THRUST_200600_302600_NS4plusIjEEEE10hipError_tPvRmT2_T3_mT4_P12ihipStream_tbEUlT_E_NS1_11comp_targetILNS1_3genE2ELNS1_11target_archE906ELNS1_3gpuE6ELNS1_3repE0EEENS1_30default_config_static_selectorELNS0_4arch9wavefront6targetE1EEEvT1_
	.globl	_ZN7rocprim17ROCPRIM_400000_NS6detail17trampoline_kernelINS0_14default_configENS1_35adjacent_difference_config_selectorILb0EjEEZNS1_24adjacent_difference_implIS3_Lb0ELb0EPKjPjN6thrust23THRUST_200600_302600_NS4plusIjEEEE10hipError_tPvRmT2_T3_mT4_P12ihipStream_tbEUlT_E_NS1_11comp_targetILNS1_3genE2ELNS1_11target_archE906ELNS1_3gpuE6ELNS1_3repE0EEENS1_30default_config_static_selectorELNS0_4arch9wavefront6targetE1EEEvT1_
	.p2align	8
	.type	_ZN7rocprim17ROCPRIM_400000_NS6detail17trampoline_kernelINS0_14default_configENS1_35adjacent_difference_config_selectorILb0EjEEZNS1_24adjacent_difference_implIS3_Lb0ELb0EPKjPjN6thrust23THRUST_200600_302600_NS4plusIjEEEE10hipError_tPvRmT2_T3_mT4_P12ihipStream_tbEUlT_E_NS1_11comp_targetILNS1_3genE2ELNS1_11target_archE906ELNS1_3gpuE6ELNS1_3repE0EEENS1_30default_config_static_selectorELNS0_4arch9wavefront6targetE1EEEvT1_,@function
_ZN7rocprim17ROCPRIM_400000_NS6detail17trampoline_kernelINS0_14default_configENS1_35adjacent_difference_config_selectorILb0EjEEZNS1_24adjacent_difference_implIS3_Lb0ELb0EPKjPjN6thrust23THRUST_200600_302600_NS4plusIjEEEE10hipError_tPvRmT2_T3_mT4_P12ihipStream_tbEUlT_E_NS1_11comp_targetILNS1_3genE2ELNS1_11target_archE906ELNS1_3gpuE6ELNS1_3repE0EEENS1_30default_config_static_selectorELNS0_4arch9wavefront6targetE1EEEvT1_: ; @_ZN7rocprim17ROCPRIM_400000_NS6detail17trampoline_kernelINS0_14default_configENS1_35adjacent_difference_config_selectorILb0EjEEZNS1_24adjacent_difference_implIS3_Lb0ELb0EPKjPjN6thrust23THRUST_200600_302600_NS4plusIjEEEE10hipError_tPvRmT2_T3_mT4_P12ihipStream_tbEUlT_E_NS1_11comp_targetILNS1_3genE2ELNS1_11target_archE906ELNS1_3gpuE6ELNS1_3repE0EEENS1_30default_config_static_selectorELNS0_4arch9wavefront6targetE1EEEvT1_
; %bb.0:
	.section	.rodata,"a",@progbits
	.p2align	6, 0x0
	.amdhsa_kernel _ZN7rocprim17ROCPRIM_400000_NS6detail17trampoline_kernelINS0_14default_configENS1_35adjacent_difference_config_selectorILb0EjEEZNS1_24adjacent_difference_implIS3_Lb0ELb0EPKjPjN6thrust23THRUST_200600_302600_NS4plusIjEEEE10hipError_tPvRmT2_T3_mT4_P12ihipStream_tbEUlT_E_NS1_11comp_targetILNS1_3genE2ELNS1_11target_archE906ELNS1_3gpuE6ELNS1_3repE0EEENS1_30default_config_static_selectorELNS0_4arch9wavefront6targetE1EEEvT1_
		.amdhsa_group_segment_fixed_size 0
		.amdhsa_private_segment_fixed_size 0
		.amdhsa_kernarg_size 56
		.amdhsa_user_sgpr_count 6
		.amdhsa_user_sgpr_private_segment_buffer 1
		.amdhsa_user_sgpr_dispatch_ptr 0
		.amdhsa_user_sgpr_queue_ptr 0
		.amdhsa_user_sgpr_kernarg_segment_ptr 1
		.amdhsa_user_sgpr_dispatch_id 0
		.amdhsa_user_sgpr_flat_scratch_init 0
		.amdhsa_user_sgpr_kernarg_preload_length 0
		.amdhsa_user_sgpr_kernarg_preload_offset 0
		.amdhsa_user_sgpr_private_segment_size 0
		.amdhsa_uses_dynamic_stack 0
		.amdhsa_system_sgpr_private_segment_wavefront_offset 0
		.amdhsa_system_sgpr_workgroup_id_x 1
		.amdhsa_system_sgpr_workgroup_id_y 0
		.amdhsa_system_sgpr_workgroup_id_z 0
		.amdhsa_system_sgpr_workgroup_info 0
		.amdhsa_system_vgpr_workitem_id 0
		.amdhsa_next_free_vgpr 1
		.amdhsa_next_free_sgpr 0
		.amdhsa_accum_offset 4
		.amdhsa_reserve_vcc 0
		.amdhsa_reserve_flat_scratch 0
		.amdhsa_float_round_mode_32 0
		.amdhsa_float_round_mode_16_64 0
		.amdhsa_float_denorm_mode_32 3
		.amdhsa_float_denorm_mode_16_64 3
		.amdhsa_dx10_clamp 1
		.amdhsa_ieee_mode 1
		.amdhsa_fp16_overflow 0
		.amdhsa_tg_split 0
		.amdhsa_exception_fp_ieee_invalid_op 0
		.amdhsa_exception_fp_denorm_src 0
		.amdhsa_exception_fp_ieee_div_zero 0
		.amdhsa_exception_fp_ieee_overflow 0
		.amdhsa_exception_fp_ieee_underflow 0
		.amdhsa_exception_fp_ieee_inexact 0
		.amdhsa_exception_int_div_zero 0
	.end_amdhsa_kernel
	.section	.text._ZN7rocprim17ROCPRIM_400000_NS6detail17trampoline_kernelINS0_14default_configENS1_35adjacent_difference_config_selectorILb0EjEEZNS1_24adjacent_difference_implIS3_Lb0ELb0EPKjPjN6thrust23THRUST_200600_302600_NS4plusIjEEEE10hipError_tPvRmT2_T3_mT4_P12ihipStream_tbEUlT_E_NS1_11comp_targetILNS1_3genE2ELNS1_11target_archE906ELNS1_3gpuE6ELNS1_3repE0EEENS1_30default_config_static_selectorELNS0_4arch9wavefront6targetE1EEEvT1_,"axG",@progbits,_ZN7rocprim17ROCPRIM_400000_NS6detail17trampoline_kernelINS0_14default_configENS1_35adjacent_difference_config_selectorILb0EjEEZNS1_24adjacent_difference_implIS3_Lb0ELb0EPKjPjN6thrust23THRUST_200600_302600_NS4plusIjEEEE10hipError_tPvRmT2_T3_mT4_P12ihipStream_tbEUlT_E_NS1_11comp_targetILNS1_3genE2ELNS1_11target_archE906ELNS1_3gpuE6ELNS1_3repE0EEENS1_30default_config_static_selectorELNS0_4arch9wavefront6targetE1EEEvT1_,comdat
.Lfunc_end596:
	.size	_ZN7rocprim17ROCPRIM_400000_NS6detail17trampoline_kernelINS0_14default_configENS1_35adjacent_difference_config_selectorILb0EjEEZNS1_24adjacent_difference_implIS3_Lb0ELb0EPKjPjN6thrust23THRUST_200600_302600_NS4plusIjEEEE10hipError_tPvRmT2_T3_mT4_P12ihipStream_tbEUlT_E_NS1_11comp_targetILNS1_3genE2ELNS1_11target_archE906ELNS1_3gpuE6ELNS1_3repE0EEENS1_30default_config_static_selectorELNS0_4arch9wavefront6targetE1EEEvT1_, .Lfunc_end596-_ZN7rocprim17ROCPRIM_400000_NS6detail17trampoline_kernelINS0_14default_configENS1_35adjacent_difference_config_selectorILb0EjEEZNS1_24adjacent_difference_implIS3_Lb0ELb0EPKjPjN6thrust23THRUST_200600_302600_NS4plusIjEEEE10hipError_tPvRmT2_T3_mT4_P12ihipStream_tbEUlT_E_NS1_11comp_targetILNS1_3genE2ELNS1_11target_archE906ELNS1_3gpuE6ELNS1_3repE0EEENS1_30default_config_static_selectorELNS0_4arch9wavefront6targetE1EEEvT1_
                                        ; -- End function
	.section	.AMDGPU.csdata,"",@progbits
; Kernel info:
; codeLenInByte = 0
; NumSgprs: 4
; NumVgprs: 0
; NumAgprs: 0
; TotalNumVgprs: 0
; ScratchSize: 0
; MemoryBound: 0
; FloatMode: 240
; IeeeMode: 1
; LDSByteSize: 0 bytes/workgroup (compile time only)
; SGPRBlocks: 0
; VGPRBlocks: 0
; NumSGPRsForWavesPerEU: 4
; NumVGPRsForWavesPerEU: 1
; AccumOffset: 4
; Occupancy: 8
; WaveLimiterHint : 0
; COMPUTE_PGM_RSRC2:SCRATCH_EN: 0
; COMPUTE_PGM_RSRC2:USER_SGPR: 6
; COMPUTE_PGM_RSRC2:TRAP_HANDLER: 0
; COMPUTE_PGM_RSRC2:TGID_X_EN: 1
; COMPUTE_PGM_RSRC2:TGID_Y_EN: 0
; COMPUTE_PGM_RSRC2:TGID_Z_EN: 0
; COMPUTE_PGM_RSRC2:TIDIG_COMP_CNT: 0
; COMPUTE_PGM_RSRC3_GFX90A:ACCUM_OFFSET: 0
; COMPUTE_PGM_RSRC3_GFX90A:TG_SPLIT: 0
	.section	.text._ZN7rocprim17ROCPRIM_400000_NS6detail17trampoline_kernelINS0_14default_configENS1_35adjacent_difference_config_selectorILb0EjEEZNS1_24adjacent_difference_implIS3_Lb0ELb0EPKjPjN6thrust23THRUST_200600_302600_NS4plusIjEEEE10hipError_tPvRmT2_T3_mT4_P12ihipStream_tbEUlT_E_NS1_11comp_targetILNS1_3genE9ELNS1_11target_archE1100ELNS1_3gpuE3ELNS1_3repE0EEENS1_30default_config_static_selectorELNS0_4arch9wavefront6targetE1EEEvT1_,"axG",@progbits,_ZN7rocprim17ROCPRIM_400000_NS6detail17trampoline_kernelINS0_14default_configENS1_35adjacent_difference_config_selectorILb0EjEEZNS1_24adjacent_difference_implIS3_Lb0ELb0EPKjPjN6thrust23THRUST_200600_302600_NS4plusIjEEEE10hipError_tPvRmT2_T3_mT4_P12ihipStream_tbEUlT_E_NS1_11comp_targetILNS1_3genE9ELNS1_11target_archE1100ELNS1_3gpuE3ELNS1_3repE0EEENS1_30default_config_static_selectorELNS0_4arch9wavefront6targetE1EEEvT1_,comdat
	.protected	_ZN7rocprim17ROCPRIM_400000_NS6detail17trampoline_kernelINS0_14default_configENS1_35adjacent_difference_config_selectorILb0EjEEZNS1_24adjacent_difference_implIS3_Lb0ELb0EPKjPjN6thrust23THRUST_200600_302600_NS4plusIjEEEE10hipError_tPvRmT2_T3_mT4_P12ihipStream_tbEUlT_E_NS1_11comp_targetILNS1_3genE9ELNS1_11target_archE1100ELNS1_3gpuE3ELNS1_3repE0EEENS1_30default_config_static_selectorELNS0_4arch9wavefront6targetE1EEEvT1_ ; -- Begin function _ZN7rocprim17ROCPRIM_400000_NS6detail17trampoline_kernelINS0_14default_configENS1_35adjacent_difference_config_selectorILb0EjEEZNS1_24adjacent_difference_implIS3_Lb0ELb0EPKjPjN6thrust23THRUST_200600_302600_NS4plusIjEEEE10hipError_tPvRmT2_T3_mT4_P12ihipStream_tbEUlT_E_NS1_11comp_targetILNS1_3genE9ELNS1_11target_archE1100ELNS1_3gpuE3ELNS1_3repE0EEENS1_30default_config_static_selectorELNS0_4arch9wavefront6targetE1EEEvT1_
	.globl	_ZN7rocprim17ROCPRIM_400000_NS6detail17trampoline_kernelINS0_14default_configENS1_35adjacent_difference_config_selectorILb0EjEEZNS1_24adjacent_difference_implIS3_Lb0ELb0EPKjPjN6thrust23THRUST_200600_302600_NS4plusIjEEEE10hipError_tPvRmT2_T3_mT4_P12ihipStream_tbEUlT_E_NS1_11comp_targetILNS1_3genE9ELNS1_11target_archE1100ELNS1_3gpuE3ELNS1_3repE0EEENS1_30default_config_static_selectorELNS0_4arch9wavefront6targetE1EEEvT1_
	.p2align	8
	.type	_ZN7rocprim17ROCPRIM_400000_NS6detail17trampoline_kernelINS0_14default_configENS1_35adjacent_difference_config_selectorILb0EjEEZNS1_24adjacent_difference_implIS3_Lb0ELb0EPKjPjN6thrust23THRUST_200600_302600_NS4plusIjEEEE10hipError_tPvRmT2_T3_mT4_P12ihipStream_tbEUlT_E_NS1_11comp_targetILNS1_3genE9ELNS1_11target_archE1100ELNS1_3gpuE3ELNS1_3repE0EEENS1_30default_config_static_selectorELNS0_4arch9wavefront6targetE1EEEvT1_,@function
_ZN7rocprim17ROCPRIM_400000_NS6detail17trampoline_kernelINS0_14default_configENS1_35adjacent_difference_config_selectorILb0EjEEZNS1_24adjacent_difference_implIS3_Lb0ELb0EPKjPjN6thrust23THRUST_200600_302600_NS4plusIjEEEE10hipError_tPvRmT2_T3_mT4_P12ihipStream_tbEUlT_E_NS1_11comp_targetILNS1_3genE9ELNS1_11target_archE1100ELNS1_3gpuE3ELNS1_3repE0EEENS1_30default_config_static_selectorELNS0_4arch9wavefront6targetE1EEEvT1_: ; @_ZN7rocprim17ROCPRIM_400000_NS6detail17trampoline_kernelINS0_14default_configENS1_35adjacent_difference_config_selectorILb0EjEEZNS1_24adjacent_difference_implIS3_Lb0ELb0EPKjPjN6thrust23THRUST_200600_302600_NS4plusIjEEEE10hipError_tPvRmT2_T3_mT4_P12ihipStream_tbEUlT_E_NS1_11comp_targetILNS1_3genE9ELNS1_11target_archE1100ELNS1_3gpuE3ELNS1_3repE0EEENS1_30default_config_static_selectorELNS0_4arch9wavefront6targetE1EEEvT1_
; %bb.0:
	.section	.rodata,"a",@progbits
	.p2align	6, 0x0
	.amdhsa_kernel _ZN7rocprim17ROCPRIM_400000_NS6detail17trampoline_kernelINS0_14default_configENS1_35adjacent_difference_config_selectorILb0EjEEZNS1_24adjacent_difference_implIS3_Lb0ELb0EPKjPjN6thrust23THRUST_200600_302600_NS4plusIjEEEE10hipError_tPvRmT2_T3_mT4_P12ihipStream_tbEUlT_E_NS1_11comp_targetILNS1_3genE9ELNS1_11target_archE1100ELNS1_3gpuE3ELNS1_3repE0EEENS1_30default_config_static_selectorELNS0_4arch9wavefront6targetE1EEEvT1_
		.amdhsa_group_segment_fixed_size 0
		.amdhsa_private_segment_fixed_size 0
		.amdhsa_kernarg_size 56
		.amdhsa_user_sgpr_count 6
		.amdhsa_user_sgpr_private_segment_buffer 1
		.amdhsa_user_sgpr_dispatch_ptr 0
		.amdhsa_user_sgpr_queue_ptr 0
		.amdhsa_user_sgpr_kernarg_segment_ptr 1
		.amdhsa_user_sgpr_dispatch_id 0
		.amdhsa_user_sgpr_flat_scratch_init 0
		.amdhsa_user_sgpr_kernarg_preload_length 0
		.amdhsa_user_sgpr_kernarg_preload_offset 0
		.amdhsa_user_sgpr_private_segment_size 0
		.amdhsa_uses_dynamic_stack 0
		.amdhsa_system_sgpr_private_segment_wavefront_offset 0
		.amdhsa_system_sgpr_workgroup_id_x 1
		.amdhsa_system_sgpr_workgroup_id_y 0
		.amdhsa_system_sgpr_workgroup_id_z 0
		.amdhsa_system_sgpr_workgroup_info 0
		.amdhsa_system_vgpr_workitem_id 0
		.amdhsa_next_free_vgpr 1
		.amdhsa_next_free_sgpr 0
		.amdhsa_accum_offset 4
		.amdhsa_reserve_vcc 0
		.amdhsa_reserve_flat_scratch 0
		.amdhsa_float_round_mode_32 0
		.amdhsa_float_round_mode_16_64 0
		.amdhsa_float_denorm_mode_32 3
		.amdhsa_float_denorm_mode_16_64 3
		.amdhsa_dx10_clamp 1
		.amdhsa_ieee_mode 1
		.amdhsa_fp16_overflow 0
		.amdhsa_tg_split 0
		.amdhsa_exception_fp_ieee_invalid_op 0
		.amdhsa_exception_fp_denorm_src 0
		.amdhsa_exception_fp_ieee_div_zero 0
		.amdhsa_exception_fp_ieee_overflow 0
		.amdhsa_exception_fp_ieee_underflow 0
		.amdhsa_exception_fp_ieee_inexact 0
		.amdhsa_exception_int_div_zero 0
	.end_amdhsa_kernel
	.section	.text._ZN7rocprim17ROCPRIM_400000_NS6detail17trampoline_kernelINS0_14default_configENS1_35adjacent_difference_config_selectorILb0EjEEZNS1_24adjacent_difference_implIS3_Lb0ELb0EPKjPjN6thrust23THRUST_200600_302600_NS4plusIjEEEE10hipError_tPvRmT2_T3_mT4_P12ihipStream_tbEUlT_E_NS1_11comp_targetILNS1_3genE9ELNS1_11target_archE1100ELNS1_3gpuE3ELNS1_3repE0EEENS1_30default_config_static_selectorELNS0_4arch9wavefront6targetE1EEEvT1_,"axG",@progbits,_ZN7rocprim17ROCPRIM_400000_NS6detail17trampoline_kernelINS0_14default_configENS1_35adjacent_difference_config_selectorILb0EjEEZNS1_24adjacent_difference_implIS3_Lb0ELb0EPKjPjN6thrust23THRUST_200600_302600_NS4plusIjEEEE10hipError_tPvRmT2_T3_mT4_P12ihipStream_tbEUlT_E_NS1_11comp_targetILNS1_3genE9ELNS1_11target_archE1100ELNS1_3gpuE3ELNS1_3repE0EEENS1_30default_config_static_selectorELNS0_4arch9wavefront6targetE1EEEvT1_,comdat
.Lfunc_end597:
	.size	_ZN7rocprim17ROCPRIM_400000_NS6detail17trampoline_kernelINS0_14default_configENS1_35adjacent_difference_config_selectorILb0EjEEZNS1_24adjacent_difference_implIS3_Lb0ELb0EPKjPjN6thrust23THRUST_200600_302600_NS4plusIjEEEE10hipError_tPvRmT2_T3_mT4_P12ihipStream_tbEUlT_E_NS1_11comp_targetILNS1_3genE9ELNS1_11target_archE1100ELNS1_3gpuE3ELNS1_3repE0EEENS1_30default_config_static_selectorELNS0_4arch9wavefront6targetE1EEEvT1_, .Lfunc_end597-_ZN7rocprim17ROCPRIM_400000_NS6detail17trampoline_kernelINS0_14default_configENS1_35adjacent_difference_config_selectorILb0EjEEZNS1_24adjacent_difference_implIS3_Lb0ELb0EPKjPjN6thrust23THRUST_200600_302600_NS4plusIjEEEE10hipError_tPvRmT2_T3_mT4_P12ihipStream_tbEUlT_E_NS1_11comp_targetILNS1_3genE9ELNS1_11target_archE1100ELNS1_3gpuE3ELNS1_3repE0EEENS1_30default_config_static_selectorELNS0_4arch9wavefront6targetE1EEEvT1_
                                        ; -- End function
	.section	.AMDGPU.csdata,"",@progbits
; Kernel info:
; codeLenInByte = 0
; NumSgprs: 4
; NumVgprs: 0
; NumAgprs: 0
; TotalNumVgprs: 0
; ScratchSize: 0
; MemoryBound: 0
; FloatMode: 240
; IeeeMode: 1
; LDSByteSize: 0 bytes/workgroup (compile time only)
; SGPRBlocks: 0
; VGPRBlocks: 0
; NumSGPRsForWavesPerEU: 4
; NumVGPRsForWavesPerEU: 1
; AccumOffset: 4
; Occupancy: 8
; WaveLimiterHint : 0
; COMPUTE_PGM_RSRC2:SCRATCH_EN: 0
; COMPUTE_PGM_RSRC2:USER_SGPR: 6
; COMPUTE_PGM_RSRC2:TRAP_HANDLER: 0
; COMPUTE_PGM_RSRC2:TGID_X_EN: 1
; COMPUTE_PGM_RSRC2:TGID_Y_EN: 0
; COMPUTE_PGM_RSRC2:TGID_Z_EN: 0
; COMPUTE_PGM_RSRC2:TIDIG_COMP_CNT: 0
; COMPUTE_PGM_RSRC3_GFX90A:ACCUM_OFFSET: 0
; COMPUTE_PGM_RSRC3_GFX90A:TG_SPLIT: 0
	.section	.text._ZN7rocprim17ROCPRIM_400000_NS6detail17trampoline_kernelINS0_14default_configENS1_35adjacent_difference_config_selectorILb0EjEEZNS1_24adjacent_difference_implIS3_Lb0ELb0EPKjPjN6thrust23THRUST_200600_302600_NS4plusIjEEEE10hipError_tPvRmT2_T3_mT4_P12ihipStream_tbEUlT_E_NS1_11comp_targetILNS1_3genE8ELNS1_11target_archE1030ELNS1_3gpuE2ELNS1_3repE0EEENS1_30default_config_static_selectorELNS0_4arch9wavefront6targetE1EEEvT1_,"axG",@progbits,_ZN7rocprim17ROCPRIM_400000_NS6detail17trampoline_kernelINS0_14default_configENS1_35adjacent_difference_config_selectorILb0EjEEZNS1_24adjacent_difference_implIS3_Lb0ELb0EPKjPjN6thrust23THRUST_200600_302600_NS4plusIjEEEE10hipError_tPvRmT2_T3_mT4_P12ihipStream_tbEUlT_E_NS1_11comp_targetILNS1_3genE8ELNS1_11target_archE1030ELNS1_3gpuE2ELNS1_3repE0EEENS1_30default_config_static_selectorELNS0_4arch9wavefront6targetE1EEEvT1_,comdat
	.protected	_ZN7rocprim17ROCPRIM_400000_NS6detail17trampoline_kernelINS0_14default_configENS1_35adjacent_difference_config_selectorILb0EjEEZNS1_24adjacent_difference_implIS3_Lb0ELb0EPKjPjN6thrust23THRUST_200600_302600_NS4plusIjEEEE10hipError_tPvRmT2_T3_mT4_P12ihipStream_tbEUlT_E_NS1_11comp_targetILNS1_3genE8ELNS1_11target_archE1030ELNS1_3gpuE2ELNS1_3repE0EEENS1_30default_config_static_selectorELNS0_4arch9wavefront6targetE1EEEvT1_ ; -- Begin function _ZN7rocprim17ROCPRIM_400000_NS6detail17trampoline_kernelINS0_14default_configENS1_35adjacent_difference_config_selectorILb0EjEEZNS1_24adjacent_difference_implIS3_Lb0ELb0EPKjPjN6thrust23THRUST_200600_302600_NS4plusIjEEEE10hipError_tPvRmT2_T3_mT4_P12ihipStream_tbEUlT_E_NS1_11comp_targetILNS1_3genE8ELNS1_11target_archE1030ELNS1_3gpuE2ELNS1_3repE0EEENS1_30default_config_static_selectorELNS0_4arch9wavefront6targetE1EEEvT1_
	.globl	_ZN7rocprim17ROCPRIM_400000_NS6detail17trampoline_kernelINS0_14default_configENS1_35adjacent_difference_config_selectorILb0EjEEZNS1_24adjacent_difference_implIS3_Lb0ELb0EPKjPjN6thrust23THRUST_200600_302600_NS4plusIjEEEE10hipError_tPvRmT2_T3_mT4_P12ihipStream_tbEUlT_E_NS1_11comp_targetILNS1_3genE8ELNS1_11target_archE1030ELNS1_3gpuE2ELNS1_3repE0EEENS1_30default_config_static_selectorELNS0_4arch9wavefront6targetE1EEEvT1_
	.p2align	8
	.type	_ZN7rocprim17ROCPRIM_400000_NS6detail17trampoline_kernelINS0_14default_configENS1_35adjacent_difference_config_selectorILb0EjEEZNS1_24adjacent_difference_implIS3_Lb0ELb0EPKjPjN6thrust23THRUST_200600_302600_NS4plusIjEEEE10hipError_tPvRmT2_T3_mT4_P12ihipStream_tbEUlT_E_NS1_11comp_targetILNS1_3genE8ELNS1_11target_archE1030ELNS1_3gpuE2ELNS1_3repE0EEENS1_30default_config_static_selectorELNS0_4arch9wavefront6targetE1EEEvT1_,@function
_ZN7rocprim17ROCPRIM_400000_NS6detail17trampoline_kernelINS0_14default_configENS1_35adjacent_difference_config_selectorILb0EjEEZNS1_24adjacent_difference_implIS3_Lb0ELb0EPKjPjN6thrust23THRUST_200600_302600_NS4plusIjEEEE10hipError_tPvRmT2_T3_mT4_P12ihipStream_tbEUlT_E_NS1_11comp_targetILNS1_3genE8ELNS1_11target_archE1030ELNS1_3gpuE2ELNS1_3repE0EEENS1_30default_config_static_selectorELNS0_4arch9wavefront6targetE1EEEvT1_: ; @_ZN7rocprim17ROCPRIM_400000_NS6detail17trampoline_kernelINS0_14default_configENS1_35adjacent_difference_config_selectorILb0EjEEZNS1_24adjacent_difference_implIS3_Lb0ELb0EPKjPjN6thrust23THRUST_200600_302600_NS4plusIjEEEE10hipError_tPvRmT2_T3_mT4_P12ihipStream_tbEUlT_E_NS1_11comp_targetILNS1_3genE8ELNS1_11target_archE1030ELNS1_3gpuE2ELNS1_3repE0EEENS1_30default_config_static_selectorELNS0_4arch9wavefront6targetE1EEEvT1_
; %bb.0:
	.section	.rodata,"a",@progbits
	.p2align	6, 0x0
	.amdhsa_kernel _ZN7rocprim17ROCPRIM_400000_NS6detail17trampoline_kernelINS0_14default_configENS1_35adjacent_difference_config_selectorILb0EjEEZNS1_24adjacent_difference_implIS3_Lb0ELb0EPKjPjN6thrust23THRUST_200600_302600_NS4plusIjEEEE10hipError_tPvRmT2_T3_mT4_P12ihipStream_tbEUlT_E_NS1_11comp_targetILNS1_3genE8ELNS1_11target_archE1030ELNS1_3gpuE2ELNS1_3repE0EEENS1_30default_config_static_selectorELNS0_4arch9wavefront6targetE1EEEvT1_
		.amdhsa_group_segment_fixed_size 0
		.amdhsa_private_segment_fixed_size 0
		.amdhsa_kernarg_size 56
		.amdhsa_user_sgpr_count 6
		.amdhsa_user_sgpr_private_segment_buffer 1
		.amdhsa_user_sgpr_dispatch_ptr 0
		.amdhsa_user_sgpr_queue_ptr 0
		.amdhsa_user_sgpr_kernarg_segment_ptr 1
		.amdhsa_user_sgpr_dispatch_id 0
		.amdhsa_user_sgpr_flat_scratch_init 0
		.amdhsa_user_sgpr_kernarg_preload_length 0
		.amdhsa_user_sgpr_kernarg_preload_offset 0
		.amdhsa_user_sgpr_private_segment_size 0
		.amdhsa_uses_dynamic_stack 0
		.amdhsa_system_sgpr_private_segment_wavefront_offset 0
		.amdhsa_system_sgpr_workgroup_id_x 1
		.amdhsa_system_sgpr_workgroup_id_y 0
		.amdhsa_system_sgpr_workgroup_id_z 0
		.amdhsa_system_sgpr_workgroup_info 0
		.amdhsa_system_vgpr_workitem_id 0
		.amdhsa_next_free_vgpr 1
		.amdhsa_next_free_sgpr 0
		.amdhsa_accum_offset 4
		.amdhsa_reserve_vcc 0
		.amdhsa_reserve_flat_scratch 0
		.amdhsa_float_round_mode_32 0
		.amdhsa_float_round_mode_16_64 0
		.amdhsa_float_denorm_mode_32 3
		.amdhsa_float_denorm_mode_16_64 3
		.amdhsa_dx10_clamp 1
		.amdhsa_ieee_mode 1
		.amdhsa_fp16_overflow 0
		.amdhsa_tg_split 0
		.amdhsa_exception_fp_ieee_invalid_op 0
		.amdhsa_exception_fp_denorm_src 0
		.amdhsa_exception_fp_ieee_div_zero 0
		.amdhsa_exception_fp_ieee_overflow 0
		.amdhsa_exception_fp_ieee_underflow 0
		.amdhsa_exception_fp_ieee_inexact 0
		.amdhsa_exception_int_div_zero 0
	.end_amdhsa_kernel
	.section	.text._ZN7rocprim17ROCPRIM_400000_NS6detail17trampoline_kernelINS0_14default_configENS1_35adjacent_difference_config_selectorILb0EjEEZNS1_24adjacent_difference_implIS3_Lb0ELb0EPKjPjN6thrust23THRUST_200600_302600_NS4plusIjEEEE10hipError_tPvRmT2_T3_mT4_P12ihipStream_tbEUlT_E_NS1_11comp_targetILNS1_3genE8ELNS1_11target_archE1030ELNS1_3gpuE2ELNS1_3repE0EEENS1_30default_config_static_selectorELNS0_4arch9wavefront6targetE1EEEvT1_,"axG",@progbits,_ZN7rocprim17ROCPRIM_400000_NS6detail17trampoline_kernelINS0_14default_configENS1_35adjacent_difference_config_selectorILb0EjEEZNS1_24adjacent_difference_implIS3_Lb0ELb0EPKjPjN6thrust23THRUST_200600_302600_NS4plusIjEEEE10hipError_tPvRmT2_T3_mT4_P12ihipStream_tbEUlT_E_NS1_11comp_targetILNS1_3genE8ELNS1_11target_archE1030ELNS1_3gpuE2ELNS1_3repE0EEENS1_30default_config_static_selectorELNS0_4arch9wavefront6targetE1EEEvT1_,comdat
.Lfunc_end598:
	.size	_ZN7rocprim17ROCPRIM_400000_NS6detail17trampoline_kernelINS0_14default_configENS1_35adjacent_difference_config_selectorILb0EjEEZNS1_24adjacent_difference_implIS3_Lb0ELb0EPKjPjN6thrust23THRUST_200600_302600_NS4plusIjEEEE10hipError_tPvRmT2_T3_mT4_P12ihipStream_tbEUlT_E_NS1_11comp_targetILNS1_3genE8ELNS1_11target_archE1030ELNS1_3gpuE2ELNS1_3repE0EEENS1_30default_config_static_selectorELNS0_4arch9wavefront6targetE1EEEvT1_, .Lfunc_end598-_ZN7rocprim17ROCPRIM_400000_NS6detail17trampoline_kernelINS0_14default_configENS1_35adjacent_difference_config_selectorILb0EjEEZNS1_24adjacent_difference_implIS3_Lb0ELb0EPKjPjN6thrust23THRUST_200600_302600_NS4plusIjEEEE10hipError_tPvRmT2_T3_mT4_P12ihipStream_tbEUlT_E_NS1_11comp_targetILNS1_3genE8ELNS1_11target_archE1030ELNS1_3gpuE2ELNS1_3repE0EEENS1_30default_config_static_selectorELNS0_4arch9wavefront6targetE1EEEvT1_
                                        ; -- End function
	.section	.AMDGPU.csdata,"",@progbits
; Kernel info:
; codeLenInByte = 0
; NumSgprs: 4
; NumVgprs: 0
; NumAgprs: 0
; TotalNumVgprs: 0
; ScratchSize: 0
; MemoryBound: 0
; FloatMode: 240
; IeeeMode: 1
; LDSByteSize: 0 bytes/workgroup (compile time only)
; SGPRBlocks: 0
; VGPRBlocks: 0
; NumSGPRsForWavesPerEU: 4
; NumVGPRsForWavesPerEU: 1
; AccumOffset: 4
; Occupancy: 8
; WaveLimiterHint : 0
; COMPUTE_PGM_RSRC2:SCRATCH_EN: 0
; COMPUTE_PGM_RSRC2:USER_SGPR: 6
; COMPUTE_PGM_RSRC2:TRAP_HANDLER: 0
; COMPUTE_PGM_RSRC2:TGID_X_EN: 1
; COMPUTE_PGM_RSRC2:TGID_Y_EN: 0
; COMPUTE_PGM_RSRC2:TGID_Z_EN: 0
; COMPUTE_PGM_RSRC2:TIDIG_COMP_CNT: 0
; COMPUTE_PGM_RSRC3_GFX90A:ACCUM_OFFSET: 0
; COMPUTE_PGM_RSRC3_GFX90A:TG_SPLIT: 0
	.section	.text._ZN7rocprim17ROCPRIM_400000_NS6detail17trampoline_kernelINS0_14default_configENS1_25transform_config_selectorIjLb0EEEZNS1_14transform_implILb0ES3_S5_NS0_18transform_iteratorINS0_17counting_iteratorImlEEZNS1_24adjacent_difference_implIS3_Lb1ELb0EPKjPjN6thrust23THRUST_200600_302600_NS4plusIjEEEE10hipError_tPvRmT2_T3_mT4_P12ihipStream_tbEUlmE_jEESD_NS0_8identityIvEEEESI_SL_SM_mSN_SP_bEUlT_E_NS1_11comp_targetILNS1_3genE0ELNS1_11target_archE4294967295ELNS1_3gpuE0ELNS1_3repE0EEENS1_30default_config_static_selectorELNS0_4arch9wavefront6targetE1EEEvT1_,"axG",@progbits,_ZN7rocprim17ROCPRIM_400000_NS6detail17trampoline_kernelINS0_14default_configENS1_25transform_config_selectorIjLb0EEEZNS1_14transform_implILb0ES3_S5_NS0_18transform_iteratorINS0_17counting_iteratorImlEEZNS1_24adjacent_difference_implIS3_Lb1ELb0EPKjPjN6thrust23THRUST_200600_302600_NS4plusIjEEEE10hipError_tPvRmT2_T3_mT4_P12ihipStream_tbEUlmE_jEESD_NS0_8identityIvEEEESI_SL_SM_mSN_SP_bEUlT_E_NS1_11comp_targetILNS1_3genE0ELNS1_11target_archE4294967295ELNS1_3gpuE0ELNS1_3repE0EEENS1_30default_config_static_selectorELNS0_4arch9wavefront6targetE1EEEvT1_,comdat
	.protected	_ZN7rocprim17ROCPRIM_400000_NS6detail17trampoline_kernelINS0_14default_configENS1_25transform_config_selectorIjLb0EEEZNS1_14transform_implILb0ES3_S5_NS0_18transform_iteratorINS0_17counting_iteratorImlEEZNS1_24adjacent_difference_implIS3_Lb1ELb0EPKjPjN6thrust23THRUST_200600_302600_NS4plusIjEEEE10hipError_tPvRmT2_T3_mT4_P12ihipStream_tbEUlmE_jEESD_NS0_8identityIvEEEESI_SL_SM_mSN_SP_bEUlT_E_NS1_11comp_targetILNS1_3genE0ELNS1_11target_archE4294967295ELNS1_3gpuE0ELNS1_3repE0EEENS1_30default_config_static_selectorELNS0_4arch9wavefront6targetE1EEEvT1_ ; -- Begin function _ZN7rocprim17ROCPRIM_400000_NS6detail17trampoline_kernelINS0_14default_configENS1_25transform_config_selectorIjLb0EEEZNS1_14transform_implILb0ES3_S5_NS0_18transform_iteratorINS0_17counting_iteratorImlEEZNS1_24adjacent_difference_implIS3_Lb1ELb0EPKjPjN6thrust23THRUST_200600_302600_NS4plusIjEEEE10hipError_tPvRmT2_T3_mT4_P12ihipStream_tbEUlmE_jEESD_NS0_8identityIvEEEESI_SL_SM_mSN_SP_bEUlT_E_NS1_11comp_targetILNS1_3genE0ELNS1_11target_archE4294967295ELNS1_3gpuE0ELNS1_3repE0EEENS1_30default_config_static_selectorELNS0_4arch9wavefront6targetE1EEEvT1_
	.globl	_ZN7rocprim17ROCPRIM_400000_NS6detail17trampoline_kernelINS0_14default_configENS1_25transform_config_selectorIjLb0EEEZNS1_14transform_implILb0ES3_S5_NS0_18transform_iteratorINS0_17counting_iteratorImlEEZNS1_24adjacent_difference_implIS3_Lb1ELb0EPKjPjN6thrust23THRUST_200600_302600_NS4plusIjEEEE10hipError_tPvRmT2_T3_mT4_P12ihipStream_tbEUlmE_jEESD_NS0_8identityIvEEEESI_SL_SM_mSN_SP_bEUlT_E_NS1_11comp_targetILNS1_3genE0ELNS1_11target_archE4294967295ELNS1_3gpuE0ELNS1_3repE0EEENS1_30default_config_static_selectorELNS0_4arch9wavefront6targetE1EEEvT1_
	.p2align	8
	.type	_ZN7rocprim17ROCPRIM_400000_NS6detail17trampoline_kernelINS0_14default_configENS1_25transform_config_selectorIjLb0EEEZNS1_14transform_implILb0ES3_S5_NS0_18transform_iteratorINS0_17counting_iteratorImlEEZNS1_24adjacent_difference_implIS3_Lb1ELb0EPKjPjN6thrust23THRUST_200600_302600_NS4plusIjEEEE10hipError_tPvRmT2_T3_mT4_P12ihipStream_tbEUlmE_jEESD_NS0_8identityIvEEEESI_SL_SM_mSN_SP_bEUlT_E_NS1_11comp_targetILNS1_3genE0ELNS1_11target_archE4294967295ELNS1_3gpuE0ELNS1_3repE0EEENS1_30default_config_static_selectorELNS0_4arch9wavefront6targetE1EEEvT1_,@function
_ZN7rocprim17ROCPRIM_400000_NS6detail17trampoline_kernelINS0_14default_configENS1_25transform_config_selectorIjLb0EEEZNS1_14transform_implILb0ES3_S5_NS0_18transform_iteratorINS0_17counting_iteratorImlEEZNS1_24adjacent_difference_implIS3_Lb1ELb0EPKjPjN6thrust23THRUST_200600_302600_NS4plusIjEEEE10hipError_tPvRmT2_T3_mT4_P12ihipStream_tbEUlmE_jEESD_NS0_8identityIvEEEESI_SL_SM_mSN_SP_bEUlT_E_NS1_11comp_targetILNS1_3genE0ELNS1_11target_archE4294967295ELNS1_3gpuE0ELNS1_3repE0EEENS1_30default_config_static_selectorELNS0_4arch9wavefront6targetE1EEEvT1_: ; @_ZN7rocprim17ROCPRIM_400000_NS6detail17trampoline_kernelINS0_14default_configENS1_25transform_config_selectorIjLb0EEEZNS1_14transform_implILb0ES3_S5_NS0_18transform_iteratorINS0_17counting_iteratorImlEEZNS1_24adjacent_difference_implIS3_Lb1ELb0EPKjPjN6thrust23THRUST_200600_302600_NS4plusIjEEEE10hipError_tPvRmT2_T3_mT4_P12ihipStream_tbEUlmE_jEESD_NS0_8identityIvEEEESI_SL_SM_mSN_SP_bEUlT_E_NS1_11comp_targetILNS1_3genE0ELNS1_11target_archE4294967295ELNS1_3gpuE0ELNS1_3repE0EEENS1_30default_config_static_selectorELNS0_4arch9wavefront6targetE1EEEvT1_
; %bb.0:
	.section	.rodata,"a",@progbits
	.p2align	6, 0x0
	.amdhsa_kernel _ZN7rocprim17ROCPRIM_400000_NS6detail17trampoline_kernelINS0_14default_configENS1_25transform_config_selectorIjLb0EEEZNS1_14transform_implILb0ES3_S5_NS0_18transform_iteratorINS0_17counting_iteratorImlEEZNS1_24adjacent_difference_implIS3_Lb1ELb0EPKjPjN6thrust23THRUST_200600_302600_NS4plusIjEEEE10hipError_tPvRmT2_T3_mT4_P12ihipStream_tbEUlmE_jEESD_NS0_8identityIvEEEESI_SL_SM_mSN_SP_bEUlT_E_NS1_11comp_targetILNS1_3genE0ELNS1_11target_archE4294967295ELNS1_3gpuE0ELNS1_3repE0EEENS1_30default_config_static_selectorELNS0_4arch9wavefront6targetE1EEEvT1_
		.amdhsa_group_segment_fixed_size 0
		.amdhsa_private_segment_fixed_size 0
		.amdhsa_kernarg_size 56
		.amdhsa_user_sgpr_count 6
		.amdhsa_user_sgpr_private_segment_buffer 1
		.amdhsa_user_sgpr_dispatch_ptr 0
		.amdhsa_user_sgpr_queue_ptr 0
		.amdhsa_user_sgpr_kernarg_segment_ptr 1
		.amdhsa_user_sgpr_dispatch_id 0
		.amdhsa_user_sgpr_flat_scratch_init 0
		.amdhsa_user_sgpr_kernarg_preload_length 0
		.amdhsa_user_sgpr_kernarg_preload_offset 0
		.amdhsa_user_sgpr_private_segment_size 0
		.amdhsa_uses_dynamic_stack 0
		.amdhsa_system_sgpr_private_segment_wavefront_offset 0
		.amdhsa_system_sgpr_workgroup_id_x 1
		.amdhsa_system_sgpr_workgroup_id_y 0
		.amdhsa_system_sgpr_workgroup_id_z 0
		.amdhsa_system_sgpr_workgroup_info 0
		.amdhsa_system_vgpr_workitem_id 0
		.amdhsa_next_free_vgpr 1
		.amdhsa_next_free_sgpr 0
		.amdhsa_accum_offset 4
		.amdhsa_reserve_vcc 0
		.amdhsa_reserve_flat_scratch 0
		.amdhsa_float_round_mode_32 0
		.amdhsa_float_round_mode_16_64 0
		.amdhsa_float_denorm_mode_32 3
		.amdhsa_float_denorm_mode_16_64 3
		.amdhsa_dx10_clamp 1
		.amdhsa_ieee_mode 1
		.amdhsa_fp16_overflow 0
		.amdhsa_tg_split 0
		.amdhsa_exception_fp_ieee_invalid_op 0
		.amdhsa_exception_fp_denorm_src 0
		.amdhsa_exception_fp_ieee_div_zero 0
		.amdhsa_exception_fp_ieee_overflow 0
		.amdhsa_exception_fp_ieee_underflow 0
		.amdhsa_exception_fp_ieee_inexact 0
		.amdhsa_exception_int_div_zero 0
	.end_amdhsa_kernel
	.section	.text._ZN7rocprim17ROCPRIM_400000_NS6detail17trampoline_kernelINS0_14default_configENS1_25transform_config_selectorIjLb0EEEZNS1_14transform_implILb0ES3_S5_NS0_18transform_iteratorINS0_17counting_iteratorImlEEZNS1_24adjacent_difference_implIS3_Lb1ELb0EPKjPjN6thrust23THRUST_200600_302600_NS4plusIjEEEE10hipError_tPvRmT2_T3_mT4_P12ihipStream_tbEUlmE_jEESD_NS0_8identityIvEEEESI_SL_SM_mSN_SP_bEUlT_E_NS1_11comp_targetILNS1_3genE0ELNS1_11target_archE4294967295ELNS1_3gpuE0ELNS1_3repE0EEENS1_30default_config_static_selectorELNS0_4arch9wavefront6targetE1EEEvT1_,"axG",@progbits,_ZN7rocprim17ROCPRIM_400000_NS6detail17trampoline_kernelINS0_14default_configENS1_25transform_config_selectorIjLb0EEEZNS1_14transform_implILb0ES3_S5_NS0_18transform_iteratorINS0_17counting_iteratorImlEEZNS1_24adjacent_difference_implIS3_Lb1ELb0EPKjPjN6thrust23THRUST_200600_302600_NS4plusIjEEEE10hipError_tPvRmT2_T3_mT4_P12ihipStream_tbEUlmE_jEESD_NS0_8identityIvEEEESI_SL_SM_mSN_SP_bEUlT_E_NS1_11comp_targetILNS1_3genE0ELNS1_11target_archE4294967295ELNS1_3gpuE0ELNS1_3repE0EEENS1_30default_config_static_selectorELNS0_4arch9wavefront6targetE1EEEvT1_,comdat
.Lfunc_end599:
	.size	_ZN7rocprim17ROCPRIM_400000_NS6detail17trampoline_kernelINS0_14default_configENS1_25transform_config_selectorIjLb0EEEZNS1_14transform_implILb0ES3_S5_NS0_18transform_iteratorINS0_17counting_iteratorImlEEZNS1_24adjacent_difference_implIS3_Lb1ELb0EPKjPjN6thrust23THRUST_200600_302600_NS4plusIjEEEE10hipError_tPvRmT2_T3_mT4_P12ihipStream_tbEUlmE_jEESD_NS0_8identityIvEEEESI_SL_SM_mSN_SP_bEUlT_E_NS1_11comp_targetILNS1_3genE0ELNS1_11target_archE4294967295ELNS1_3gpuE0ELNS1_3repE0EEENS1_30default_config_static_selectorELNS0_4arch9wavefront6targetE1EEEvT1_, .Lfunc_end599-_ZN7rocprim17ROCPRIM_400000_NS6detail17trampoline_kernelINS0_14default_configENS1_25transform_config_selectorIjLb0EEEZNS1_14transform_implILb0ES3_S5_NS0_18transform_iteratorINS0_17counting_iteratorImlEEZNS1_24adjacent_difference_implIS3_Lb1ELb0EPKjPjN6thrust23THRUST_200600_302600_NS4plusIjEEEE10hipError_tPvRmT2_T3_mT4_P12ihipStream_tbEUlmE_jEESD_NS0_8identityIvEEEESI_SL_SM_mSN_SP_bEUlT_E_NS1_11comp_targetILNS1_3genE0ELNS1_11target_archE4294967295ELNS1_3gpuE0ELNS1_3repE0EEENS1_30default_config_static_selectorELNS0_4arch9wavefront6targetE1EEEvT1_
                                        ; -- End function
	.section	.AMDGPU.csdata,"",@progbits
; Kernel info:
; codeLenInByte = 0
; NumSgprs: 4
; NumVgprs: 0
; NumAgprs: 0
; TotalNumVgprs: 0
; ScratchSize: 0
; MemoryBound: 0
; FloatMode: 240
; IeeeMode: 1
; LDSByteSize: 0 bytes/workgroup (compile time only)
; SGPRBlocks: 0
; VGPRBlocks: 0
; NumSGPRsForWavesPerEU: 4
; NumVGPRsForWavesPerEU: 1
; AccumOffset: 4
; Occupancy: 8
; WaveLimiterHint : 0
; COMPUTE_PGM_RSRC2:SCRATCH_EN: 0
; COMPUTE_PGM_RSRC2:USER_SGPR: 6
; COMPUTE_PGM_RSRC2:TRAP_HANDLER: 0
; COMPUTE_PGM_RSRC2:TGID_X_EN: 1
; COMPUTE_PGM_RSRC2:TGID_Y_EN: 0
; COMPUTE_PGM_RSRC2:TGID_Z_EN: 0
; COMPUTE_PGM_RSRC2:TIDIG_COMP_CNT: 0
; COMPUTE_PGM_RSRC3_GFX90A:ACCUM_OFFSET: 0
; COMPUTE_PGM_RSRC3_GFX90A:TG_SPLIT: 0
	.section	.text._ZN7rocprim17ROCPRIM_400000_NS6detail17trampoline_kernelINS0_14default_configENS1_25transform_config_selectorIjLb0EEEZNS1_14transform_implILb0ES3_S5_NS0_18transform_iteratorINS0_17counting_iteratorImlEEZNS1_24adjacent_difference_implIS3_Lb1ELb0EPKjPjN6thrust23THRUST_200600_302600_NS4plusIjEEEE10hipError_tPvRmT2_T3_mT4_P12ihipStream_tbEUlmE_jEESD_NS0_8identityIvEEEESI_SL_SM_mSN_SP_bEUlT_E_NS1_11comp_targetILNS1_3genE5ELNS1_11target_archE942ELNS1_3gpuE9ELNS1_3repE0EEENS1_30default_config_static_selectorELNS0_4arch9wavefront6targetE1EEEvT1_,"axG",@progbits,_ZN7rocprim17ROCPRIM_400000_NS6detail17trampoline_kernelINS0_14default_configENS1_25transform_config_selectorIjLb0EEEZNS1_14transform_implILb0ES3_S5_NS0_18transform_iteratorINS0_17counting_iteratorImlEEZNS1_24adjacent_difference_implIS3_Lb1ELb0EPKjPjN6thrust23THRUST_200600_302600_NS4plusIjEEEE10hipError_tPvRmT2_T3_mT4_P12ihipStream_tbEUlmE_jEESD_NS0_8identityIvEEEESI_SL_SM_mSN_SP_bEUlT_E_NS1_11comp_targetILNS1_3genE5ELNS1_11target_archE942ELNS1_3gpuE9ELNS1_3repE0EEENS1_30default_config_static_selectorELNS0_4arch9wavefront6targetE1EEEvT1_,comdat
	.protected	_ZN7rocprim17ROCPRIM_400000_NS6detail17trampoline_kernelINS0_14default_configENS1_25transform_config_selectorIjLb0EEEZNS1_14transform_implILb0ES3_S5_NS0_18transform_iteratorINS0_17counting_iteratorImlEEZNS1_24adjacent_difference_implIS3_Lb1ELb0EPKjPjN6thrust23THRUST_200600_302600_NS4plusIjEEEE10hipError_tPvRmT2_T3_mT4_P12ihipStream_tbEUlmE_jEESD_NS0_8identityIvEEEESI_SL_SM_mSN_SP_bEUlT_E_NS1_11comp_targetILNS1_3genE5ELNS1_11target_archE942ELNS1_3gpuE9ELNS1_3repE0EEENS1_30default_config_static_selectorELNS0_4arch9wavefront6targetE1EEEvT1_ ; -- Begin function _ZN7rocprim17ROCPRIM_400000_NS6detail17trampoline_kernelINS0_14default_configENS1_25transform_config_selectorIjLb0EEEZNS1_14transform_implILb0ES3_S5_NS0_18transform_iteratorINS0_17counting_iteratorImlEEZNS1_24adjacent_difference_implIS3_Lb1ELb0EPKjPjN6thrust23THRUST_200600_302600_NS4plusIjEEEE10hipError_tPvRmT2_T3_mT4_P12ihipStream_tbEUlmE_jEESD_NS0_8identityIvEEEESI_SL_SM_mSN_SP_bEUlT_E_NS1_11comp_targetILNS1_3genE5ELNS1_11target_archE942ELNS1_3gpuE9ELNS1_3repE0EEENS1_30default_config_static_selectorELNS0_4arch9wavefront6targetE1EEEvT1_
	.globl	_ZN7rocprim17ROCPRIM_400000_NS6detail17trampoline_kernelINS0_14default_configENS1_25transform_config_selectorIjLb0EEEZNS1_14transform_implILb0ES3_S5_NS0_18transform_iteratorINS0_17counting_iteratorImlEEZNS1_24adjacent_difference_implIS3_Lb1ELb0EPKjPjN6thrust23THRUST_200600_302600_NS4plusIjEEEE10hipError_tPvRmT2_T3_mT4_P12ihipStream_tbEUlmE_jEESD_NS0_8identityIvEEEESI_SL_SM_mSN_SP_bEUlT_E_NS1_11comp_targetILNS1_3genE5ELNS1_11target_archE942ELNS1_3gpuE9ELNS1_3repE0EEENS1_30default_config_static_selectorELNS0_4arch9wavefront6targetE1EEEvT1_
	.p2align	8
	.type	_ZN7rocprim17ROCPRIM_400000_NS6detail17trampoline_kernelINS0_14default_configENS1_25transform_config_selectorIjLb0EEEZNS1_14transform_implILb0ES3_S5_NS0_18transform_iteratorINS0_17counting_iteratorImlEEZNS1_24adjacent_difference_implIS3_Lb1ELb0EPKjPjN6thrust23THRUST_200600_302600_NS4plusIjEEEE10hipError_tPvRmT2_T3_mT4_P12ihipStream_tbEUlmE_jEESD_NS0_8identityIvEEEESI_SL_SM_mSN_SP_bEUlT_E_NS1_11comp_targetILNS1_3genE5ELNS1_11target_archE942ELNS1_3gpuE9ELNS1_3repE0EEENS1_30default_config_static_selectorELNS0_4arch9wavefront6targetE1EEEvT1_,@function
_ZN7rocprim17ROCPRIM_400000_NS6detail17trampoline_kernelINS0_14default_configENS1_25transform_config_selectorIjLb0EEEZNS1_14transform_implILb0ES3_S5_NS0_18transform_iteratorINS0_17counting_iteratorImlEEZNS1_24adjacent_difference_implIS3_Lb1ELb0EPKjPjN6thrust23THRUST_200600_302600_NS4plusIjEEEE10hipError_tPvRmT2_T3_mT4_P12ihipStream_tbEUlmE_jEESD_NS0_8identityIvEEEESI_SL_SM_mSN_SP_bEUlT_E_NS1_11comp_targetILNS1_3genE5ELNS1_11target_archE942ELNS1_3gpuE9ELNS1_3repE0EEENS1_30default_config_static_selectorELNS0_4arch9wavefront6targetE1EEEvT1_: ; @_ZN7rocprim17ROCPRIM_400000_NS6detail17trampoline_kernelINS0_14default_configENS1_25transform_config_selectorIjLb0EEEZNS1_14transform_implILb0ES3_S5_NS0_18transform_iteratorINS0_17counting_iteratorImlEEZNS1_24adjacent_difference_implIS3_Lb1ELb0EPKjPjN6thrust23THRUST_200600_302600_NS4plusIjEEEE10hipError_tPvRmT2_T3_mT4_P12ihipStream_tbEUlmE_jEESD_NS0_8identityIvEEEESI_SL_SM_mSN_SP_bEUlT_E_NS1_11comp_targetILNS1_3genE5ELNS1_11target_archE942ELNS1_3gpuE9ELNS1_3repE0EEENS1_30default_config_static_selectorELNS0_4arch9wavefront6targetE1EEEvT1_
; %bb.0:
	.section	.rodata,"a",@progbits
	.p2align	6, 0x0
	.amdhsa_kernel _ZN7rocprim17ROCPRIM_400000_NS6detail17trampoline_kernelINS0_14default_configENS1_25transform_config_selectorIjLb0EEEZNS1_14transform_implILb0ES3_S5_NS0_18transform_iteratorINS0_17counting_iteratorImlEEZNS1_24adjacent_difference_implIS3_Lb1ELb0EPKjPjN6thrust23THRUST_200600_302600_NS4plusIjEEEE10hipError_tPvRmT2_T3_mT4_P12ihipStream_tbEUlmE_jEESD_NS0_8identityIvEEEESI_SL_SM_mSN_SP_bEUlT_E_NS1_11comp_targetILNS1_3genE5ELNS1_11target_archE942ELNS1_3gpuE9ELNS1_3repE0EEENS1_30default_config_static_selectorELNS0_4arch9wavefront6targetE1EEEvT1_
		.amdhsa_group_segment_fixed_size 0
		.amdhsa_private_segment_fixed_size 0
		.amdhsa_kernarg_size 56
		.amdhsa_user_sgpr_count 6
		.amdhsa_user_sgpr_private_segment_buffer 1
		.amdhsa_user_sgpr_dispatch_ptr 0
		.amdhsa_user_sgpr_queue_ptr 0
		.amdhsa_user_sgpr_kernarg_segment_ptr 1
		.amdhsa_user_sgpr_dispatch_id 0
		.amdhsa_user_sgpr_flat_scratch_init 0
		.amdhsa_user_sgpr_kernarg_preload_length 0
		.amdhsa_user_sgpr_kernarg_preload_offset 0
		.amdhsa_user_sgpr_private_segment_size 0
		.amdhsa_uses_dynamic_stack 0
		.amdhsa_system_sgpr_private_segment_wavefront_offset 0
		.amdhsa_system_sgpr_workgroup_id_x 1
		.amdhsa_system_sgpr_workgroup_id_y 0
		.amdhsa_system_sgpr_workgroup_id_z 0
		.amdhsa_system_sgpr_workgroup_info 0
		.amdhsa_system_vgpr_workitem_id 0
		.amdhsa_next_free_vgpr 1
		.amdhsa_next_free_sgpr 0
		.amdhsa_accum_offset 4
		.amdhsa_reserve_vcc 0
		.amdhsa_reserve_flat_scratch 0
		.amdhsa_float_round_mode_32 0
		.amdhsa_float_round_mode_16_64 0
		.amdhsa_float_denorm_mode_32 3
		.amdhsa_float_denorm_mode_16_64 3
		.amdhsa_dx10_clamp 1
		.amdhsa_ieee_mode 1
		.amdhsa_fp16_overflow 0
		.amdhsa_tg_split 0
		.amdhsa_exception_fp_ieee_invalid_op 0
		.amdhsa_exception_fp_denorm_src 0
		.amdhsa_exception_fp_ieee_div_zero 0
		.amdhsa_exception_fp_ieee_overflow 0
		.amdhsa_exception_fp_ieee_underflow 0
		.amdhsa_exception_fp_ieee_inexact 0
		.amdhsa_exception_int_div_zero 0
	.end_amdhsa_kernel
	.section	.text._ZN7rocprim17ROCPRIM_400000_NS6detail17trampoline_kernelINS0_14default_configENS1_25transform_config_selectorIjLb0EEEZNS1_14transform_implILb0ES3_S5_NS0_18transform_iteratorINS0_17counting_iteratorImlEEZNS1_24adjacent_difference_implIS3_Lb1ELb0EPKjPjN6thrust23THRUST_200600_302600_NS4plusIjEEEE10hipError_tPvRmT2_T3_mT4_P12ihipStream_tbEUlmE_jEESD_NS0_8identityIvEEEESI_SL_SM_mSN_SP_bEUlT_E_NS1_11comp_targetILNS1_3genE5ELNS1_11target_archE942ELNS1_3gpuE9ELNS1_3repE0EEENS1_30default_config_static_selectorELNS0_4arch9wavefront6targetE1EEEvT1_,"axG",@progbits,_ZN7rocprim17ROCPRIM_400000_NS6detail17trampoline_kernelINS0_14default_configENS1_25transform_config_selectorIjLb0EEEZNS1_14transform_implILb0ES3_S5_NS0_18transform_iteratorINS0_17counting_iteratorImlEEZNS1_24adjacent_difference_implIS3_Lb1ELb0EPKjPjN6thrust23THRUST_200600_302600_NS4plusIjEEEE10hipError_tPvRmT2_T3_mT4_P12ihipStream_tbEUlmE_jEESD_NS0_8identityIvEEEESI_SL_SM_mSN_SP_bEUlT_E_NS1_11comp_targetILNS1_3genE5ELNS1_11target_archE942ELNS1_3gpuE9ELNS1_3repE0EEENS1_30default_config_static_selectorELNS0_4arch9wavefront6targetE1EEEvT1_,comdat
.Lfunc_end600:
	.size	_ZN7rocprim17ROCPRIM_400000_NS6detail17trampoline_kernelINS0_14default_configENS1_25transform_config_selectorIjLb0EEEZNS1_14transform_implILb0ES3_S5_NS0_18transform_iteratorINS0_17counting_iteratorImlEEZNS1_24adjacent_difference_implIS3_Lb1ELb0EPKjPjN6thrust23THRUST_200600_302600_NS4plusIjEEEE10hipError_tPvRmT2_T3_mT4_P12ihipStream_tbEUlmE_jEESD_NS0_8identityIvEEEESI_SL_SM_mSN_SP_bEUlT_E_NS1_11comp_targetILNS1_3genE5ELNS1_11target_archE942ELNS1_3gpuE9ELNS1_3repE0EEENS1_30default_config_static_selectorELNS0_4arch9wavefront6targetE1EEEvT1_, .Lfunc_end600-_ZN7rocprim17ROCPRIM_400000_NS6detail17trampoline_kernelINS0_14default_configENS1_25transform_config_selectorIjLb0EEEZNS1_14transform_implILb0ES3_S5_NS0_18transform_iteratorINS0_17counting_iteratorImlEEZNS1_24adjacent_difference_implIS3_Lb1ELb0EPKjPjN6thrust23THRUST_200600_302600_NS4plusIjEEEE10hipError_tPvRmT2_T3_mT4_P12ihipStream_tbEUlmE_jEESD_NS0_8identityIvEEEESI_SL_SM_mSN_SP_bEUlT_E_NS1_11comp_targetILNS1_3genE5ELNS1_11target_archE942ELNS1_3gpuE9ELNS1_3repE0EEENS1_30default_config_static_selectorELNS0_4arch9wavefront6targetE1EEEvT1_
                                        ; -- End function
	.section	.AMDGPU.csdata,"",@progbits
; Kernel info:
; codeLenInByte = 0
; NumSgprs: 4
; NumVgprs: 0
; NumAgprs: 0
; TotalNumVgprs: 0
; ScratchSize: 0
; MemoryBound: 0
; FloatMode: 240
; IeeeMode: 1
; LDSByteSize: 0 bytes/workgroup (compile time only)
; SGPRBlocks: 0
; VGPRBlocks: 0
; NumSGPRsForWavesPerEU: 4
; NumVGPRsForWavesPerEU: 1
; AccumOffset: 4
; Occupancy: 8
; WaveLimiterHint : 0
; COMPUTE_PGM_RSRC2:SCRATCH_EN: 0
; COMPUTE_PGM_RSRC2:USER_SGPR: 6
; COMPUTE_PGM_RSRC2:TRAP_HANDLER: 0
; COMPUTE_PGM_RSRC2:TGID_X_EN: 1
; COMPUTE_PGM_RSRC2:TGID_Y_EN: 0
; COMPUTE_PGM_RSRC2:TGID_Z_EN: 0
; COMPUTE_PGM_RSRC2:TIDIG_COMP_CNT: 0
; COMPUTE_PGM_RSRC3_GFX90A:ACCUM_OFFSET: 0
; COMPUTE_PGM_RSRC3_GFX90A:TG_SPLIT: 0
	.section	.text._ZN7rocprim17ROCPRIM_400000_NS6detail17trampoline_kernelINS0_14default_configENS1_25transform_config_selectorIjLb0EEEZNS1_14transform_implILb0ES3_S5_NS0_18transform_iteratorINS0_17counting_iteratorImlEEZNS1_24adjacent_difference_implIS3_Lb1ELb0EPKjPjN6thrust23THRUST_200600_302600_NS4plusIjEEEE10hipError_tPvRmT2_T3_mT4_P12ihipStream_tbEUlmE_jEESD_NS0_8identityIvEEEESI_SL_SM_mSN_SP_bEUlT_E_NS1_11comp_targetILNS1_3genE4ELNS1_11target_archE910ELNS1_3gpuE8ELNS1_3repE0EEENS1_30default_config_static_selectorELNS0_4arch9wavefront6targetE1EEEvT1_,"axG",@progbits,_ZN7rocprim17ROCPRIM_400000_NS6detail17trampoline_kernelINS0_14default_configENS1_25transform_config_selectorIjLb0EEEZNS1_14transform_implILb0ES3_S5_NS0_18transform_iteratorINS0_17counting_iteratorImlEEZNS1_24adjacent_difference_implIS3_Lb1ELb0EPKjPjN6thrust23THRUST_200600_302600_NS4plusIjEEEE10hipError_tPvRmT2_T3_mT4_P12ihipStream_tbEUlmE_jEESD_NS0_8identityIvEEEESI_SL_SM_mSN_SP_bEUlT_E_NS1_11comp_targetILNS1_3genE4ELNS1_11target_archE910ELNS1_3gpuE8ELNS1_3repE0EEENS1_30default_config_static_selectorELNS0_4arch9wavefront6targetE1EEEvT1_,comdat
	.protected	_ZN7rocprim17ROCPRIM_400000_NS6detail17trampoline_kernelINS0_14default_configENS1_25transform_config_selectorIjLb0EEEZNS1_14transform_implILb0ES3_S5_NS0_18transform_iteratorINS0_17counting_iteratorImlEEZNS1_24adjacent_difference_implIS3_Lb1ELb0EPKjPjN6thrust23THRUST_200600_302600_NS4plusIjEEEE10hipError_tPvRmT2_T3_mT4_P12ihipStream_tbEUlmE_jEESD_NS0_8identityIvEEEESI_SL_SM_mSN_SP_bEUlT_E_NS1_11comp_targetILNS1_3genE4ELNS1_11target_archE910ELNS1_3gpuE8ELNS1_3repE0EEENS1_30default_config_static_selectorELNS0_4arch9wavefront6targetE1EEEvT1_ ; -- Begin function _ZN7rocprim17ROCPRIM_400000_NS6detail17trampoline_kernelINS0_14default_configENS1_25transform_config_selectorIjLb0EEEZNS1_14transform_implILb0ES3_S5_NS0_18transform_iteratorINS0_17counting_iteratorImlEEZNS1_24adjacent_difference_implIS3_Lb1ELb0EPKjPjN6thrust23THRUST_200600_302600_NS4plusIjEEEE10hipError_tPvRmT2_T3_mT4_P12ihipStream_tbEUlmE_jEESD_NS0_8identityIvEEEESI_SL_SM_mSN_SP_bEUlT_E_NS1_11comp_targetILNS1_3genE4ELNS1_11target_archE910ELNS1_3gpuE8ELNS1_3repE0EEENS1_30default_config_static_selectorELNS0_4arch9wavefront6targetE1EEEvT1_
	.globl	_ZN7rocprim17ROCPRIM_400000_NS6detail17trampoline_kernelINS0_14default_configENS1_25transform_config_selectorIjLb0EEEZNS1_14transform_implILb0ES3_S5_NS0_18transform_iteratorINS0_17counting_iteratorImlEEZNS1_24adjacent_difference_implIS3_Lb1ELb0EPKjPjN6thrust23THRUST_200600_302600_NS4plusIjEEEE10hipError_tPvRmT2_T3_mT4_P12ihipStream_tbEUlmE_jEESD_NS0_8identityIvEEEESI_SL_SM_mSN_SP_bEUlT_E_NS1_11comp_targetILNS1_3genE4ELNS1_11target_archE910ELNS1_3gpuE8ELNS1_3repE0EEENS1_30default_config_static_selectorELNS0_4arch9wavefront6targetE1EEEvT1_
	.p2align	8
	.type	_ZN7rocprim17ROCPRIM_400000_NS6detail17trampoline_kernelINS0_14default_configENS1_25transform_config_selectorIjLb0EEEZNS1_14transform_implILb0ES3_S5_NS0_18transform_iteratorINS0_17counting_iteratorImlEEZNS1_24adjacent_difference_implIS3_Lb1ELb0EPKjPjN6thrust23THRUST_200600_302600_NS4plusIjEEEE10hipError_tPvRmT2_T3_mT4_P12ihipStream_tbEUlmE_jEESD_NS0_8identityIvEEEESI_SL_SM_mSN_SP_bEUlT_E_NS1_11comp_targetILNS1_3genE4ELNS1_11target_archE910ELNS1_3gpuE8ELNS1_3repE0EEENS1_30default_config_static_selectorELNS0_4arch9wavefront6targetE1EEEvT1_,@function
_ZN7rocprim17ROCPRIM_400000_NS6detail17trampoline_kernelINS0_14default_configENS1_25transform_config_selectorIjLb0EEEZNS1_14transform_implILb0ES3_S5_NS0_18transform_iteratorINS0_17counting_iteratorImlEEZNS1_24adjacent_difference_implIS3_Lb1ELb0EPKjPjN6thrust23THRUST_200600_302600_NS4plusIjEEEE10hipError_tPvRmT2_T3_mT4_P12ihipStream_tbEUlmE_jEESD_NS0_8identityIvEEEESI_SL_SM_mSN_SP_bEUlT_E_NS1_11comp_targetILNS1_3genE4ELNS1_11target_archE910ELNS1_3gpuE8ELNS1_3repE0EEENS1_30default_config_static_selectorELNS0_4arch9wavefront6targetE1EEEvT1_: ; @_ZN7rocprim17ROCPRIM_400000_NS6detail17trampoline_kernelINS0_14default_configENS1_25transform_config_selectorIjLb0EEEZNS1_14transform_implILb0ES3_S5_NS0_18transform_iteratorINS0_17counting_iteratorImlEEZNS1_24adjacent_difference_implIS3_Lb1ELb0EPKjPjN6thrust23THRUST_200600_302600_NS4plusIjEEEE10hipError_tPvRmT2_T3_mT4_P12ihipStream_tbEUlmE_jEESD_NS0_8identityIvEEEESI_SL_SM_mSN_SP_bEUlT_E_NS1_11comp_targetILNS1_3genE4ELNS1_11target_archE910ELNS1_3gpuE8ELNS1_3repE0EEENS1_30default_config_static_selectorELNS0_4arch9wavefront6targetE1EEEvT1_
; %bb.0:
	s_load_dwordx4 s[0:3], s[4:5], 0x18
	s_load_dwordx2 s[14:15], s[4:5], 0x28
	s_load_dwordx4 s[8:11], s[4:5], 0x0
	s_load_dword s12, s[4:5], 0x10
	s_waitcnt lgkmcnt(0)
	s_load_dword s3, s[4:5], 0x38
                                        ; kill: killed $sgpr4_sgpr5
	s_lshl_b64 s[4:5], s[0:1], 2
	s_add_u32 s14, s14, s4
	s_addc_u32 s15, s15, s5
	s_lshl_b32 s4, s6, 11
	s_waitcnt lgkmcnt(0)
	s_add_i32 s3, s3, -1
	s_add_u32 s7, s8, s4
	s_addc_u32 s8, s9, 0
	s_add_u32 s16, s7, s0
	s_addc_u32 s17, s8, s1
	s_mov_b32 s5, 0
	s_cmp_lg_u32 s6, s3
	v_lshlrev_b32_e32 v1, 2, v0
	s_cbranch_scc0 .LBB601_2
; %bb.1:
	v_mov_b32_e32 v2, s17
	v_add_co_u32_e32 v3, vcc, s16, v0
	v_addc_co_u32_e32 v5, vcc, 0, v2, vcc
	v_mad_u64_u32 v[2:3], s[0:1], v3, s12, 0
	v_mov_b32_e32 v4, v3
	v_mad_u64_u32 v[4:5], s[0:1], v5, s12, v[4:5]
	v_mov_b32_e32 v3, v4
	v_lshlrev_b64 v[2:3], 2, v[2:3]
	s_mov_b32 s13, s5
	v_mov_b32_e32 v4, s11
	v_add_co_u32_e32 v2, vcc, s10, v2
	v_addc_co_u32_e32 v3, vcc, v4, v3, vcc
	s_lshl_b64 s[0:1], s[12:13], 12
	global_load_dword v6, v[2:3], off
	v_mov_b32_e32 v4, s1
	v_add_co_u32_e32 v2, vcc, s0, v2
	v_addc_co_u32_e32 v3, vcc, v3, v4, vcc
	global_load_dword v3, v[2:3], off
	s_lshl_b64 s[6:7], s[4:5], 2
	s_add_u32 s6, s14, s6
	s_addc_u32 s7, s15, s7
	v_mov_b32_e32 v2, s7
	v_add_co_u32_e32 v4, vcc, s6, v1
	v_addc_co_u32_e32 v5, vcc, 0, v2, vcc
	s_waitcnt vmcnt(1)
	global_store_dword v1, v6, s[6:7]
	s_mov_b64 s[6:7], -1
	s_cbranch_execz .LBB601_3
	s_branch .LBB601_12
.LBB601_2:
	s_mov_b64 s[6:7], 0
                                        ; implicit-def: $vgpr3
                                        ; implicit-def: $vgpr4_vgpr5
.LBB601_3:
	s_sub_i32 s8, s2, s4
	v_cmp_gt_u32_e32 vcc, s8, v0
                                        ; implicit-def: $vgpr2_vgpr3
	s_and_saveexec_b64 s[2:3], vcc
	s_cbranch_execz .LBB601_5
; %bb.4:
	v_mov_b32_e32 v2, s17
	s_waitcnt vmcnt(1)
	v_add_co_u32_e64 v3, s[0:1], s16, v0
	v_addc_co_u32_e64 v5, s[0:1], 0, v2, s[0:1]
	v_mad_u64_u32 v[2:3], s[0:1], v3, s12, 0
	v_mov_b32_e32 v4, v3
	v_mad_u64_u32 v[4:5], s[0:1], v5, s12, v[4:5]
	v_mov_b32_e32 v3, v4
	v_lshlrev_b64 v[2:3], 2, v[2:3]
	v_mov_b32_e32 v4, s11
	v_add_co_u32_e64 v2, s[0:1], s10, v2
	v_addc_co_u32_e64 v3, s[0:1], v4, v3, s[0:1]
	global_load_dword v2, v[2:3], off
.LBB601_5:
	s_or_b64 exec, exec, s[2:3]
	v_or_b32_e32 v0, 0x400, v0
	v_cmp_gt_u32_e64 s[0:1], s8, v0
	s_and_saveexec_b64 s[8:9], s[0:1]
	s_cbranch_execz .LBB601_7
; %bb.6:
	s_waitcnt vmcnt(1)
	v_mov_b32_e32 v3, s17
	v_add_co_u32_e64 v0, s[2:3], s16, v0
	v_addc_co_u32_e64 v3, s[2:3], 0, v3, s[2:3]
	v_mad_u64_u32 v[4:5], s[2:3], v0, s12, 0
	v_mov_b32_e32 v0, v5
	v_mad_u64_u32 v[6:7], s[2:3], v3, s12, v[0:1]
	v_mov_b32_e32 v5, v6
	v_lshlrev_b64 v[4:5], 2, v[4:5]
	v_mov_b32_e32 v0, s11
	v_add_co_u32_e64 v4, s[2:3], s10, v4
	v_addc_co_u32_e64 v5, s[2:3], v0, v5, s[2:3]
	global_load_dword v3, v[4:5], off
.LBB601_7:
	s_or_b64 exec, exec, s[8:9]
	s_lshl_b64 s[2:3], s[4:5], 2
	s_add_u32 s2, s14, s2
	s_addc_u32 s3, s15, s3
	v_mov_b32_e32 v0, s3
	v_add_co_u32_e64 v4, s[2:3], s2, v1
	v_addc_co_u32_e64 v5, s[2:3], 0, v0, s[2:3]
	s_and_saveexec_b64 s[2:3], vcc
	s_cbranch_execz .LBB601_9
; %bb.8:
	s_waitcnt vmcnt(0)
	global_store_dword v[4:5], v2, off
.LBB601_9:
	s_or_b64 exec, exec, s[2:3]
	s_and_saveexec_b64 s[2:3], s[0:1]
; %bb.10:
	s_or_b64 s[6:7], s[6:7], exec
; %bb.11:
	s_or_b64 exec, exec, s[2:3]
.LBB601_12:
	s_and_saveexec_b64 s[0:1], s[6:7]
	s_cbranch_execnz .LBB601_14
; %bb.13:
	s_endpgm
.LBB601_14:
	v_add_co_u32_e32 v0, vcc, 0x1000, v4
	v_addc_co_u32_e32 v1, vcc, 0, v5, vcc
	s_waitcnt vmcnt(0)
	global_store_dword v[0:1], v3, off
	s_endpgm
	.section	.rodata,"a",@progbits
	.p2align	6, 0x0
	.amdhsa_kernel _ZN7rocprim17ROCPRIM_400000_NS6detail17trampoline_kernelINS0_14default_configENS1_25transform_config_selectorIjLb0EEEZNS1_14transform_implILb0ES3_S5_NS0_18transform_iteratorINS0_17counting_iteratorImlEEZNS1_24adjacent_difference_implIS3_Lb1ELb0EPKjPjN6thrust23THRUST_200600_302600_NS4plusIjEEEE10hipError_tPvRmT2_T3_mT4_P12ihipStream_tbEUlmE_jEESD_NS0_8identityIvEEEESI_SL_SM_mSN_SP_bEUlT_E_NS1_11comp_targetILNS1_3genE4ELNS1_11target_archE910ELNS1_3gpuE8ELNS1_3repE0EEENS1_30default_config_static_selectorELNS0_4arch9wavefront6targetE1EEEvT1_
		.amdhsa_group_segment_fixed_size 0
		.amdhsa_private_segment_fixed_size 0
		.amdhsa_kernarg_size 312
		.amdhsa_user_sgpr_count 6
		.amdhsa_user_sgpr_private_segment_buffer 1
		.amdhsa_user_sgpr_dispatch_ptr 0
		.amdhsa_user_sgpr_queue_ptr 0
		.amdhsa_user_sgpr_kernarg_segment_ptr 1
		.amdhsa_user_sgpr_dispatch_id 0
		.amdhsa_user_sgpr_flat_scratch_init 0
		.amdhsa_user_sgpr_kernarg_preload_length 0
		.amdhsa_user_sgpr_kernarg_preload_offset 0
		.amdhsa_user_sgpr_private_segment_size 0
		.amdhsa_uses_dynamic_stack 0
		.amdhsa_system_sgpr_private_segment_wavefront_offset 0
		.amdhsa_system_sgpr_workgroup_id_x 1
		.amdhsa_system_sgpr_workgroup_id_y 0
		.amdhsa_system_sgpr_workgroup_id_z 0
		.amdhsa_system_sgpr_workgroup_info 0
		.amdhsa_system_vgpr_workitem_id 0
		.amdhsa_next_free_vgpr 8
		.amdhsa_next_free_sgpr 18
		.amdhsa_accum_offset 8
		.amdhsa_reserve_vcc 1
		.amdhsa_reserve_flat_scratch 0
		.amdhsa_float_round_mode_32 0
		.amdhsa_float_round_mode_16_64 0
		.amdhsa_float_denorm_mode_32 3
		.amdhsa_float_denorm_mode_16_64 3
		.amdhsa_dx10_clamp 1
		.amdhsa_ieee_mode 1
		.amdhsa_fp16_overflow 0
		.amdhsa_tg_split 0
		.amdhsa_exception_fp_ieee_invalid_op 0
		.amdhsa_exception_fp_denorm_src 0
		.amdhsa_exception_fp_ieee_div_zero 0
		.amdhsa_exception_fp_ieee_overflow 0
		.amdhsa_exception_fp_ieee_underflow 0
		.amdhsa_exception_fp_ieee_inexact 0
		.amdhsa_exception_int_div_zero 0
	.end_amdhsa_kernel
	.section	.text._ZN7rocprim17ROCPRIM_400000_NS6detail17trampoline_kernelINS0_14default_configENS1_25transform_config_selectorIjLb0EEEZNS1_14transform_implILb0ES3_S5_NS0_18transform_iteratorINS0_17counting_iteratorImlEEZNS1_24adjacent_difference_implIS3_Lb1ELb0EPKjPjN6thrust23THRUST_200600_302600_NS4plusIjEEEE10hipError_tPvRmT2_T3_mT4_P12ihipStream_tbEUlmE_jEESD_NS0_8identityIvEEEESI_SL_SM_mSN_SP_bEUlT_E_NS1_11comp_targetILNS1_3genE4ELNS1_11target_archE910ELNS1_3gpuE8ELNS1_3repE0EEENS1_30default_config_static_selectorELNS0_4arch9wavefront6targetE1EEEvT1_,"axG",@progbits,_ZN7rocprim17ROCPRIM_400000_NS6detail17trampoline_kernelINS0_14default_configENS1_25transform_config_selectorIjLb0EEEZNS1_14transform_implILb0ES3_S5_NS0_18transform_iteratorINS0_17counting_iteratorImlEEZNS1_24adjacent_difference_implIS3_Lb1ELb0EPKjPjN6thrust23THRUST_200600_302600_NS4plusIjEEEE10hipError_tPvRmT2_T3_mT4_P12ihipStream_tbEUlmE_jEESD_NS0_8identityIvEEEESI_SL_SM_mSN_SP_bEUlT_E_NS1_11comp_targetILNS1_3genE4ELNS1_11target_archE910ELNS1_3gpuE8ELNS1_3repE0EEENS1_30default_config_static_selectorELNS0_4arch9wavefront6targetE1EEEvT1_,comdat
.Lfunc_end601:
	.size	_ZN7rocprim17ROCPRIM_400000_NS6detail17trampoline_kernelINS0_14default_configENS1_25transform_config_selectorIjLb0EEEZNS1_14transform_implILb0ES3_S5_NS0_18transform_iteratorINS0_17counting_iteratorImlEEZNS1_24adjacent_difference_implIS3_Lb1ELb0EPKjPjN6thrust23THRUST_200600_302600_NS4plusIjEEEE10hipError_tPvRmT2_T3_mT4_P12ihipStream_tbEUlmE_jEESD_NS0_8identityIvEEEESI_SL_SM_mSN_SP_bEUlT_E_NS1_11comp_targetILNS1_3genE4ELNS1_11target_archE910ELNS1_3gpuE8ELNS1_3repE0EEENS1_30default_config_static_selectorELNS0_4arch9wavefront6targetE1EEEvT1_, .Lfunc_end601-_ZN7rocprim17ROCPRIM_400000_NS6detail17trampoline_kernelINS0_14default_configENS1_25transform_config_selectorIjLb0EEEZNS1_14transform_implILb0ES3_S5_NS0_18transform_iteratorINS0_17counting_iteratorImlEEZNS1_24adjacent_difference_implIS3_Lb1ELb0EPKjPjN6thrust23THRUST_200600_302600_NS4plusIjEEEE10hipError_tPvRmT2_T3_mT4_P12ihipStream_tbEUlmE_jEESD_NS0_8identityIvEEEESI_SL_SM_mSN_SP_bEUlT_E_NS1_11comp_targetILNS1_3genE4ELNS1_11target_archE910ELNS1_3gpuE8ELNS1_3repE0EEENS1_30default_config_static_selectorELNS0_4arch9wavefront6targetE1EEEvT1_
                                        ; -- End function
	.section	.AMDGPU.csdata,"",@progbits
; Kernel info:
; codeLenInByte = 568
; NumSgprs: 22
; NumVgprs: 8
; NumAgprs: 0
; TotalNumVgprs: 8
; ScratchSize: 0
; MemoryBound: 0
; FloatMode: 240
; IeeeMode: 1
; LDSByteSize: 0 bytes/workgroup (compile time only)
; SGPRBlocks: 2
; VGPRBlocks: 0
; NumSGPRsForWavesPerEU: 22
; NumVGPRsForWavesPerEU: 8
; AccumOffset: 8
; Occupancy: 8
; WaveLimiterHint : 0
; COMPUTE_PGM_RSRC2:SCRATCH_EN: 0
; COMPUTE_PGM_RSRC2:USER_SGPR: 6
; COMPUTE_PGM_RSRC2:TRAP_HANDLER: 0
; COMPUTE_PGM_RSRC2:TGID_X_EN: 1
; COMPUTE_PGM_RSRC2:TGID_Y_EN: 0
; COMPUTE_PGM_RSRC2:TGID_Z_EN: 0
; COMPUTE_PGM_RSRC2:TIDIG_COMP_CNT: 0
; COMPUTE_PGM_RSRC3_GFX90A:ACCUM_OFFSET: 1
; COMPUTE_PGM_RSRC3_GFX90A:TG_SPLIT: 0
	.section	.text._ZN7rocprim17ROCPRIM_400000_NS6detail17trampoline_kernelINS0_14default_configENS1_25transform_config_selectorIjLb0EEEZNS1_14transform_implILb0ES3_S5_NS0_18transform_iteratorINS0_17counting_iteratorImlEEZNS1_24adjacent_difference_implIS3_Lb1ELb0EPKjPjN6thrust23THRUST_200600_302600_NS4plusIjEEEE10hipError_tPvRmT2_T3_mT4_P12ihipStream_tbEUlmE_jEESD_NS0_8identityIvEEEESI_SL_SM_mSN_SP_bEUlT_E_NS1_11comp_targetILNS1_3genE3ELNS1_11target_archE908ELNS1_3gpuE7ELNS1_3repE0EEENS1_30default_config_static_selectorELNS0_4arch9wavefront6targetE1EEEvT1_,"axG",@progbits,_ZN7rocprim17ROCPRIM_400000_NS6detail17trampoline_kernelINS0_14default_configENS1_25transform_config_selectorIjLb0EEEZNS1_14transform_implILb0ES3_S5_NS0_18transform_iteratorINS0_17counting_iteratorImlEEZNS1_24adjacent_difference_implIS3_Lb1ELb0EPKjPjN6thrust23THRUST_200600_302600_NS4plusIjEEEE10hipError_tPvRmT2_T3_mT4_P12ihipStream_tbEUlmE_jEESD_NS0_8identityIvEEEESI_SL_SM_mSN_SP_bEUlT_E_NS1_11comp_targetILNS1_3genE3ELNS1_11target_archE908ELNS1_3gpuE7ELNS1_3repE0EEENS1_30default_config_static_selectorELNS0_4arch9wavefront6targetE1EEEvT1_,comdat
	.protected	_ZN7rocprim17ROCPRIM_400000_NS6detail17trampoline_kernelINS0_14default_configENS1_25transform_config_selectorIjLb0EEEZNS1_14transform_implILb0ES3_S5_NS0_18transform_iteratorINS0_17counting_iteratorImlEEZNS1_24adjacent_difference_implIS3_Lb1ELb0EPKjPjN6thrust23THRUST_200600_302600_NS4plusIjEEEE10hipError_tPvRmT2_T3_mT4_P12ihipStream_tbEUlmE_jEESD_NS0_8identityIvEEEESI_SL_SM_mSN_SP_bEUlT_E_NS1_11comp_targetILNS1_3genE3ELNS1_11target_archE908ELNS1_3gpuE7ELNS1_3repE0EEENS1_30default_config_static_selectorELNS0_4arch9wavefront6targetE1EEEvT1_ ; -- Begin function _ZN7rocprim17ROCPRIM_400000_NS6detail17trampoline_kernelINS0_14default_configENS1_25transform_config_selectorIjLb0EEEZNS1_14transform_implILb0ES3_S5_NS0_18transform_iteratorINS0_17counting_iteratorImlEEZNS1_24adjacent_difference_implIS3_Lb1ELb0EPKjPjN6thrust23THRUST_200600_302600_NS4plusIjEEEE10hipError_tPvRmT2_T3_mT4_P12ihipStream_tbEUlmE_jEESD_NS0_8identityIvEEEESI_SL_SM_mSN_SP_bEUlT_E_NS1_11comp_targetILNS1_3genE3ELNS1_11target_archE908ELNS1_3gpuE7ELNS1_3repE0EEENS1_30default_config_static_selectorELNS0_4arch9wavefront6targetE1EEEvT1_
	.globl	_ZN7rocprim17ROCPRIM_400000_NS6detail17trampoline_kernelINS0_14default_configENS1_25transform_config_selectorIjLb0EEEZNS1_14transform_implILb0ES3_S5_NS0_18transform_iteratorINS0_17counting_iteratorImlEEZNS1_24adjacent_difference_implIS3_Lb1ELb0EPKjPjN6thrust23THRUST_200600_302600_NS4plusIjEEEE10hipError_tPvRmT2_T3_mT4_P12ihipStream_tbEUlmE_jEESD_NS0_8identityIvEEEESI_SL_SM_mSN_SP_bEUlT_E_NS1_11comp_targetILNS1_3genE3ELNS1_11target_archE908ELNS1_3gpuE7ELNS1_3repE0EEENS1_30default_config_static_selectorELNS0_4arch9wavefront6targetE1EEEvT1_
	.p2align	8
	.type	_ZN7rocprim17ROCPRIM_400000_NS6detail17trampoline_kernelINS0_14default_configENS1_25transform_config_selectorIjLb0EEEZNS1_14transform_implILb0ES3_S5_NS0_18transform_iteratorINS0_17counting_iteratorImlEEZNS1_24adjacent_difference_implIS3_Lb1ELb0EPKjPjN6thrust23THRUST_200600_302600_NS4plusIjEEEE10hipError_tPvRmT2_T3_mT4_P12ihipStream_tbEUlmE_jEESD_NS0_8identityIvEEEESI_SL_SM_mSN_SP_bEUlT_E_NS1_11comp_targetILNS1_3genE3ELNS1_11target_archE908ELNS1_3gpuE7ELNS1_3repE0EEENS1_30default_config_static_selectorELNS0_4arch9wavefront6targetE1EEEvT1_,@function
_ZN7rocprim17ROCPRIM_400000_NS6detail17trampoline_kernelINS0_14default_configENS1_25transform_config_selectorIjLb0EEEZNS1_14transform_implILb0ES3_S5_NS0_18transform_iteratorINS0_17counting_iteratorImlEEZNS1_24adjacent_difference_implIS3_Lb1ELb0EPKjPjN6thrust23THRUST_200600_302600_NS4plusIjEEEE10hipError_tPvRmT2_T3_mT4_P12ihipStream_tbEUlmE_jEESD_NS0_8identityIvEEEESI_SL_SM_mSN_SP_bEUlT_E_NS1_11comp_targetILNS1_3genE3ELNS1_11target_archE908ELNS1_3gpuE7ELNS1_3repE0EEENS1_30default_config_static_selectorELNS0_4arch9wavefront6targetE1EEEvT1_: ; @_ZN7rocprim17ROCPRIM_400000_NS6detail17trampoline_kernelINS0_14default_configENS1_25transform_config_selectorIjLb0EEEZNS1_14transform_implILb0ES3_S5_NS0_18transform_iteratorINS0_17counting_iteratorImlEEZNS1_24adjacent_difference_implIS3_Lb1ELb0EPKjPjN6thrust23THRUST_200600_302600_NS4plusIjEEEE10hipError_tPvRmT2_T3_mT4_P12ihipStream_tbEUlmE_jEESD_NS0_8identityIvEEEESI_SL_SM_mSN_SP_bEUlT_E_NS1_11comp_targetILNS1_3genE3ELNS1_11target_archE908ELNS1_3gpuE7ELNS1_3repE0EEENS1_30default_config_static_selectorELNS0_4arch9wavefront6targetE1EEEvT1_
; %bb.0:
	.section	.rodata,"a",@progbits
	.p2align	6, 0x0
	.amdhsa_kernel _ZN7rocprim17ROCPRIM_400000_NS6detail17trampoline_kernelINS0_14default_configENS1_25transform_config_selectorIjLb0EEEZNS1_14transform_implILb0ES3_S5_NS0_18transform_iteratorINS0_17counting_iteratorImlEEZNS1_24adjacent_difference_implIS3_Lb1ELb0EPKjPjN6thrust23THRUST_200600_302600_NS4plusIjEEEE10hipError_tPvRmT2_T3_mT4_P12ihipStream_tbEUlmE_jEESD_NS0_8identityIvEEEESI_SL_SM_mSN_SP_bEUlT_E_NS1_11comp_targetILNS1_3genE3ELNS1_11target_archE908ELNS1_3gpuE7ELNS1_3repE0EEENS1_30default_config_static_selectorELNS0_4arch9wavefront6targetE1EEEvT1_
		.amdhsa_group_segment_fixed_size 0
		.amdhsa_private_segment_fixed_size 0
		.amdhsa_kernarg_size 56
		.amdhsa_user_sgpr_count 6
		.amdhsa_user_sgpr_private_segment_buffer 1
		.amdhsa_user_sgpr_dispatch_ptr 0
		.amdhsa_user_sgpr_queue_ptr 0
		.amdhsa_user_sgpr_kernarg_segment_ptr 1
		.amdhsa_user_sgpr_dispatch_id 0
		.amdhsa_user_sgpr_flat_scratch_init 0
		.amdhsa_user_sgpr_kernarg_preload_length 0
		.amdhsa_user_sgpr_kernarg_preload_offset 0
		.amdhsa_user_sgpr_private_segment_size 0
		.amdhsa_uses_dynamic_stack 0
		.amdhsa_system_sgpr_private_segment_wavefront_offset 0
		.amdhsa_system_sgpr_workgroup_id_x 1
		.amdhsa_system_sgpr_workgroup_id_y 0
		.amdhsa_system_sgpr_workgroup_id_z 0
		.amdhsa_system_sgpr_workgroup_info 0
		.amdhsa_system_vgpr_workitem_id 0
		.amdhsa_next_free_vgpr 1
		.amdhsa_next_free_sgpr 0
		.amdhsa_accum_offset 4
		.amdhsa_reserve_vcc 0
		.amdhsa_reserve_flat_scratch 0
		.amdhsa_float_round_mode_32 0
		.amdhsa_float_round_mode_16_64 0
		.amdhsa_float_denorm_mode_32 3
		.amdhsa_float_denorm_mode_16_64 3
		.amdhsa_dx10_clamp 1
		.amdhsa_ieee_mode 1
		.amdhsa_fp16_overflow 0
		.amdhsa_tg_split 0
		.amdhsa_exception_fp_ieee_invalid_op 0
		.amdhsa_exception_fp_denorm_src 0
		.amdhsa_exception_fp_ieee_div_zero 0
		.amdhsa_exception_fp_ieee_overflow 0
		.amdhsa_exception_fp_ieee_underflow 0
		.amdhsa_exception_fp_ieee_inexact 0
		.amdhsa_exception_int_div_zero 0
	.end_amdhsa_kernel
	.section	.text._ZN7rocprim17ROCPRIM_400000_NS6detail17trampoline_kernelINS0_14default_configENS1_25transform_config_selectorIjLb0EEEZNS1_14transform_implILb0ES3_S5_NS0_18transform_iteratorINS0_17counting_iteratorImlEEZNS1_24adjacent_difference_implIS3_Lb1ELb0EPKjPjN6thrust23THRUST_200600_302600_NS4plusIjEEEE10hipError_tPvRmT2_T3_mT4_P12ihipStream_tbEUlmE_jEESD_NS0_8identityIvEEEESI_SL_SM_mSN_SP_bEUlT_E_NS1_11comp_targetILNS1_3genE3ELNS1_11target_archE908ELNS1_3gpuE7ELNS1_3repE0EEENS1_30default_config_static_selectorELNS0_4arch9wavefront6targetE1EEEvT1_,"axG",@progbits,_ZN7rocprim17ROCPRIM_400000_NS6detail17trampoline_kernelINS0_14default_configENS1_25transform_config_selectorIjLb0EEEZNS1_14transform_implILb0ES3_S5_NS0_18transform_iteratorINS0_17counting_iteratorImlEEZNS1_24adjacent_difference_implIS3_Lb1ELb0EPKjPjN6thrust23THRUST_200600_302600_NS4plusIjEEEE10hipError_tPvRmT2_T3_mT4_P12ihipStream_tbEUlmE_jEESD_NS0_8identityIvEEEESI_SL_SM_mSN_SP_bEUlT_E_NS1_11comp_targetILNS1_3genE3ELNS1_11target_archE908ELNS1_3gpuE7ELNS1_3repE0EEENS1_30default_config_static_selectorELNS0_4arch9wavefront6targetE1EEEvT1_,comdat
.Lfunc_end602:
	.size	_ZN7rocprim17ROCPRIM_400000_NS6detail17trampoline_kernelINS0_14default_configENS1_25transform_config_selectorIjLb0EEEZNS1_14transform_implILb0ES3_S5_NS0_18transform_iteratorINS0_17counting_iteratorImlEEZNS1_24adjacent_difference_implIS3_Lb1ELb0EPKjPjN6thrust23THRUST_200600_302600_NS4plusIjEEEE10hipError_tPvRmT2_T3_mT4_P12ihipStream_tbEUlmE_jEESD_NS0_8identityIvEEEESI_SL_SM_mSN_SP_bEUlT_E_NS1_11comp_targetILNS1_3genE3ELNS1_11target_archE908ELNS1_3gpuE7ELNS1_3repE0EEENS1_30default_config_static_selectorELNS0_4arch9wavefront6targetE1EEEvT1_, .Lfunc_end602-_ZN7rocprim17ROCPRIM_400000_NS6detail17trampoline_kernelINS0_14default_configENS1_25transform_config_selectorIjLb0EEEZNS1_14transform_implILb0ES3_S5_NS0_18transform_iteratorINS0_17counting_iteratorImlEEZNS1_24adjacent_difference_implIS3_Lb1ELb0EPKjPjN6thrust23THRUST_200600_302600_NS4plusIjEEEE10hipError_tPvRmT2_T3_mT4_P12ihipStream_tbEUlmE_jEESD_NS0_8identityIvEEEESI_SL_SM_mSN_SP_bEUlT_E_NS1_11comp_targetILNS1_3genE3ELNS1_11target_archE908ELNS1_3gpuE7ELNS1_3repE0EEENS1_30default_config_static_selectorELNS0_4arch9wavefront6targetE1EEEvT1_
                                        ; -- End function
	.section	.AMDGPU.csdata,"",@progbits
; Kernel info:
; codeLenInByte = 0
; NumSgprs: 4
; NumVgprs: 0
; NumAgprs: 0
; TotalNumVgprs: 0
; ScratchSize: 0
; MemoryBound: 0
; FloatMode: 240
; IeeeMode: 1
; LDSByteSize: 0 bytes/workgroup (compile time only)
; SGPRBlocks: 0
; VGPRBlocks: 0
; NumSGPRsForWavesPerEU: 4
; NumVGPRsForWavesPerEU: 1
; AccumOffset: 4
; Occupancy: 8
; WaveLimiterHint : 0
; COMPUTE_PGM_RSRC2:SCRATCH_EN: 0
; COMPUTE_PGM_RSRC2:USER_SGPR: 6
; COMPUTE_PGM_RSRC2:TRAP_HANDLER: 0
; COMPUTE_PGM_RSRC2:TGID_X_EN: 1
; COMPUTE_PGM_RSRC2:TGID_Y_EN: 0
; COMPUTE_PGM_RSRC2:TGID_Z_EN: 0
; COMPUTE_PGM_RSRC2:TIDIG_COMP_CNT: 0
; COMPUTE_PGM_RSRC3_GFX90A:ACCUM_OFFSET: 0
; COMPUTE_PGM_RSRC3_GFX90A:TG_SPLIT: 0
	.section	.text._ZN7rocprim17ROCPRIM_400000_NS6detail17trampoline_kernelINS0_14default_configENS1_25transform_config_selectorIjLb0EEEZNS1_14transform_implILb0ES3_S5_NS0_18transform_iteratorINS0_17counting_iteratorImlEEZNS1_24adjacent_difference_implIS3_Lb1ELb0EPKjPjN6thrust23THRUST_200600_302600_NS4plusIjEEEE10hipError_tPvRmT2_T3_mT4_P12ihipStream_tbEUlmE_jEESD_NS0_8identityIvEEEESI_SL_SM_mSN_SP_bEUlT_E_NS1_11comp_targetILNS1_3genE2ELNS1_11target_archE906ELNS1_3gpuE6ELNS1_3repE0EEENS1_30default_config_static_selectorELNS0_4arch9wavefront6targetE1EEEvT1_,"axG",@progbits,_ZN7rocprim17ROCPRIM_400000_NS6detail17trampoline_kernelINS0_14default_configENS1_25transform_config_selectorIjLb0EEEZNS1_14transform_implILb0ES3_S5_NS0_18transform_iteratorINS0_17counting_iteratorImlEEZNS1_24adjacent_difference_implIS3_Lb1ELb0EPKjPjN6thrust23THRUST_200600_302600_NS4plusIjEEEE10hipError_tPvRmT2_T3_mT4_P12ihipStream_tbEUlmE_jEESD_NS0_8identityIvEEEESI_SL_SM_mSN_SP_bEUlT_E_NS1_11comp_targetILNS1_3genE2ELNS1_11target_archE906ELNS1_3gpuE6ELNS1_3repE0EEENS1_30default_config_static_selectorELNS0_4arch9wavefront6targetE1EEEvT1_,comdat
	.protected	_ZN7rocprim17ROCPRIM_400000_NS6detail17trampoline_kernelINS0_14default_configENS1_25transform_config_selectorIjLb0EEEZNS1_14transform_implILb0ES3_S5_NS0_18transform_iteratorINS0_17counting_iteratorImlEEZNS1_24adjacent_difference_implIS3_Lb1ELb0EPKjPjN6thrust23THRUST_200600_302600_NS4plusIjEEEE10hipError_tPvRmT2_T3_mT4_P12ihipStream_tbEUlmE_jEESD_NS0_8identityIvEEEESI_SL_SM_mSN_SP_bEUlT_E_NS1_11comp_targetILNS1_3genE2ELNS1_11target_archE906ELNS1_3gpuE6ELNS1_3repE0EEENS1_30default_config_static_selectorELNS0_4arch9wavefront6targetE1EEEvT1_ ; -- Begin function _ZN7rocprim17ROCPRIM_400000_NS6detail17trampoline_kernelINS0_14default_configENS1_25transform_config_selectorIjLb0EEEZNS1_14transform_implILb0ES3_S5_NS0_18transform_iteratorINS0_17counting_iteratorImlEEZNS1_24adjacent_difference_implIS3_Lb1ELb0EPKjPjN6thrust23THRUST_200600_302600_NS4plusIjEEEE10hipError_tPvRmT2_T3_mT4_P12ihipStream_tbEUlmE_jEESD_NS0_8identityIvEEEESI_SL_SM_mSN_SP_bEUlT_E_NS1_11comp_targetILNS1_3genE2ELNS1_11target_archE906ELNS1_3gpuE6ELNS1_3repE0EEENS1_30default_config_static_selectorELNS0_4arch9wavefront6targetE1EEEvT1_
	.globl	_ZN7rocprim17ROCPRIM_400000_NS6detail17trampoline_kernelINS0_14default_configENS1_25transform_config_selectorIjLb0EEEZNS1_14transform_implILb0ES3_S5_NS0_18transform_iteratorINS0_17counting_iteratorImlEEZNS1_24adjacent_difference_implIS3_Lb1ELb0EPKjPjN6thrust23THRUST_200600_302600_NS4plusIjEEEE10hipError_tPvRmT2_T3_mT4_P12ihipStream_tbEUlmE_jEESD_NS0_8identityIvEEEESI_SL_SM_mSN_SP_bEUlT_E_NS1_11comp_targetILNS1_3genE2ELNS1_11target_archE906ELNS1_3gpuE6ELNS1_3repE0EEENS1_30default_config_static_selectorELNS0_4arch9wavefront6targetE1EEEvT1_
	.p2align	8
	.type	_ZN7rocprim17ROCPRIM_400000_NS6detail17trampoline_kernelINS0_14default_configENS1_25transform_config_selectorIjLb0EEEZNS1_14transform_implILb0ES3_S5_NS0_18transform_iteratorINS0_17counting_iteratorImlEEZNS1_24adjacent_difference_implIS3_Lb1ELb0EPKjPjN6thrust23THRUST_200600_302600_NS4plusIjEEEE10hipError_tPvRmT2_T3_mT4_P12ihipStream_tbEUlmE_jEESD_NS0_8identityIvEEEESI_SL_SM_mSN_SP_bEUlT_E_NS1_11comp_targetILNS1_3genE2ELNS1_11target_archE906ELNS1_3gpuE6ELNS1_3repE0EEENS1_30default_config_static_selectorELNS0_4arch9wavefront6targetE1EEEvT1_,@function
_ZN7rocprim17ROCPRIM_400000_NS6detail17trampoline_kernelINS0_14default_configENS1_25transform_config_selectorIjLb0EEEZNS1_14transform_implILb0ES3_S5_NS0_18transform_iteratorINS0_17counting_iteratorImlEEZNS1_24adjacent_difference_implIS3_Lb1ELb0EPKjPjN6thrust23THRUST_200600_302600_NS4plusIjEEEE10hipError_tPvRmT2_T3_mT4_P12ihipStream_tbEUlmE_jEESD_NS0_8identityIvEEEESI_SL_SM_mSN_SP_bEUlT_E_NS1_11comp_targetILNS1_3genE2ELNS1_11target_archE906ELNS1_3gpuE6ELNS1_3repE0EEENS1_30default_config_static_selectorELNS0_4arch9wavefront6targetE1EEEvT1_: ; @_ZN7rocprim17ROCPRIM_400000_NS6detail17trampoline_kernelINS0_14default_configENS1_25transform_config_selectorIjLb0EEEZNS1_14transform_implILb0ES3_S5_NS0_18transform_iteratorINS0_17counting_iteratorImlEEZNS1_24adjacent_difference_implIS3_Lb1ELb0EPKjPjN6thrust23THRUST_200600_302600_NS4plusIjEEEE10hipError_tPvRmT2_T3_mT4_P12ihipStream_tbEUlmE_jEESD_NS0_8identityIvEEEESI_SL_SM_mSN_SP_bEUlT_E_NS1_11comp_targetILNS1_3genE2ELNS1_11target_archE906ELNS1_3gpuE6ELNS1_3repE0EEENS1_30default_config_static_selectorELNS0_4arch9wavefront6targetE1EEEvT1_
; %bb.0:
	.section	.rodata,"a",@progbits
	.p2align	6, 0x0
	.amdhsa_kernel _ZN7rocprim17ROCPRIM_400000_NS6detail17trampoline_kernelINS0_14default_configENS1_25transform_config_selectorIjLb0EEEZNS1_14transform_implILb0ES3_S5_NS0_18transform_iteratorINS0_17counting_iteratorImlEEZNS1_24adjacent_difference_implIS3_Lb1ELb0EPKjPjN6thrust23THRUST_200600_302600_NS4plusIjEEEE10hipError_tPvRmT2_T3_mT4_P12ihipStream_tbEUlmE_jEESD_NS0_8identityIvEEEESI_SL_SM_mSN_SP_bEUlT_E_NS1_11comp_targetILNS1_3genE2ELNS1_11target_archE906ELNS1_3gpuE6ELNS1_3repE0EEENS1_30default_config_static_selectorELNS0_4arch9wavefront6targetE1EEEvT1_
		.amdhsa_group_segment_fixed_size 0
		.amdhsa_private_segment_fixed_size 0
		.amdhsa_kernarg_size 56
		.amdhsa_user_sgpr_count 6
		.amdhsa_user_sgpr_private_segment_buffer 1
		.amdhsa_user_sgpr_dispatch_ptr 0
		.amdhsa_user_sgpr_queue_ptr 0
		.amdhsa_user_sgpr_kernarg_segment_ptr 1
		.amdhsa_user_sgpr_dispatch_id 0
		.amdhsa_user_sgpr_flat_scratch_init 0
		.amdhsa_user_sgpr_kernarg_preload_length 0
		.amdhsa_user_sgpr_kernarg_preload_offset 0
		.amdhsa_user_sgpr_private_segment_size 0
		.amdhsa_uses_dynamic_stack 0
		.amdhsa_system_sgpr_private_segment_wavefront_offset 0
		.amdhsa_system_sgpr_workgroup_id_x 1
		.amdhsa_system_sgpr_workgroup_id_y 0
		.amdhsa_system_sgpr_workgroup_id_z 0
		.amdhsa_system_sgpr_workgroup_info 0
		.amdhsa_system_vgpr_workitem_id 0
		.amdhsa_next_free_vgpr 1
		.amdhsa_next_free_sgpr 0
		.amdhsa_accum_offset 4
		.amdhsa_reserve_vcc 0
		.amdhsa_reserve_flat_scratch 0
		.amdhsa_float_round_mode_32 0
		.amdhsa_float_round_mode_16_64 0
		.amdhsa_float_denorm_mode_32 3
		.amdhsa_float_denorm_mode_16_64 3
		.amdhsa_dx10_clamp 1
		.amdhsa_ieee_mode 1
		.amdhsa_fp16_overflow 0
		.amdhsa_tg_split 0
		.amdhsa_exception_fp_ieee_invalid_op 0
		.amdhsa_exception_fp_denorm_src 0
		.amdhsa_exception_fp_ieee_div_zero 0
		.amdhsa_exception_fp_ieee_overflow 0
		.amdhsa_exception_fp_ieee_underflow 0
		.amdhsa_exception_fp_ieee_inexact 0
		.amdhsa_exception_int_div_zero 0
	.end_amdhsa_kernel
	.section	.text._ZN7rocprim17ROCPRIM_400000_NS6detail17trampoline_kernelINS0_14default_configENS1_25transform_config_selectorIjLb0EEEZNS1_14transform_implILb0ES3_S5_NS0_18transform_iteratorINS0_17counting_iteratorImlEEZNS1_24adjacent_difference_implIS3_Lb1ELb0EPKjPjN6thrust23THRUST_200600_302600_NS4plusIjEEEE10hipError_tPvRmT2_T3_mT4_P12ihipStream_tbEUlmE_jEESD_NS0_8identityIvEEEESI_SL_SM_mSN_SP_bEUlT_E_NS1_11comp_targetILNS1_3genE2ELNS1_11target_archE906ELNS1_3gpuE6ELNS1_3repE0EEENS1_30default_config_static_selectorELNS0_4arch9wavefront6targetE1EEEvT1_,"axG",@progbits,_ZN7rocprim17ROCPRIM_400000_NS6detail17trampoline_kernelINS0_14default_configENS1_25transform_config_selectorIjLb0EEEZNS1_14transform_implILb0ES3_S5_NS0_18transform_iteratorINS0_17counting_iteratorImlEEZNS1_24adjacent_difference_implIS3_Lb1ELb0EPKjPjN6thrust23THRUST_200600_302600_NS4plusIjEEEE10hipError_tPvRmT2_T3_mT4_P12ihipStream_tbEUlmE_jEESD_NS0_8identityIvEEEESI_SL_SM_mSN_SP_bEUlT_E_NS1_11comp_targetILNS1_3genE2ELNS1_11target_archE906ELNS1_3gpuE6ELNS1_3repE0EEENS1_30default_config_static_selectorELNS0_4arch9wavefront6targetE1EEEvT1_,comdat
.Lfunc_end603:
	.size	_ZN7rocprim17ROCPRIM_400000_NS6detail17trampoline_kernelINS0_14default_configENS1_25transform_config_selectorIjLb0EEEZNS1_14transform_implILb0ES3_S5_NS0_18transform_iteratorINS0_17counting_iteratorImlEEZNS1_24adjacent_difference_implIS3_Lb1ELb0EPKjPjN6thrust23THRUST_200600_302600_NS4plusIjEEEE10hipError_tPvRmT2_T3_mT4_P12ihipStream_tbEUlmE_jEESD_NS0_8identityIvEEEESI_SL_SM_mSN_SP_bEUlT_E_NS1_11comp_targetILNS1_3genE2ELNS1_11target_archE906ELNS1_3gpuE6ELNS1_3repE0EEENS1_30default_config_static_selectorELNS0_4arch9wavefront6targetE1EEEvT1_, .Lfunc_end603-_ZN7rocprim17ROCPRIM_400000_NS6detail17trampoline_kernelINS0_14default_configENS1_25transform_config_selectorIjLb0EEEZNS1_14transform_implILb0ES3_S5_NS0_18transform_iteratorINS0_17counting_iteratorImlEEZNS1_24adjacent_difference_implIS3_Lb1ELb0EPKjPjN6thrust23THRUST_200600_302600_NS4plusIjEEEE10hipError_tPvRmT2_T3_mT4_P12ihipStream_tbEUlmE_jEESD_NS0_8identityIvEEEESI_SL_SM_mSN_SP_bEUlT_E_NS1_11comp_targetILNS1_3genE2ELNS1_11target_archE906ELNS1_3gpuE6ELNS1_3repE0EEENS1_30default_config_static_selectorELNS0_4arch9wavefront6targetE1EEEvT1_
                                        ; -- End function
	.section	.AMDGPU.csdata,"",@progbits
; Kernel info:
; codeLenInByte = 0
; NumSgprs: 4
; NumVgprs: 0
; NumAgprs: 0
; TotalNumVgprs: 0
; ScratchSize: 0
; MemoryBound: 0
; FloatMode: 240
; IeeeMode: 1
; LDSByteSize: 0 bytes/workgroup (compile time only)
; SGPRBlocks: 0
; VGPRBlocks: 0
; NumSGPRsForWavesPerEU: 4
; NumVGPRsForWavesPerEU: 1
; AccumOffset: 4
; Occupancy: 8
; WaveLimiterHint : 0
; COMPUTE_PGM_RSRC2:SCRATCH_EN: 0
; COMPUTE_PGM_RSRC2:USER_SGPR: 6
; COMPUTE_PGM_RSRC2:TRAP_HANDLER: 0
; COMPUTE_PGM_RSRC2:TGID_X_EN: 1
; COMPUTE_PGM_RSRC2:TGID_Y_EN: 0
; COMPUTE_PGM_RSRC2:TGID_Z_EN: 0
; COMPUTE_PGM_RSRC2:TIDIG_COMP_CNT: 0
; COMPUTE_PGM_RSRC3_GFX90A:ACCUM_OFFSET: 0
; COMPUTE_PGM_RSRC3_GFX90A:TG_SPLIT: 0
	.section	.text._ZN7rocprim17ROCPRIM_400000_NS6detail17trampoline_kernelINS0_14default_configENS1_25transform_config_selectorIjLb0EEEZNS1_14transform_implILb0ES3_S5_NS0_18transform_iteratorINS0_17counting_iteratorImlEEZNS1_24adjacent_difference_implIS3_Lb1ELb0EPKjPjN6thrust23THRUST_200600_302600_NS4plusIjEEEE10hipError_tPvRmT2_T3_mT4_P12ihipStream_tbEUlmE_jEESD_NS0_8identityIvEEEESI_SL_SM_mSN_SP_bEUlT_E_NS1_11comp_targetILNS1_3genE10ELNS1_11target_archE1201ELNS1_3gpuE5ELNS1_3repE0EEENS1_30default_config_static_selectorELNS0_4arch9wavefront6targetE1EEEvT1_,"axG",@progbits,_ZN7rocprim17ROCPRIM_400000_NS6detail17trampoline_kernelINS0_14default_configENS1_25transform_config_selectorIjLb0EEEZNS1_14transform_implILb0ES3_S5_NS0_18transform_iteratorINS0_17counting_iteratorImlEEZNS1_24adjacent_difference_implIS3_Lb1ELb0EPKjPjN6thrust23THRUST_200600_302600_NS4plusIjEEEE10hipError_tPvRmT2_T3_mT4_P12ihipStream_tbEUlmE_jEESD_NS0_8identityIvEEEESI_SL_SM_mSN_SP_bEUlT_E_NS1_11comp_targetILNS1_3genE10ELNS1_11target_archE1201ELNS1_3gpuE5ELNS1_3repE0EEENS1_30default_config_static_selectorELNS0_4arch9wavefront6targetE1EEEvT1_,comdat
	.protected	_ZN7rocprim17ROCPRIM_400000_NS6detail17trampoline_kernelINS0_14default_configENS1_25transform_config_selectorIjLb0EEEZNS1_14transform_implILb0ES3_S5_NS0_18transform_iteratorINS0_17counting_iteratorImlEEZNS1_24adjacent_difference_implIS3_Lb1ELb0EPKjPjN6thrust23THRUST_200600_302600_NS4plusIjEEEE10hipError_tPvRmT2_T3_mT4_P12ihipStream_tbEUlmE_jEESD_NS0_8identityIvEEEESI_SL_SM_mSN_SP_bEUlT_E_NS1_11comp_targetILNS1_3genE10ELNS1_11target_archE1201ELNS1_3gpuE5ELNS1_3repE0EEENS1_30default_config_static_selectorELNS0_4arch9wavefront6targetE1EEEvT1_ ; -- Begin function _ZN7rocprim17ROCPRIM_400000_NS6detail17trampoline_kernelINS0_14default_configENS1_25transform_config_selectorIjLb0EEEZNS1_14transform_implILb0ES3_S5_NS0_18transform_iteratorINS0_17counting_iteratorImlEEZNS1_24adjacent_difference_implIS3_Lb1ELb0EPKjPjN6thrust23THRUST_200600_302600_NS4plusIjEEEE10hipError_tPvRmT2_T3_mT4_P12ihipStream_tbEUlmE_jEESD_NS0_8identityIvEEEESI_SL_SM_mSN_SP_bEUlT_E_NS1_11comp_targetILNS1_3genE10ELNS1_11target_archE1201ELNS1_3gpuE5ELNS1_3repE0EEENS1_30default_config_static_selectorELNS0_4arch9wavefront6targetE1EEEvT1_
	.globl	_ZN7rocprim17ROCPRIM_400000_NS6detail17trampoline_kernelINS0_14default_configENS1_25transform_config_selectorIjLb0EEEZNS1_14transform_implILb0ES3_S5_NS0_18transform_iteratorINS0_17counting_iteratorImlEEZNS1_24adjacent_difference_implIS3_Lb1ELb0EPKjPjN6thrust23THRUST_200600_302600_NS4plusIjEEEE10hipError_tPvRmT2_T3_mT4_P12ihipStream_tbEUlmE_jEESD_NS0_8identityIvEEEESI_SL_SM_mSN_SP_bEUlT_E_NS1_11comp_targetILNS1_3genE10ELNS1_11target_archE1201ELNS1_3gpuE5ELNS1_3repE0EEENS1_30default_config_static_selectorELNS0_4arch9wavefront6targetE1EEEvT1_
	.p2align	8
	.type	_ZN7rocprim17ROCPRIM_400000_NS6detail17trampoline_kernelINS0_14default_configENS1_25transform_config_selectorIjLb0EEEZNS1_14transform_implILb0ES3_S5_NS0_18transform_iteratorINS0_17counting_iteratorImlEEZNS1_24adjacent_difference_implIS3_Lb1ELb0EPKjPjN6thrust23THRUST_200600_302600_NS4plusIjEEEE10hipError_tPvRmT2_T3_mT4_P12ihipStream_tbEUlmE_jEESD_NS0_8identityIvEEEESI_SL_SM_mSN_SP_bEUlT_E_NS1_11comp_targetILNS1_3genE10ELNS1_11target_archE1201ELNS1_3gpuE5ELNS1_3repE0EEENS1_30default_config_static_selectorELNS0_4arch9wavefront6targetE1EEEvT1_,@function
_ZN7rocprim17ROCPRIM_400000_NS6detail17trampoline_kernelINS0_14default_configENS1_25transform_config_selectorIjLb0EEEZNS1_14transform_implILb0ES3_S5_NS0_18transform_iteratorINS0_17counting_iteratorImlEEZNS1_24adjacent_difference_implIS3_Lb1ELb0EPKjPjN6thrust23THRUST_200600_302600_NS4plusIjEEEE10hipError_tPvRmT2_T3_mT4_P12ihipStream_tbEUlmE_jEESD_NS0_8identityIvEEEESI_SL_SM_mSN_SP_bEUlT_E_NS1_11comp_targetILNS1_3genE10ELNS1_11target_archE1201ELNS1_3gpuE5ELNS1_3repE0EEENS1_30default_config_static_selectorELNS0_4arch9wavefront6targetE1EEEvT1_: ; @_ZN7rocprim17ROCPRIM_400000_NS6detail17trampoline_kernelINS0_14default_configENS1_25transform_config_selectorIjLb0EEEZNS1_14transform_implILb0ES3_S5_NS0_18transform_iteratorINS0_17counting_iteratorImlEEZNS1_24adjacent_difference_implIS3_Lb1ELb0EPKjPjN6thrust23THRUST_200600_302600_NS4plusIjEEEE10hipError_tPvRmT2_T3_mT4_P12ihipStream_tbEUlmE_jEESD_NS0_8identityIvEEEESI_SL_SM_mSN_SP_bEUlT_E_NS1_11comp_targetILNS1_3genE10ELNS1_11target_archE1201ELNS1_3gpuE5ELNS1_3repE0EEENS1_30default_config_static_selectorELNS0_4arch9wavefront6targetE1EEEvT1_
; %bb.0:
	.section	.rodata,"a",@progbits
	.p2align	6, 0x0
	.amdhsa_kernel _ZN7rocprim17ROCPRIM_400000_NS6detail17trampoline_kernelINS0_14default_configENS1_25transform_config_selectorIjLb0EEEZNS1_14transform_implILb0ES3_S5_NS0_18transform_iteratorINS0_17counting_iteratorImlEEZNS1_24adjacent_difference_implIS3_Lb1ELb0EPKjPjN6thrust23THRUST_200600_302600_NS4plusIjEEEE10hipError_tPvRmT2_T3_mT4_P12ihipStream_tbEUlmE_jEESD_NS0_8identityIvEEEESI_SL_SM_mSN_SP_bEUlT_E_NS1_11comp_targetILNS1_3genE10ELNS1_11target_archE1201ELNS1_3gpuE5ELNS1_3repE0EEENS1_30default_config_static_selectorELNS0_4arch9wavefront6targetE1EEEvT1_
		.amdhsa_group_segment_fixed_size 0
		.amdhsa_private_segment_fixed_size 0
		.amdhsa_kernarg_size 56
		.amdhsa_user_sgpr_count 6
		.amdhsa_user_sgpr_private_segment_buffer 1
		.amdhsa_user_sgpr_dispatch_ptr 0
		.amdhsa_user_sgpr_queue_ptr 0
		.amdhsa_user_sgpr_kernarg_segment_ptr 1
		.amdhsa_user_sgpr_dispatch_id 0
		.amdhsa_user_sgpr_flat_scratch_init 0
		.amdhsa_user_sgpr_kernarg_preload_length 0
		.amdhsa_user_sgpr_kernarg_preload_offset 0
		.amdhsa_user_sgpr_private_segment_size 0
		.amdhsa_uses_dynamic_stack 0
		.amdhsa_system_sgpr_private_segment_wavefront_offset 0
		.amdhsa_system_sgpr_workgroup_id_x 1
		.amdhsa_system_sgpr_workgroup_id_y 0
		.amdhsa_system_sgpr_workgroup_id_z 0
		.amdhsa_system_sgpr_workgroup_info 0
		.amdhsa_system_vgpr_workitem_id 0
		.amdhsa_next_free_vgpr 1
		.amdhsa_next_free_sgpr 0
		.amdhsa_accum_offset 4
		.amdhsa_reserve_vcc 0
		.amdhsa_reserve_flat_scratch 0
		.amdhsa_float_round_mode_32 0
		.amdhsa_float_round_mode_16_64 0
		.amdhsa_float_denorm_mode_32 3
		.amdhsa_float_denorm_mode_16_64 3
		.amdhsa_dx10_clamp 1
		.amdhsa_ieee_mode 1
		.amdhsa_fp16_overflow 0
		.amdhsa_tg_split 0
		.amdhsa_exception_fp_ieee_invalid_op 0
		.amdhsa_exception_fp_denorm_src 0
		.amdhsa_exception_fp_ieee_div_zero 0
		.amdhsa_exception_fp_ieee_overflow 0
		.amdhsa_exception_fp_ieee_underflow 0
		.amdhsa_exception_fp_ieee_inexact 0
		.amdhsa_exception_int_div_zero 0
	.end_amdhsa_kernel
	.section	.text._ZN7rocprim17ROCPRIM_400000_NS6detail17trampoline_kernelINS0_14default_configENS1_25transform_config_selectorIjLb0EEEZNS1_14transform_implILb0ES3_S5_NS0_18transform_iteratorINS0_17counting_iteratorImlEEZNS1_24adjacent_difference_implIS3_Lb1ELb0EPKjPjN6thrust23THRUST_200600_302600_NS4plusIjEEEE10hipError_tPvRmT2_T3_mT4_P12ihipStream_tbEUlmE_jEESD_NS0_8identityIvEEEESI_SL_SM_mSN_SP_bEUlT_E_NS1_11comp_targetILNS1_3genE10ELNS1_11target_archE1201ELNS1_3gpuE5ELNS1_3repE0EEENS1_30default_config_static_selectorELNS0_4arch9wavefront6targetE1EEEvT1_,"axG",@progbits,_ZN7rocprim17ROCPRIM_400000_NS6detail17trampoline_kernelINS0_14default_configENS1_25transform_config_selectorIjLb0EEEZNS1_14transform_implILb0ES3_S5_NS0_18transform_iteratorINS0_17counting_iteratorImlEEZNS1_24adjacent_difference_implIS3_Lb1ELb0EPKjPjN6thrust23THRUST_200600_302600_NS4plusIjEEEE10hipError_tPvRmT2_T3_mT4_P12ihipStream_tbEUlmE_jEESD_NS0_8identityIvEEEESI_SL_SM_mSN_SP_bEUlT_E_NS1_11comp_targetILNS1_3genE10ELNS1_11target_archE1201ELNS1_3gpuE5ELNS1_3repE0EEENS1_30default_config_static_selectorELNS0_4arch9wavefront6targetE1EEEvT1_,comdat
.Lfunc_end604:
	.size	_ZN7rocprim17ROCPRIM_400000_NS6detail17trampoline_kernelINS0_14default_configENS1_25transform_config_selectorIjLb0EEEZNS1_14transform_implILb0ES3_S5_NS0_18transform_iteratorINS0_17counting_iteratorImlEEZNS1_24adjacent_difference_implIS3_Lb1ELb0EPKjPjN6thrust23THRUST_200600_302600_NS4plusIjEEEE10hipError_tPvRmT2_T3_mT4_P12ihipStream_tbEUlmE_jEESD_NS0_8identityIvEEEESI_SL_SM_mSN_SP_bEUlT_E_NS1_11comp_targetILNS1_3genE10ELNS1_11target_archE1201ELNS1_3gpuE5ELNS1_3repE0EEENS1_30default_config_static_selectorELNS0_4arch9wavefront6targetE1EEEvT1_, .Lfunc_end604-_ZN7rocprim17ROCPRIM_400000_NS6detail17trampoline_kernelINS0_14default_configENS1_25transform_config_selectorIjLb0EEEZNS1_14transform_implILb0ES3_S5_NS0_18transform_iteratorINS0_17counting_iteratorImlEEZNS1_24adjacent_difference_implIS3_Lb1ELb0EPKjPjN6thrust23THRUST_200600_302600_NS4plusIjEEEE10hipError_tPvRmT2_T3_mT4_P12ihipStream_tbEUlmE_jEESD_NS0_8identityIvEEEESI_SL_SM_mSN_SP_bEUlT_E_NS1_11comp_targetILNS1_3genE10ELNS1_11target_archE1201ELNS1_3gpuE5ELNS1_3repE0EEENS1_30default_config_static_selectorELNS0_4arch9wavefront6targetE1EEEvT1_
                                        ; -- End function
	.section	.AMDGPU.csdata,"",@progbits
; Kernel info:
; codeLenInByte = 0
; NumSgprs: 4
; NumVgprs: 0
; NumAgprs: 0
; TotalNumVgprs: 0
; ScratchSize: 0
; MemoryBound: 0
; FloatMode: 240
; IeeeMode: 1
; LDSByteSize: 0 bytes/workgroup (compile time only)
; SGPRBlocks: 0
; VGPRBlocks: 0
; NumSGPRsForWavesPerEU: 4
; NumVGPRsForWavesPerEU: 1
; AccumOffset: 4
; Occupancy: 8
; WaveLimiterHint : 0
; COMPUTE_PGM_RSRC2:SCRATCH_EN: 0
; COMPUTE_PGM_RSRC2:USER_SGPR: 6
; COMPUTE_PGM_RSRC2:TRAP_HANDLER: 0
; COMPUTE_PGM_RSRC2:TGID_X_EN: 1
; COMPUTE_PGM_RSRC2:TGID_Y_EN: 0
; COMPUTE_PGM_RSRC2:TGID_Z_EN: 0
; COMPUTE_PGM_RSRC2:TIDIG_COMP_CNT: 0
; COMPUTE_PGM_RSRC3_GFX90A:ACCUM_OFFSET: 0
; COMPUTE_PGM_RSRC3_GFX90A:TG_SPLIT: 0
	.section	.text._ZN7rocprim17ROCPRIM_400000_NS6detail17trampoline_kernelINS0_14default_configENS1_25transform_config_selectorIjLb0EEEZNS1_14transform_implILb0ES3_S5_NS0_18transform_iteratorINS0_17counting_iteratorImlEEZNS1_24adjacent_difference_implIS3_Lb1ELb0EPKjPjN6thrust23THRUST_200600_302600_NS4plusIjEEEE10hipError_tPvRmT2_T3_mT4_P12ihipStream_tbEUlmE_jEESD_NS0_8identityIvEEEESI_SL_SM_mSN_SP_bEUlT_E_NS1_11comp_targetILNS1_3genE10ELNS1_11target_archE1200ELNS1_3gpuE4ELNS1_3repE0EEENS1_30default_config_static_selectorELNS0_4arch9wavefront6targetE1EEEvT1_,"axG",@progbits,_ZN7rocprim17ROCPRIM_400000_NS6detail17trampoline_kernelINS0_14default_configENS1_25transform_config_selectorIjLb0EEEZNS1_14transform_implILb0ES3_S5_NS0_18transform_iteratorINS0_17counting_iteratorImlEEZNS1_24adjacent_difference_implIS3_Lb1ELb0EPKjPjN6thrust23THRUST_200600_302600_NS4plusIjEEEE10hipError_tPvRmT2_T3_mT4_P12ihipStream_tbEUlmE_jEESD_NS0_8identityIvEEEESI_SL_SM_mSN_SP_bEUlT_E_NS1_11comp_targetILNS1_3genE10ELNS1_11target_archE1200ELNS1_3gpuE4ELNS1_3repE0EEENS1_30default_config_static_selectorELNS0_4arch9wavefront6targetE1EEEvT1_,comdat
	.protected	_ZN7rocprim17ROCPRIM_400000_NS6detail17trampoline_kernelINS0_14default_configENS1_25transform_config_selectorIjLb0EEEZNS1_14transform_implILb0ES3_S5_NS0_18transform_iteratorINS0_17counting_iteratorImlEEZNS1_24adjacent_difference_implIS3_Lb1ELb0EPKjPjN6thrust23THRUST_200600_302600_NS4plusIjEEEE10hipError_tPvRmT2_T3_mT4_P12ihipStream_tbEUlmE_jEESD_NS0_8identityIvEEEESI_SL_SM_mSN_SP_bEUlT_E_NS1_11comp_targetILNS1_3genE10ELNS1_11target_archE1200ELNS1_3gpuE4ELNS1_3repE0EEENS1_30default_config_static_selectorELNS0_4arch9wavefront6targetE1EEEvT1_ ; -- Begin function _ZN7rocprim17ROCPRIM_400000_NS6detail17trampoline_kernelINS0_14default_configENS1_25transform_config_selectorIjLb0EEEZNS1_14transform_implILb0ES3_S5_NS0_18transform_iteratorINS0_17counting_iteratorImlEEZNS1_24adjacent_difference_implIS3_Lb1ELb0EPKjPjN6thrust23THRUST_200600_302600_NS4plusIjEEEE10hipError_tPvRmT2_T3_mT4_P12ihipStream_tbEUlmE_jEESD_NS0_8identityIvEEEESI_SL_SM_mSN_SP_bEUlT_E_NS1_11comp_targetILNS1_3genE10ELNS1_11target_archE1200ELNS1_3gpuE4ELNS1_3repE0EEENS1_30default_config_static_selectorELNS0_4arch9wavefront6targetE1EEEvT1_
	.globl	_ZN7rocprim17ROCPRIM_400000_NS6detail17trampoline_kernelINS0_14default_configENS1_25transform_config_selectorIjLb0EEEZNS1_14transform_implILb0ES3_S5_NS0_18transform_iteratorINS0_17counting_iteratorImlEEZNS1_24adjacent_difference_implIS3_Lb1ELb0EPKjPjN6thrust23THRUST_200600_302600_NS4plusIjEEEE10hipError_tPvRmT2_T3_mT4_P12ihipStream_tbEUlmE_jEESD_NS0_8identityIvEEEESI_SL_SM_mSN_SP_bEUlT_E_NS1_11comp_targetILNS1_3genE10ELNS1_11target_archE1200ELNS1_3gpuE4ELNS1_3repE0EEENS1_30default_config_static_selectorELNS0_4arch9wavefront6targetE1EEEvT1_
	.p2align	8
	.type	_ZN7rocprim17ROCPRIM_400000_NS6detail17trampoline_kernelINS0_14default_configENS1_25transform_config_selectorIjLb0EEEZNS1_14transform_implILb0ES3_S5_NS0_18transform_iteratorINS0_17counting_iteratorImlEEZNS1_24adjacent_difference_implIS3_Lb1ELb0EPKjPjN6thrust23THRUST_200600_302600_NS4plusIjEEEE10hipError_tPvRmT2_T3_mT4_P12ihipStream_tbEUlmE_jEESD_NS0_8identityIvEEEESI_SL_SM_mSN_SP_bEUlT_E_NS1_11comp_targetILNS1_3genE10ELNS1_11target_archE1200ELNS1_3gpuE4ELNS1_3repE0EEENS1_30default_config_static_selectorELNS0_4arch9wavefront6targetE1EEEvT1_,@function
_ZN7rocprim17ROCPRIM_400000_NS6detail17trampoline_kernelINS0_14default_configENS1_25transform_config_selectorIjLb0EEEZNS1_14transform_implILb0ES3_S5_NS0_18transform_iteratorINS0_17counting_iteratorImlEEZNS1_24adjacent_difference_implIS3_Lb1ELb0EPKjPjN6thrust23THRUST_200600_302600_NS4plusIjEEEE10hipError_tPvRmT2_T3_mT4_P12ihipStream_tbEUlmE_jEESD_NS0_8identityIvEEEESI_SL_SM_mSN_SP_bEUlT_E_NS1_11comp_targetILNS1_3genE10ELNS1_11target_archE1200ELNS1_3gpuE4ELNS1_3repE0EEENS1_30default_config_static_selectorELNS0_4arch9wavefront6targetE1EEEvT1_: ; @_ZN7rocprim17ROCPRIM_400000_NS6detail17trampoline_kernelINS0_14default_configENS1_25transform_config_selectorIjLb0EEEZNS1_14transform_implILb0ES3_S5_NS0_18transform_iteratorINS0_17counting_iteratorImlEEZNS1_24adjacent_difference_implIS3_Lb1ELb0EPKjPjN6thrust23THRUST_200600_302600_NS4plusIjEEEE10hipError_tPvRmT2_T3_mT4_P12ihipStream_tbEUlmE_jEESD_NS0_8identityIvEEEESI_SL_SM_mSN_SP_bEUlT_E_NS1_11comp_targetILNS1_3genE10ELNS1_11target_archE1200ELNS1_3gpuE4ELNS1_3repE0EEENS1_30default_config_static_selectorELNS0_4arch9wavefront6targetE1EEEvT1_
; %bb.0:
	.section	.rodata,"a",@progbits
	.p2align	6, 0x0
	.amdhsa_kernel _ZN7rocprim17ROCPRIM_400000_NS6detail17trampoline_kernelINS0_14default_configENS1_25transform_config_selectorIjLb0EEEZNS1_14transform_implILb0ES3_S5_NS0_18transform_iteratorINS0_17counting_iteratorImlEEZNS1_24adjacent_difference_implIS3_Lb1ELb0EPKjPjN6thrust23THRUST_200600_302600_NS4plusIjEEEE10hipError_tPvRmT2_T3_mT4_P12ihipStream_tbEUlmE_jEESD_NS0_8identityIvEEEESI_SL_SM_mSN_SP_bEUlT_E_NS1_11comp_targetILNS1_3genE10ELNS1_11target_archE1200ELNS1_3gpuE4ELNS1_3repE0EEENS1_30default_config_static_selectorELNS0_4arch9wavefront6targetE1EEEvT1_
		.amdhsa_group_segment_fixed_size 0
		.amdhsa_private_segment_fixed_size 0
		.amdhsa_kernarg_size 56
		.amdhsa_user_sgpr_count 6
		.amdhsa_user_sgpr_private_segment_buffer 1
		.amdhsa_user_sgpr_dispatch_ptr 0
		.amdhsa_user_sgpr_queue_ptr 0
		.amdhsa_user_sgpr_kernarg_segment_ptr 1
		.amdhsa_user_sgpr_dispatch_id 0
		.amdhsa_user_sgpr_flat_scratch_init 0
		.amdhsa_user_sgpr_kernarg_preload_length 0
		.amdhsa_user_sgpr_kernarg_preload_offset 0
		.amdhsa_user_sgpr_private_segment_size 0
		.amdhsa_uses_dynamic_stack 0
		.amdhsa_system_sgpr_private_segment_wavefront_offset 0
		.amdhsa_system_sgpr_workgroup_id_x 1
		.amdhsa_system_sgpr_workgroup_id_y 0
		.amdhsa_system_sgpr_workgroup_id_z 0
		.amdhsa_system_sgpr_workgroup_info 0
		.amdhsa_system_vgpr_workitem_id 0
		.amdhsa_next_free_vgpr 1
		.amdhsa_next_free_sgpr 0
		.amdhsa_accum_offset 4
		.amdhsa_reserve_vcc 0
		.amdhsa_reserve_flat_scratch 0
		.amdhsa_float_round_mode_32 0
		.amdhsa_float_round_mode_16_64 0
		.amdhsa_float_denorm_mode_32 3
		.amdhsa_float_denorm_mode_16_64 3
		.amdhsa_dx10_clamp 1
		.amdhsa_ieee_mode 1
		.amdhsa_fp16_overflow 0
		.amdhsa_tg_split 0
		.amdhsa_exception_fp_ieee_invalid_op 0
		.amdhsa_exception_fp_denorm_src 0
		.amdhsa_exception_fp_ieee_div_zero 0
		.amdhsa_exception_fp_ieee_overflow 0
		.amdhsa_exception_fp_ieee_underflow 0
		.amdhsa_exception_fp_ieee_inexact 0
		.amdhsa_exception_int_div_zero 0
	.end_amdhsa_kernel
	.section	.text._ZN7rocprim17ROCPRIM_400000_NS6detail17trampoline_kernelINS0_14default_configENS1_25transform_config_selectorIjLb0EEEZNS1_14transform_implILb0ES3_S5_NS0_18transform_iteratorINS0_17counting_iteratorImlEEZNS1_24adjacent_difference_implIS3_Lb1ELb0EPKjPjN6thrust23THRUST_200600_302600_NS4plusIjEEEE10hipError_tPvRmT2_T3_mT4_P12ihipStream_tbEUlmE_jEESD_NS0_8identityIvEEEESI_SL_SM_mSN_SP_bEUlT_E_NS1_11comp_targetILNS1_3genE10ELNS1_11target_archE1200ELNS1_3gpuE4ELNS1_3repE0EEENS1_30default_config_static_selectorELNS0_4arch9wavefront6targetE1EEEvT1_,"axG",@progbits,_ZN7rocprim17ROCPRIM_400000_NS6detail17trampoline_kernelINS0_14default_configENS1_25transform_config_selectorIjLb0EEEZNS1_14transform_implILb0ES3_S5_NS0_18transform_iteratorINS0_17counting_iteratorImlEEZNS1_24adjacent_difference_implIS3_Lb1ELb0EPKjPjN6thrust23THRUST_200600_302600_NS4plusIjEEEE10hipError_tPvRmT2_T3_mT4_P12ihipStream_tbEUlmE_jEESD_NS0_8identityIvEEEESI_SL_SM_mSN_SP_bEUlT_E_NS1_11comp_targetILNS1_3genE10ELNS1_11target_archE1200ELNS1_3gpuE4ELNS1_3repE0EEENS1_30default_config_static_selectorELNS0_4arch9wavefront6targetE1EEEvT1_,comdat
.Lfunc_end605:
	.size	_ZN7rocprim17ROCPRIM_400000_NS6detail17trampoline_kernelINS0_14default_configENS1_25transform_config_selectorIjLb0EEEZNS1_14transform_implILb0ES3_S5_NS0_18transform_iteratorINS0_17counting_iteratorImlEEZNS1_24adjacent_difference_implIS3_Lb1ELb0EPKjPjN6thrust23THRUST_200600_302600_NS4plusIjEEEE10hipError_tPvRmT2_T3_mT4_P12ihipStream_tbEUlmE_jEESD_NS0_8identityIvEEEESI_SL_SM_mSN_SP_bEUlT_E_NS1_11comp_targetILNS1_3genE10ELNS1_11target_archE1200ELNS1_3gpuE4ELNS1_3repE0EEENS1_30default_config_static_selectorELNS0_4arch9wavefront6targetE1EEEvT1_, .Lfunc_end605-_ZN7rocprim17ROCPRIM_400000_NS6detail17trampoline_kernelINS0_14default_configENS1_25transform_config_selectorIjLb0EEEZNS1_14transform_implILb0ES3_S5_NS0_18transform_iteratorINS0_17counting_iteratorImlEEZNS1_24adjacent_difference_implIS3_Lb1ELb0EPKjPjN6thrust23THRUST_200600_302600_NS4plusIjEEEE10hipError_tPvRmT2_T3_mT4_P12ihipStream_tbEUlmE_jEESD_NS0_8identityIvEEEESI_SL_SM_mSN_SP_bEUlT_E_NS1_11comp_targetILNS1_3genE10ELNS1_11target_archE1200ELNS1_3gpuE4ELNS1_3repE0EEENS1_30default_config_static_selectorELNS0_4arch9wavefront6targetE1EEEvT1_
                                        ; -- End function
	.section	.AMDGPU.csdata,"",@progbits
; Kernel info:
; codeLenInByte = 0
; NumSgprs: 4
; NumVgprs: 0
; NumAgprs: 0
; TotalNumVgprs: 0
; ScratchSize: 0
; MemoryBound: 0
; FloatMode: 240
; IeeeMode: 1
; LDSByteSize: 0 bytes/workgroup (compile time only)
; SGPRBlocks: 0
; VGPRBlocks: 0
; NumSGPRsForWavesPerEU: 4
; NumVGPRsForWavesPerEU: 1
; AccumOffset: 4
; Occupancy: 8
; WaveLimiterHint : 0
; COMPUTE_PGM_RSRC2:SCRATCH_EN: 0
; COMPUTE_PGM_RSRC2:USER_SGPR: 6
; COMPUTE_PGM_RSRC2:TRAP_HANDLER: 0
; COMPUTE_PGM_RSRC2:TGID_X_EN: 1
; COMPUTE_PGM_RSRC2:TGID_Y_EN: 0
; COMPUTE_PGM_RSRC2:TGID_Z_EN: 0
; COMPUTE_PGM_RSRC2:TIDIG_COMP_CNT: 0
; COMPUTE_PGM_RSRC3_GFX90A:ACCUM_OFFSET: 0
; COMPUTE_PGM_RSRC3_GFX90A:TG_SPLIT: 0
	.section	.text._ZN7rocprim17ROCPRIM_400000_NS6detail17trampoline_kernelINS0_14default_configENS1_25transform_config_selectorIjLb0EEEZNS1_14transform_implILb0ES3_S5_NS0_18transform_iteratorINS0_17counting_iteratorImlEEZNS1_24adjacent_difference_implIS3_Lb1ELb0EPKjPjN6thrust23THRUST_200600_302600_NS4plusIjEEEE10hipError_tPvRmT2_T3_mT4_P12ihipStream_tbEUlmE_jEESD_NS0_8identityIvEEEESI_SL_SM_mSN_SP_bEUlT_E_NS1_11comp_targetILNS1_3genE9ELNS1_11target_archE1100ELNS1_3gpuE3ELNS1_3repE0EEENS1_30default_config_static_selectorELNS0_4arch9wavefront6targetE1EEEvT1_,"axG",@progbits,_ZN7rocprim17ROCPRIM_400000_NS6detail17trampoline_kernelINS0_14default_configENS1_25transform_config_selectorIjLb0EEEZNS1_14transform_implILb0ES3_S5_NS0_18transform_iteratorINS0_17counting_iteratorImlEEZNS1_24adjacent_difference_implIS3_Lb1ELb0EPKjPjN6thrust23THRUST_200600_302600_NS4plusIjEEEE10hipError_tPvRmT2_T3_mT4_P12ihipStream_tbEUlmE_jEESD_NS0_8identityIvEEEESI_SL_SM_mSN_SP_bEUlT_E_NS1_11comp_targetILNS1_3genE9ELNS1_11target_archE1100ELNS1_3gpuE3ELNS1_3repE0EEENS1_30default_config_static_selectorELNS0_4arch9wavefront6targetE1EEEvT1_,comdat
	.protected	_ZN7rocprim17ROCPRIM_400000_NS6detail17trampoline_kernelINS0_14default_configENS1_25transform_config_selectorIjLb0EEEZNS1_14transform_implILb0ES3_S5_NS0_18transform_iteratorINS0_17counting_iteratorImlEEZNS1_24adjacent_difference_implIS3_Lb1ELb0EPKjPjN6thrust23THRUST_200600_302600_NS4plusIjEEEE10hipError_tPvRmT2_T3_mT4_P12ihipStream_tbEUlmE_jEESD_NS0_8identityIvEEEESI_SL_SM_mSN_SP_bEUlT_E_NS1_11comp_targetILNS1_3genE9ELNS1_11target_archE1100ELNS1_3gpuE3ELNS1_3repE0EEENS1_30default_config_static_selectorELNS0_4arch9wavefront6targetE1EEEvT1_ ; -- Begin function _ZN7rocprim17ROCPRIM_400000_NS6detail17trampoline_kernelINS0_14default_configENS1_25transform_config_selectorIjLb0EEEZNS1_14transform_implILb0ES3_S5_NS0_18transform_iteratorINS0_17counting_iteratorImlEEZNS1_24adjacent_difference_implIS3_Lb1ELb0EPKjPjN6thrust23THRUST_200600_302600_NS4plusIjEEEE10hipError_tPvRmT2_T3_mT4_P12ihipStream_tbEUlmE_jEESD_NS0_8identityIvEEEESI_SL_SM_mSN_SP_bEUlT_E_NS1_11comp_targetILNS1_3genE9ELNS1_11target_archE1100ELNS1_3gpuE3ELNS1_3repE0EEENS1_30default_config_static_selectorELNS0_4arch9wavefront6targetE1EEEvT1_
	.globl	_ZN7rocprim17ROCPRIM_400000_NS6detail17trampoline_kernelINS0_14default_configENS1_25transform_config_selectorIjLb0EEEZNS1_14transform_implILb0ES3_S5_NS0_18transform_iteratorINS0_17counting_iteratorImlEEZNS1_24adjacent_difference_implIS3_Lb1ELb0EPKjPjN6thrust23THRUST_200600_302600_NS4plusIjEEEE10hipError_tPvRmT2_T3_mT4_P12ihipStream_tbEUlmE_jEESD_NS0_8identityIvEEEESI_SL_SM_mSN_SP_bEUlT_E_NS1_11comp_targetILNS1_3genE9ELNS1_11target_archE1100ELNS1_3gpuE3ELNS1_3repE0EEENS1_30default_config_static_selectorELNS0_4arch9wavefront6targetE1EEEvT1_
	.p2align	8
	.type	_ZN7rocprim17ROCPRIM_400000_NS6detail17trampoline_kernelINS0_14default_configENS1_25transform_config_selectorIjLb0EEEZNS1_14transform_implILb0ES3_S5_NS0_18transform_iteratorINS0_17counting_iteratorImlEEZNS1_24adjacent_difference_implIS3_Lb1ELb0EPKjPjN6thrust23THRUST_200600_302600_NS4plusIjEEEE10hipError_tPvRmT2_T3_mT4_P12ihipStream_tbEUlmE_jEESD_NS0_8identityIvEEEESI_SL_SM_mSN_SP_bEUlT_E_NS1_11comp_targetILNS1_3genE9ELNS1_11target_archE1100ELNS1_3gpuE3ELNS1_3repE0EEENS1_30default_config_static_selectorELNS0_4arch9wavefront6targetE1EEEvT1_,@function
_ZN7rocprim17ROCPRIM_400000_NS6detail17trampoline_kernelINS0_14default_configENS1_25transform_config_selectorIjLb0EEEZNS1_14transform_implILb0ES3_S5_NS0_18transform_iteratorINS0_17counting_iteratorImlEEZNS1_24adjacent_difference_implIS3_Lb1ELb0EPKjPjN6thrust23THRUST_200600_302600_NS4plusIjEEEE10hipError_tPvRmT2_T3_mT4_P12ihipStream_tbEUlmE_jEESD_NS0_8identityIvEEEESI_SL_SM_mSN_SP_bEUlT_E_NS1_11comp_targetILNS1_3genE9ELNS1_11target_archE1100ELNS1_3gpuE3ELNS1_3repE0EEENS1_30default_config_static_selectorELNS0_4arch9wavefront6targetE1EEEvT1_: ; @_ZN7rocprim17ROCPRIM_400000_NS6detail17trampoline_kernelINS0_14default_configENS1_25transform_config_selectorIjLb0EEEZNS1_14transform_implILb0ES3_S5_NS0_18transform_iteratorINS0_17counting_iteratorImlEEZNS1_24adjacent_difference_implIS3_Lb1ELb0EPKjPjN6thrust23THRUST_200600_302600_NS4plusIjEEEE10hipError_tPvRmT2_T3_mT4_P12ihipStream_tbEUlmE_jEESD_NS0_8identityIvEEEESI_SL_SM_mSN_SP_bEUlT_E_NS1_11comp_targetILNS1_3genE9ELNS1_11target_archE1100ELNS1_3gpuE3ELNS1_3repE0EEENS1_30default_config_static_selectorELNS0_4arch9wavefront6targetE1EEEvT1_
; %bb.0:
	.section	.rodata,"a",@progbits
	.p2align	6, 0x0
	.amdhsa_kernel _ZN7rocprim17ROCPRIM_400000_NS6detail17trampoline_kernelINS0_14default_configENS1_25transform_config_selectorIjLb0EEEZNS1_14transform_implILb0ES3_S5_NS0_18transform_iteratorINS0_17counting_iteratorImlEEZNS1_24adjacent_difference_implIS3_Lb1ELb0EPKjPjN6thrust23THRUST_200600_302600_NS4plusIjEEEE10hipError_tPvRmT2_T3_mT4_P12ihipStream_tbEUlmE_jEESD_NS0_8identityIvEEEESI_SL_SM_mSN_SP_bEUlT_E_NS1_11comp_targetILNS1_3genE9ELNS1_11target_archE1100ELNS1_3gpuE3ELNS1_3repE0EEENS1_30default_config_static_selectorELNS0_4arch9wavefront6targetE1EEEvT1_
		.amdhsa_group_segment_fixed_size 0
		.amdhsa_private_segment_fixed_size 0
		.amdhsa_kernarg_size 56
		.amdhsa_user_sgpr_count 6
		.amdhsa_user_sgpr_private_segment_buffer 1
		.amdhsa_user_sgpr_dispatch_ptr 0
		.amdhsa_user_sgpr_queue_ptr 0
		.amdhsa_user_sgpr_kernarg_segment_ptr 1
		.amdhsa_user_sgpr_dispatch_id 0
		.amdhsa_user_sgpr_flat_scratch_init 0
		.amdhsa_user_sgpr_kernarg_preload_length 0
		.amdhsa_user_sgpr_kernarg_preload_offset 0
		.amdhsa_user_sgpr_private_segment_size 0
		.amdhsa_uses_dynamic_stack 0
		.amdhsa_system_sgpr_private_segment_wavefront_offset 0
		.amdhsa_system_sgpr_workgroup_id_x 1
		.amdhsa_system_sgpr_workgroup_id_y 0
		.amdhsa_system_sgpr_workgroup_id_z 0
		.amdhsa_system_sgpr_workgroup_info 0
		.amdhsa_system_vgpr_workitem_id 0
		.amdhsa_next_free_vgpr 1
		.amdhsa_next_free_sgpr 0
		.amdhsa_accum_offset 4
		.amdhsa_reserve_vcc 0
		.amdhsa_reserve_flat_scratch 0
		.amdhsa_float_round_mode_32 0
		.amdhsa_float_round_mode_16_64 0
		.amdhsa_float_denorm_mode_32 3
		.amdhsa_float_denorm_mode_16_64 3
		.amdhsa_dx10_clamp 1
		.amdhsa_ieee_mode 1
		.amdhsa_fp16_overflow 0
		.amdhsa_tg_split 0
		.amdhsa_exception_fp_ieee_invalid_op 0
		.amdhsa_exception_fp_denorm_src 0
		.amdhsa_exception_fp_ieee_div_zero 0
		.amdhsa_exception_fp_ieee_overflow 0
		.amdhsa_exception_fp_ieee_underflow 0
		.amdhsa_exception_fp_ieee_inexact 0
		.amdhsa_exception_int_div_zero 0
	.end_amdhsa_kernel
	.section	.text._ZN7rocprim17ROCPRIM_400000_NS6detail17trampoline_kernelINS0_14default_configENS1_25transform_config_selectorIjLb0EEEZNS1_14transform_implILb0ES3_S5_NS0_18transform_iteratorINS0_17counting_iteratorImlEEZNS1_24adjacent_difference_implIS3_Lb1ELb0EPKjPjN6thrust23THRUST_200600_302600_NS4plusIjEEEE10hipError_tPvRmT2_T3_mT4_P12ihipStream_tbEUlmE_jEESD_NS0_8identityIvEEEESI_SL_SM_mSN_SP_bEUlT_E_NS1_11comp_targetILNS1_3genE9ELNS1_11target_archE1100ELNS1_3gpuE3ELNS1_3repE0EEENS1_30default_config_static_selectorELNS0_4arch9wavefront6targetE1EEEvT1_,"axG",@progbits,_ZN7rocprim17ROCPRIM_400000_NS6detail17trampoline_kernelINS0_14default_configENS1_25transform_config_selectorIjLb0EEEZNS1_14transform_implILb0ES3_S5_NS0_18transform_iteratorINS0_17counting_iteratorImlEEZNS1_24adjacent_difference_implIS3_Lb1ELb0EPKjPjN6thrust23THRUST_200600_302600_NS4plusIjEEEE10hipError_tPvRmT2_T3_mT4_P12ihipStream_tbEUlmE_jEESD_NS0_8identityIvEEEESI_SL_SM_mSN_SP_bEUlT_E_NS1_11comp_targetILNS1_3genE9ELNS1_11target_archE1100ELNS1_3gpuE3ELNS1_3repE0EEENS1_30default_config_static_selectorELNS0_4arch9wavefront6targetE1EEEvT1_,comdat
.Lfunc_end606:
	.size	_ZN7rocprim17ROCPRIM_400000_NS6detail17trampoline_kernelINS0_14default_configENS1_25transform_config_selectorIjLb0EEEZNS1_14transform_implILb0ES3_S5_NS0_18transform_iteratorINS0_17counting_iteratorImlEEZNS1_24adjacent_difference_implIS3_Lb1ELb0EPKjPjN6thrust23THRUST_200600_302600_NS4plusIjEEEE10hipError_tPvRmT2_T3_mT4_P12ihipStream_tbEUlmE_jEESD_NS0_8identityIvEEEESI_SL_SM_mSN_SP_bEUlT_E_NS1_11comp_targetILNS1_3genE9ELNS1_11target_archE1100ELNS1_3gpuE3ELNS1_3repE0EEENS1_30default_config_static_selectorELNS0_4arch9wavefront6targetE1EEEvT1_, .Lfunc_end606-_ZN7rocprim17ROCPRIM_400000_NS6detail17trampoline_kernelINS0_14default_configENS1_25transform_config_selectorIjLb0EEEZNS1_14transform_implILb0ES3_S5_NS0_18transform_iteratorINS0_17counting_iteratorImlEEZNS1_24adjacent_difference_implIS3_Lb1ELb0EPKjPjN6thrust23THRUST_200600_302600_NS4plusIjEEEE10hipError_tPvRmT2_T3_mT4_P12ihipStream_tbEUlmE_jEESD_NS0_8identityIvEEEESI_SL_SM_mSN_SP_bEUlT_E_NS1_11comp_targetILNS1_3genE9ELNS1_11target_archE1100ELNS1_3gpuE3ELNS1_3repE0EEENS1_30default_config_static_selectorELNS0_4arch9wavefront6targetE1EEEvT1_
                                        ; -- End function
	.section	.AMDGPU.csdata,"",@progbits
; Kernel info:
; codeLenInByte = 0
; NumSgprs: 4
; NumVgprs: 0
; NumAgprs: 0
; TotalNumVgprs: 0
; ScratchSize: 0
; MemoryBound: 0
; FloatMode: 240
; IeeeMode: 1
; LDSByteSize: 0 bytes/workgroup (compile time only)
; SGPRBlocks: 0
; VGPRBlocks: 0
; NumSGPRsForWavesPerEU: 4
; NumVGPRsForWavesPerEU: 1
; AccumOffset: 4
; Occupancy: 8
; WaveLimiterHint : 0
; COMPUTE_PGM_RSRC2:SCRATCH_EN: 0
; COMPUTE_PGM_RSRC2:USER_SGPR: 6
; COMPUTE_PGM_RSRC2:TRAP_HANDLER: 0
; COMPUTE_PGM_RSRC2:TGID_X_EN: 1
; COMPUTE_PGM_RSRC2:TGID_Y_EN: 0
; COMPUTE_PGM_RSRC2:TGID_Z_EN: 0
; COMPUTE_PGM_RSRC2:TIDIG_COMP_CNT: 0
; COMPUTE_PGM_RSRC3_GFX90A:ACCUM_OFFSET: 0
; COMPUTE_PGM_RSRC3_GFX90A:TG_SPLIT: 0
	.section	.text._ZN7rocprim17ROCPRIM_400000_NS6detail17trampoline_kernelINS0_14default_configENS1_25transform_config_selectorIjLb0EEEZNS1_14transform_implILb0ES3_S5_NS0_18transform_iteratorINS0_17counting_iteratorImlEEZNS1_24adjacent_difference_implIS3_Lb1ELb0EPKjPjN6thrust23THRUST_200600_302600_NS4plusIjEEEE10hipError_tPvRmT2_T3_mT4_P12ihipStream_tbEUlmE_jEESD_NS0_8identityIvEEEESI_SL_SM_mSN_SP_bEUlT_E_NS1_11comp_targetILNS1_3genE8ELNS1_11target_archE1030ELNS1_3gpuE2ELNS1_3repE0EEENS1_30default_config_static_selectorELNS0_4arch9wavefront6targetE1EEEvT1_,"axG",@progbits,_ZN7rocprim17ROCPRIM_400000_NS6detail17trampoline_kernelINS0_14default_configENS1_25transform_config_selectorIjLb0EEEZNS1_14transform_implILb0ES3_S5_NS0_18transform_iteratorINS0_17counting_iteratorImlEEZNS1_24adjacent_difference_implIS3_Lb1ELb0EPKjPjN6thrust23THRUST_200600_302600_NS4plusIjEEEE10hipError_tPvRmT2_T3_mT4_P12ihipStream_tbEUlmE_jEESD_NS0_8identityIvEEEESI_SL_SM_mSN_SP_bEUlT_E_NS1_11comp_targetILNS1_3genE8ELNS1_11target_archE1030ELNS1_3gpuE2ELNS1_3repE0EEENS1_30default_config_static_selectorELNS0_4arch9wavefront6targetE1EEEvT1_,comdat
	.protected	_ZN7rocprim17ROCPRIM_400000_NS6detail17trampoline_kernelINS0_14default_configENS1_25transform_config_selectorIjLb0EEEZNS1_14transform_implILb0ES3_S5_NS0_18transform_iteratorINS0_17counting_iteratorImlEEZNS1_24adjacent_difference_implIS3_Lb1ELb0EPKjPjN6thrust23THRUST_200600_302600_NS4plusIjEEEE10hipError_tPvRmT2_T3_mT4_P12ihipStream_tbEUlmE_jEESD_NS0_8identityIvEEEESI_SL_SM_mSN_SP_bEUlT_E_NS1_11comp_targetILNS1_3genE8ELNS1_11target_archE1030ELNS1_3gpuE2ELNS1_3repE0EEENS1_30default_config_static_selectorELNS0_4arch9wavefront6targetE1EEEvT1_ ; -- Begin function _ZN7rocprim17ROCPRIM_400000_NS6detail17trampoline_kernelINS0_14default_configENS1_25transform_config_selectorIjLb0EEEZNS1_14transform_implILb0ES3_S5_NS0_18transform_iteratorINS0_17counting_iteratorImlEEZNS1_24adjacent_difference_implIS3_Lb1ELb0EPKjPjN6thrust23THRUST_200600_302600_NS4plusIjEEEE10hipError_tPvRmT2_T3_mT4_P12ihipStream_tbEUlmE_jEESD_NS0_8identityIvEEEESI_SL_SM_mSN_SP_bEUlT_E_NS1_11comp_targetILNS1_3genE8ELNS1_11target_archE1030ELNS1_3gpuE2ELNS1_3repE0EEENS1_30default_config_static_selectorELNS0_4arch9wavefront6targetE1EEEvT1_
	.globl	_ZN7rocprim17ROCPRIM_400000_NS6detail17trampoline_kernelINS0_14default_configENS1_25transform_config_selectorIjLb0EEEZNS1_14transform_implILb0ES3_S5_NS0_18transform_iteratorINS0_17counting_iteratorImlEEZNS1_24adjacent_difference_implIS3_Lb1ELb0EPKjPjN6thrust23THRUST_200600_302600_NS4plusIjEEEE10hipError_tPvRmT2_T3_mT4_P12ihipStream_tbEUlmE_jEESD_NS0_8identityIvEEEESI_SL_SM_mSN_SP_bEUlT_E_NS1_11comp_targetILNS1_3genE8ELNS1_11target_archE1030ELNS1_3gpuE2ELNS1_3repE0EEENS1_30default_config_static_selectorELNS0_4arch9wavefront6targetE1EEEvT1_
	.p2align	8
	.type	_ZN7rocprim17ROCPRIM_400000_NS6detail17trampoline_kernelINS0_14default_configENS1_25transform_config_selectorIjLb0EEEZNS1_14transform_implILb0ES3_S5_NS0_18transform_iteratorINS0_17counting_iteratorImlEEZNS1_24adjacent_difference_implIS3_Lb1ELb0EPKjPjN6thrust23THRUST_200600_302600_NS4plusIjEEEE10hipError_tPvRmT2_T3_mT4_P12ihipStream_tbEUlmE_jEESD_NS0_8identityIvEEEESI_SL_SM_mSN_SP_bEUlT_E_NS1_11comp_targetILNS1_3genE8ELNS1_11target_archE1030ELNS1_3gpuE2ELNS1_3repE0EEENS1_30default_config_static_selectorELNS0_4arch9wavefront6targetE1EEEvT1_,@function
_ZN7rocprim17ROCPRIM_400000_NS6detail17trampoline_kernelINS0_14default_configENS1_25transform_config_selectorIjLb0EEEZNS1_14transform_implILb0ES3_S5_NS0_18transform_iteratorINS0_17counting_iteratorImlEEZNS1_24adjacent_difference_implIS3_Lb1ELb0EPKjPjN6thrust23THRUST_200600_302600_NS4plusIjEEEE10hipError_tPvRmT2_T3_mT4_P12ihipStream_tbEUlmE_jEESD_NS0_8identityIvEEEESI_SL_SM_mSN_SP_bEUlT_E_NS1_11comp_targetILNS1_3genE8ELNS1_11target_archE1030ELNS1_3gpuE2ELNS1_3repE0EEENS1_30default_config_static_selectorELNS0_4arch9wavefront6targetE1EEEvT1_: ; @_ZN7rocprim17ROCPRIM_400000_NS6detail17trampoline_kernelINS0_14default_configENS1_25transform_config_selectorIjLb0EEEZNS1_14transform_implILb0ES3_S5_NS0_18transform_iteratorINS0_17counting_iteratorImlEEZNS1_24adjacent_difference_implIS3_Lb1ELb0EPKjPjN6thrust23THRUST_200600_302600_NS4plusIjEEEE10hipError_tPvRmT2_T3_mT4_P12ihipStream_tbEUlmE_jEESD_NS0_8identityIvEEEESI_SL_SM_mSN_SP_bEUlT_E_NS1_11comp_targetILNS1_3genE8ELNS1_11target_archE1030ELNS1_3gpuE2ELNS1_3repE0EEENS1_30default_config_static_selectorELNS0_4arch9wavefront6targetE1EEEvT1_
; %bb.0:
	.section	.rodata,"a",@progbits
	.p2align	6, 0x0
	.amdhsa_kernel _ZN7rocprim17ROCPRIM_400000_NS6detail17trampoline_kernelINS0_14default_configENS1_25transform_config_selectorIjLb0EEEZNS1_14transform_implILb0ES3_S5_NS0_18transform_iteratorINS0_17counting_iteratorImlEEZNS1_24adjacent_difference_implIS3_Lb1ELb0EPKjPjN6thrust23THRUST_200600_302600_NS4plusIjEEEE10hipError_tPvRmT2_T3_mT4_P12ihipStream_tbEUlmE_jEESD_NS0_8identityIvEEEESI_SL_SM_mSN_SP_bEUlT_E_NS1_11comp_targetILNS1_3genE8ELNS1_11target_archE1030ELNS1_3gpuE2ELNS1_3repE0EEENS1_30default_config_static_selectorELNS0_4arch9wavefront6targetE1EEEvT1_
		.amdhsa_group_segment_fixed_size 0
		.amdhsa_private_segment_fixed_size 0
		.amdhsa_kernarg_size 56
		.amdhsa_user_sgpr_count 6
		.amdhsa_user_sgpr_private_segment_buffer 1
		.amdhsa_user_sgpr_dispatch_ptr 0
		.amdhsa_user_sgpr_queue_ptr 0
		.amdhsa_user_sgpr_kernarg_segment_ptr 1
		.amdhsa_user_sgpr_dispatch_id 0
		.amdhsa_user_sgpr_flat_scratch_init 0
		.amdhsa_user_sgpr_kernarg_preload_length 0
		.amdhsa_user_sgpr_kernarg_preload_offset 0
		.amdhsa_user_sgpr_private_segment_size 0
		.amdhsa_uses_dynamic_stack 0
		.amdhsa_system_sgpr_private_segment_wavefront_offset 0
		.amdhsa_system_sgpr_workgroup_id_x 1
		.amdhsa_system_sgpr_workgroup_id_y 0
		.amdhsa_system_sgpr_workgroup_id_z 0
		.amdhsa_system_sgpr_workgroup_info 0
		.amdhsa_system_vgpr_workitem_id 0
		.amdhsa_next_free_vgpr 1
		.amdhsa_next_free_sgpr 0
		.amdhsa_accum_offset 4
		.amdhsa_reserve_vcc 0
		.amdhsa_reserve_flat_scratch 0
		.amdhsa_float_round_mode_32 0
		.amdhsa_float_round_mode_16_64 0
		.amdhsa_float_denorm_mode_32 3
		.amdhsa_float_denorm_mode_16_64 3
		.amdhsa_dx10_clamp 1
		.amdhsa_ieee_mode 1
		.amdhsa_fp16_overflow 0
		.amdhsa_tg_split 0
		.amdhsa_exception_fp_ieee_invalid_op 0
		.amdhsa_exception_fp_denorm_src 0
		.amdhsa_exception_fp_ieee_div_zero 0
		.amdhsa_exception_fp_ieee_overflow 0
		.amdhsa_exception_fp_ieee_underflow 0
		.amdhsa_exception_fp_ieee_inexact 0
		.amdhsa_exception_int_div_zero 0
	.end_amdhsa_kernel
	.section	.text._ZN7rocprim17ROCPRIM_400000_NS6detail17trampoline_kernelINS0_14default_configENS1_25transform_config_selectorIjLb0EEEZNS1_14transform_implILb0ES3_S5_NS0_18transform_iteratorINS0_17counting_iteratorImlEEZNS1_24adjacent_difference_implIS3_Lb1ELb0EPKjPjN6thrust23THRUST_200600_302600_NS4plusIjEEEE10hipError_tPvRmT2_T3_mT4_P12ihipStream_tbEUlmE_jEESD_NS0_8identityIvEEEESI_SL_SM_mSN_SP_bEUlT_E_NS1_11comp_targetILNS1_3genE8ELNS1_11target_archE1030ELNS1_3gpuE2ELNS1_3repE0EEENS1_30default_config_static_selectorELNS0_4arch9wavefront6targetE1EEEvT1_,"axG",@progbits,_ZN7rocprim17ROCPRIM_400000_NS6detail17trampoline_kernelINS0_14default_configENS1_25transform_config_selectorIjLb0EEEZNS1_14transform_implILb0ES3_S5_NS0_18transform_iteratorINS0_17counting_iteratorImlEEZNS1_24adjacent_difference_implIS3_Lb1ELb0EPKjPjN6thrust23THRUST_200600_302600_NS4plusIjEEEE10hipError_tPvRmT2_T3_mT4_P12ihipStream_tbEUlmE_jEESD_NS0_8identityIvEEEESI_SL_SM_mSN_SP_bEUlT_E_NS1_11comp_targetILNS1_3genE8ELNS1_11target_archE1030ELNS1_3gpuE2ELNS1_3repE0EEENS1_30default_config_static_selectorELNS0_4arch9wavefront6targetE1EEEvT1_,comdat
.Lfunc_end607:
	.size	_ZN7rocprim17ROCPRIM_400000_NS6detail17trampoline_kernelINS0_14default_configENS1_25transform_config_selectorIjLb0EEEZNS1_14transform_implILb0ES3_S5_NS0_18transform_iteratorINS0_17counting_iteratorImlEEZNS1_24adjacent_difference_implIS3_Lb1ELb0EPKjPjN6thrust23THRUST_200600_302600_NS4plusIjEEEE10hipError_tPvRmT2_T3_mT4_P12ihipStream_tbEUlmE_jEESD_NS0_8identityIvEEEESI_SL_SM_mSN_SP_bEUlT_E_NS1_11comp_targetILNS1_3genE8ELNS1_11target_archE1030ELNS1_3gpuE2ELNS1_3repE0EEENS1_30default_config_static_selectorELNS0_4arch9wavefront6targetE1EEEvT1_, .Lfunc_end607-_ZN7rocprim17ROCPRIM_400000_NS6detail17trampoline_kernelINS0_14default_configENS1_25transform_config_selectorIjLb0EEEZNS1_14transform_implILb0ES3_S5_NS0_18transform_iteratorINS0_17counting_iteratorImlEEZNS1_24adjacent_difference_implIS3_Lb1ELb0EPKjPjN6thrust23THRUST_200600_302600_NS4plusIjEEEE10hipError_tPvRmT2_T3_mT4_P12ihipStream_tbEUlmE_jEESD_NS0_8identityIvEEEESI_SL_SM_mSN_SP_bEUlT_E_NS1_11comp_targetILNS1_3genE8ELNS1_11target_archE1030ELNS1_3gpuE2ELNS1_3repE0EEENS1_30default_config_static_selectorELNS0_4arch9wavefront6targetE1EEEvT1_
                                        ; -- End function
	.section	.AMDGPU.csdata,"",@progbits
; Kernel info:
; codeLenInByte = 0
; NumSgprs: 4
; NumVgprs: 0
; NumAgprs: 0
; TotalNumVgprs: 0
; ScratchSize: 0
; MemoryBound: 0
; FloatMode: 240
; IeeeMode: 1
; LDSByteSize: 0 bytes/workgroup (compile time only)
; SGPRBlocks: 0
; VGPRBlocks: 0
; NumSGPRsForWavesPerEU: 4
; NumVGPRsForWavesPerEU: 1
; AccumOffset: 4
; Occupancy: 8
; WaveLimiterHint : 0
; COMPUTE_PGM_RSRC2:SCRATCH_EN: 0
; COMPUTE_PGM_RSRC2:USER_SGPR: 6
; COMPUTE_PGM_RSRC2:TRAP_HANDLER: 0
; COMPUTE_PGM_RSRC2:TGID_X_EN: 1
; COMPUTE_PGM_RSRC2:TGID_Y_EN: 0
; COMPUTE_PGM_RSRC2:TGID_Z_EN: 0
; COMPUTE_PGM_RSRC2:TIDIG_COMP_CNT: 0
; COMPUTE_PGM_RSRC3_GFX90A:ACCUM_OFFSET: 0
; COMPUTE_PGM_RSRC3_GFX90A:TG_SPLIT: 0
	.section	.text._ZN7rocprim17ROCPRIM_400000_NS6detail17trampoline_kernelINS0_14default_configENS1_35adjacent_difference_config_selectorILb1EjEEZNS1_24adjacent_difference_implIS3_Lb1ELb0EPKjPjN6thrust23THRUST_200600_302600_NS4plusIjEEEE10hipError_tPvRmT2_T3_mT4_P12ihipStream_tbEUlT_E_NS1_11comp_targetILNS1_3genE0ELNS1_11target_archE4294967295ELNS1_3gpuE0ELNS1_3repE0EEENS1_30default_config_static_selectorELNS0_4arch9wavefront6targetE1EEEvT1_,"axG",@progbits,_ZN7rocprim17ROCPRIM_400000_NS6detail17trampoline_kernelINS0_14default_configENS1_35adjacent_difference_config_selectorILb1EjEEZNS1_24adjacent_difference_implIS3_Lb1ELb0EPKjPjN6thrust23THRUST_200600_302600_NS4plusIjEEEE10hipError_tPvRmT2_T3_mT4_P12ihipStream_tbEUlT_E_NS1_11comp_targetILNS1_3genE0ELNS1_11target_archE4294967295ELNS1_3gpuE0ELNS1_3repE0EEENS1_30default_config_static_selectorELNS0_4arch9wavefront6targetE1EEEvT1_,comdat
	.protected	_ZN7rocprim17ROCPRIM_400000_NS6detail17trampoline_kernelINS0_14default_configENS1_35adjacent_difference_config_selectorILb1EjEEZNS1_24adjacent_difference_implIS3_Lb1ELb0EPKjPjN6thrust23THRUST_200600_302600_NS4plusIjEEEE10hipError_tPvRmT2_T3_mT4_P12ihipStream_tbEUlT_E_NS1_11comp_targetILNS1_3genE0ELNS1_11target_archE4294967295ELNS1_3gpuE0ELNS1_3repE0EEENS1_30default_config_static_selectorELNS0_4arch9wavefront6targetE1EEEvT1_ ; -- Begin function _ZN7rocprim17ROCPRIM_400000_NS6detail17trampoline_kernelINS0_14default_configENS1_35adjacent_difference_config_selectorILb1EjEEZNS1_24adjacent_difference_implIS3_Lb1ELb0EPKjPjN6thrust23THRUST_200600_302600_NS4plusIjEEEE10hipError_tPvRmT2_T3_mT4_P12ihipStream_tbEUlT_E_NS1_11comp_targetILNS1_3genE0ELNS1_11target_archE4294967295ELNS1_3gpuE0ELNS1_3repE0EEENS1_30default_config_static_selectorELNS0_4arch9wavefront6targetE1EEEvT1_
	.globl	_ZN7rocprim17ROCPRIM_400000_NS6detail17trampoline_kernelINS0_14default_configENS1_35adjacent_difference_config_selectorILb1EjEEZNS1_24adjacent_difference_implIS3_Lb1ELb0EPKjPjN6thrust23THRUST_200600_302600_NS4plusIjEEEE10hipError_tPvRmT2_T3_mT4_P12ihipStream_tbEUlT_E_NS1_11comp_targetILNS1_3genE0ELNS1_11target_archE4294967295ELNS1_3gpuE0ELNS1_3repE0EEENS1_30default_config_static_selectorELNS0_4arch9wavefront6targetE1EEEvT1_
	.p2align	8
	.type	_ZN7rocprim17ROCPRIM_400000_NS6detail17trampoline_kernelINS0_14default_configENS1_35adjacent_difference_config_selectorILb1EjEEZNS1_24adjacent_difference_implIS3_Lb1ELb0EPKjPjN6thrust23THRUST_200600_302600_NS4plusIjEEEE10hipError_tPvRmT2_T3_mT4_P12ihipStream_tbEUlT_E_NS1_11comp_targetILNS1_3genE0ELNS1_11target_archE4294967295ELNS1_3gpuE0ELNS1_3repE0EEENS1_30default_config_static_selectorELNS0_4arch9wavefront6targetE1EEEvT1_,@function
_ZN7rocprim17ROCPRIM_400000_NS6detail17trampoline_kernelINS0_14default_configENS1_35adjacent_difference_config_selectorILb1EjEEZNS1_24adjacent_difference_implIS3_Lb1ELb0EPKjPjN6thrust23THRUST_200600_302600_NS4plusIjEEEE10hipError_tPvRmT2_T3_mT4_P12ihipStream_tbEUlT_E_NS1_11comp_targetILNS1_3genE0ELNS1_11target_archE4294967295ELNS1_3gpuE0ELNS1_3repE0EEENS1_30default_config_static_selectorELNS0_4arch9wavefront6targetE1EEEvT1_: ; @_ZN7rocprim17ROCPRIM_400000_NS6detail17trampoline_kernelINS0_14default_configENS1_35adjacent_difference_config_selectorILb1EjEEZNS1_24adjacent_difference_implIS3_Lb1ELb0EPKjPjN6thrust23THRUST_200600_302600_NS4plusIjEEEE10hipError_tPvRmT2_T3_mT4_P12ihipStream_tbEUlT_E_NS1_11comp_targetILNS1_3genE0ELNS1_11target_archE4294967295ELNS1_3gpuE0ELNS1_3repE0EEENS1_30default_config_static_selectorELNS0_4arch9wavefront6targetE1EEEvT1_
; %bb.0:
	.section	.rodata,"a",@progbits
	.p2align	6, 0x0
	.amdhsa_kernel _ZN7rocprim17ROCPRIM_400000_NS6detail17trampoline_kernelINS0_14default_configENS1_35adjacent_difference_config_selectorILb1EjEEZNS1_24adjacent_difference_implIS3_Lb1ELb0EPKjPjN6thrust23THRUST_200600_302600_NS4plusIjEEEE10hipError_tPvRmT2_T3_mT4_P12ihipStream_tbEUlT_E_NS1_11comp_targetILNS1_3genE0ELNS1_11target_archE4294967295ELNS1_3gpuE0ELNS1_3repE0EEENS1_30default_config_static_selectorELNS0_4arch9wavefront6targetE1EEEvT1_
		.amdhsa_group_segment_fixed_size 0
		.amdhsa_private_segment_fixed_size 0
		.amdhsa_kernarg_size 56
		.amdhsa_user_sgpr_count 6
		.amdhsa_user_sgpr_private_segment_buffer 1
		.amdhsa_user_sgpr_dispatch_ptr 0
		.amdhsa_user_sgpr_queue_ptr 0
		.amdhsa_user_sgpr_kernarg_segment_ptr 1
		.amdhsa_user_sgpr_dispatch_id 0
		.amdhsa_user_sgpr_flat_scratch_init 0
		.amdhsa_user_sgpr_kernarg_preload_length 0
		.amdhsa_user_sgpr_kernarg_preload_offset 0
		.amdhsa_user_sgpr_private_segment_size 0
		.amdhsa_uses_dynamic_stack 0
		.amdhsa_system_sgpr_private_segment_wavefront_offset 0
		.amdhsa_system_sgpr_workgroup_id_x 1
		.amdhsa_system_sgpr_workgroup_id_y 0
		.amdhsa_system_sgpr_workgroup_id_z 0
		.amdhsa_system_sgpr_workgroup_info 0
		.amdhsa_system_vgpr_workitem_id 0
		.amdhsa_next_free_vgpr 1
		.amdhsa_next_free_sgpr 0
		.amdhsa_accum_offset 4
		.amdhsa_reserve_vcc 0
		.amdhsa_reserve_flat_scratch 0
		.amdhsa_float_round_mode_32 0
		.amdhsa_float_round_mode_16_64 0
		.amdhsa_float_denorm_mode_32 3
		.amdhsa_float_denorm_mode_16_64 3
		.amdhsa_dx10_clamp 1
		.amdhsa_ieee_mode 1
		.amdhsa_fp16_overflow 0
		.amdhsa_tg_split 0
		.amdhsa_exception_fp_ieee_invalid_op 0
		.amdhsa_exception_fp_denorm_src 0
		.amdhsa_exception_fp_ieee_div_zero 0
		.amdhsa_exception_fp_ieee_overflow 0
		.amdhsa_exception_fp_ieee_underflow 0
		.amdhsa_exception_fp_ieee_inexact 0
		.amdhsa_exception_int_div_zero 0
	.end_amdhsa_kernel
	.section	.text._ZN7rocprim17ROCPRIM_400000_NS6detail17trampoline_kernelINS0_14default_configENS1_35adjacent_difference_config_selectorILb1EjEEZNS1_24adjacent_difference_implIS3_Lb1ELb0EPKjPjN6thrust23THRUST_200600_302600_NS4plusIjEEEE10hipError_tPvRmT2_T3_mT4_P12ihipStream_tbEUlT_E_NS1_11comp_targetILNS1_3genE0ELNS1_11target_archE4294967295ELNS1_3gpuE0ELNS1_3repE0EEENS1_30default_config_static_selectorELNS0_4arch9wavefront6targetE1EEEvT1_,"axG",@progbits,_ZN7rocprim17ROCPRIM_400000_NS6detail17trampoline_kernelINS0_14default_configENS1_35adjacent_difference_config_selectorILb1EjEEZNS1_24adjacent_difference_implIS3_Lb1ELb0EPKjPjN6thrust23THRUST_200600_302600_NS4plusIjEEEE10hipError_tPvRmT2_T3_mT4_P12ihipStream_tbEUlT_E_NS1_11comp_targetILNS1_3genE0ELNS1_11target_archE4294967295ELNS1_3gpuE0ELNS1_3repE0EEENS1_30default_config_static_selectorELNS0_4arch9wavefront6targetE1EEEvT1_,comdat
.Lfunc_end608:
	.size	_ZN7rocprim17ROCPRIM_400000_NS6detail17trampoline_kernelINS0_14default_configENS1_35adjacent_difference_config_selectorILb1EjEEZNS1_24adjacent_difference_implIS3_Lb1ELb0EPKjPjN6thrust23THRUST_200600_302600_NS4plusIjEEEE10hipError_tPvRmT2_T3_mT4_P12ihipStream_tbEUlT_E_NS1_11comp_targetILNS1_3genE0ELNS1_11target_archE4294967295ELNS1_3gpuE0ELNS1_3repE0EEENS1_30default_config_static_selectorELNS0_4arch9wavefront6targetE1EEEvT1_, .Lfunc_end608-_ZN7rocprim17ROCPRIM_400000_NS6detail17trampoline_kernelINS0_14default_configENS1_35adjacent_difference_config_selectorILb1EjEEZNS1_24adjacent_difference_implIS3_Lb1ELb0EPKjPjN6thrust23THRUST_200600_302600_NS4plusIjEEEE10hipError_tPvRmT2_T3_mT4_P12ihipStream_tbEUlT_E_NS1_11comp_targetILNS1_3genE0ELNS1_11target_archE4294967295ELNS1_3gpuE0ELNS1_3repE0EEENS1_30default_config_static_selectorELNS0_4arch9wavefront6targetE1EEEvT1_
                                        ; -- End function
	.section	.AMDGPU.csdata,"",@progbits
; Kernel info:
; codeLenInByte = 0
; NumSgprs: 4
; NumVgprs: 0
; NumAgprs: 0
; TotalNumVgprs: 0
; ScratchSize: 0
; MemoryBound: 0
; FloatMode: 240
; IeeeMode: 1
; LDSByteSize: 0 bytes/workgroup (compile time only)
; SGPRBlocks: 0
; VGPRBlocks: 0
; NumSGPRsForWavesPerEU: 4
; NumVGPRsForWavesPerEU: 1
; AccumOffset: 4
; Occupancy: 8
; WaveLimiterHint : 0
; COMPUTE_PGM_RSRC2:SCRATCH_EN: 0
; COMPUTE_PGM_RSRC2:USER_SGPR: 6
; COMPUTE_PGM_RSRC2:TRAP_HANDLER: 0
; COMPUTE_PGM_RSRC2:TGID_X_EN: 1
; COMPUTE_PGM_RSRC2:TGID_Y_EN: 0
; COMPUTE_PGM_RSRC2:TGID_Z_EN: 0
; COMPUTE_PGM_RSRC2:TIDIG_COMP_CNT: 0
; COMPUTE_PGM_RSRC3_GFX90A:ACCUM_OFFSET: 0
; COMPUTE_PGM_RSRC3_GFX90A:TG_SPLIT: 0
	.section	.text._ZN7rocprim17ROCPRIM_400000_NS6detail17trampoline_kernelINS0_14default_configENS1_35adjacent_difference_config_selectorILb1EjEEZNS1_24adjacent_difference_implIS3_Lb1ELb0EPKjPjN6thrust23THRUST_200600_302600_NS4plusIjEEEE10hipError_tPvRmT2_T3_mT4_P12ihipStream_tbEUlT_E_NS1_11comp_targetILNS1_3genE10ELNS1_11target_archE1201ELNS1_3gpuE5ELNS1_3repE0EEENS1_30default_config_static_selectorELNS0_4arch9wavefront6targetE1EEEvT1_,"axG",@progbits,_ZN7rocprim17ROCPRIM_400000_NS6detail17trampoline_kernelINS0_14default_configENS1_35adjacent_difference_config_selectorILb1EjEEZNS1_24adjacent_difference_implIS3_Lb1ELb0EPKjPjN6thrust23THRUST_200600_302600_NS4plusIjEEEE10hipError_tPvRmT2_T3_mT4_P12ihipStream_tbEUlT_E_NS1_11comp_targetILNS1_3genE10ELNS1_11target_archE1201ELNS1_3gpuE5ELNS1_3repE0EEENS1_30default_config_static_selectorELNS0_4arch9wavefront6targetE1EEEvT1_,comdat
	.protected	_ZN7rocprim17ROCPRIM_400000_NS6detail17trampoline_kernelINS0_14default_configENS1_35adjacent_difference_config_selectorILb1EjEEZNS1_24adjacent_difference_implIS3_Lb1ELb0EPKjPjN6thrust23THRUST_200600_302600_NS4plusIjEEEE10hipError_tPvRmT2_T3_mT4_P12ihipStream_tbEUlT_E_NS1_11comp_targetILNS1_3genE10ELNS1_11target_archE1201ELNS1_3gpuE5ELNS1_3repE0EEENS1_30default_config_static_selectorELNS0_4arch9wavefront6targetE1EEEvT1_ ; -- Begin function _ZN7rocprim17ROCPRIM_400000_NS6detail17trampoline_kernelINS0_14default_configENS1_35adjacent_difference_config_selectorILb1EjEEZNS1_24adjacent_difference_implIS3_Lb1ELb0EPKjPjN6thrust23THRUST_200600_302600_NS4plusIjEEEE10hipError_tPvRmT2_T3_mT4_P12ihipStream_tbEUlT_E_NS1_11comp_targetILNS1_3genE10ELNS1_11target_archE1201ELNS1_3gpuE5ELNS1_3repE0EEENS1_30default_config_static_selectorELNS0_4arch9wavefront6targetE1EEEvT1_
	.globl	_ZN7rocprim17ROCPRIM_400000_NS6detail17trampoline_kernelINS0_14default_configENS1_35adjacent_difference_config_selectorILb1EjEEZNS1_24adjacent_difference_implIS3_Lb1ELb0EPKjPjN6thrust23THRUST_200600_302600_NS4plusIjEEEE10hipError_tPvRmT2_T3_mT4_P12ihipStream_tbEUlT_E_NS1_11comp_targetILNS1_3genE10ELNS1_11target_archE1201ELNS1_3gpuE5ELNS1_3repE0EEENS1_30default_config_static_selectorELNS0_4arch9wavefront6targetE1EEEvT1_
	.p2align	8
	.type	_ZN7rocprim17ROCPRIM_400000_NS6detail17trampoline_kernelINS0_14default_configENS1_35adjacent_difference_config_selectorILb1EjEEZNS1_24adjacent_difference_implIS3_Lb1ELb0EPKjPjN6thrust23THRUST_200600_302600_NS4plusIjEEEE10hipError_tPvRmT2_T3_mT4_P12ihipStream_tbEUlT_E_NS1_11comp_targetILNS1_3genE10ELNS1_11target_archE1201ELNS1_3gpuE5ELNS1_3repE0EEENS1_30default_config_static_selectorELNS0_4arch9wavefront6targetE1EEEvT1_,@function
_ZN7rocprim17ROCPRIM_400000_NS6detail17trampoline_kernelINS0_14default_configENS1_35adjacent_difference_config_selectorILb1EjEEZNS1_24adjacent_difference_implIS3_Lb1ELb0EPKjPjN6thrust23THRUST_200600_302600_NS4plusIjEEEE10hipError_tPvRmT2_T3_mT4_P12ihipStream_tbEUlT_E_NS1_11comp_targetILNS1_3genE10ELNS1_11target_archE1201ELNS1_3gpuE5ELNS1_3repE0EEENS1_30default_config_static_selectorELNS0_4arch9wavefront6targetE1EEEvT1_: ; @_ZN7rocprim17ROCPRIM_400000_NS6detail17trampoline_kernelINS0_14default_configENS1_35adjacent_difference_config_selectorILb1EjEEZNS1_24adjacent_difference_implIS3_Lb1ELb0EPKjPjN6thrust23THRUST_200600_302600_NS4plusIjEEEE10hipError_tPvRmT2_T3_mT4_P12ihipStream_tbEUlT_E_NS1_11comp_targetILNS1_3genE10ELNS1_11target_archE1201ELNS1_3gpuE5ELNS1_3repE0EEENS1_30default_config_static_selectorELNS0_4arch9wavefront6targetE1EEEvT1_
; %bb.0:
	.section	.rodata,"a",@progbits
	.p2align	6, 0x0
	.amdhsa_kernel _ZN7rocprim17ROCPRIM_400000_NS6detail17trampoline_kernelINS0_14default_configENS1_35adjacent_difference_config_selectorILb1EjEEZNS1_24adjacent_difference_implIS3_Lb1ELb0EPKjPjN6thrust23THRUST_200600_302600_NS4plusIjEEEE10hipError_tPvRmT2_T3_mT4_P12ihipStream_tbEUlT_E_NS1_11comp_targetILNS1_3genE10ELNS1_11target_archE1201ELNS1_3gpuE5ELNS1_3repE0EEENS1_30default_config_static_selectorELNS0_4arch9wavefront6targetE1EEEvT1_
		.amdhsa_group_segment_fixed_size 0
		.amdhsa_private_segment_fixed_size 0
		.amdhsa_kernarg_size 56
		.amdhsa_user_sgpr_count 6
		.amdhsa_user_sgpr_private_segment_buffer 1
		.amdhsa_user_sgpr_dispatch_ptr 0
		.amdhsa_user_sgpr_queue_ptr 0
		.amdhsa_user_sgpr_kernarg_segment_ptr 1
		.amdhsa_user_sgpr_dispatch_id 0
		.amdhsa_user_sgpr_flat_scratch_init 0
		.amdhsa_user_sgpr_kernarg_preload_length 0
		.amdhsa_user_sgpr_kernarg_preload_offset 0
		.amdhsa_user_sgpr_private_segment_size 0
		.amdhsa_uses_dynamic_stack 0
		.amdhsa_system_sgpr_private_segment_wavefront_offset 0
		.amdhsa_system_sgpr_workgroup_id_x 1
		.amdhsa_system_sgpr_workgroup_id_y 0
		.amdhsa_system_sgpr_workgroup_id_z 0
		.amdhsa_system_sgpr_workgroup_info 0
		.amdhsa_system_vgpr_workitem_id 0
		.amdhsa_next_free_vgpr 1
		.amdhsa_next_free_sgpr 0
		.amdhsa_accum_offset 4
		.amdhsa_reserve_vcc 0
		.amdhsa_reserve_flat_scratch 0
		.amdhsa_float_round_mode_32 0
		.amdhsa_float_round_mode_16_64 0
		.amdhsa_float_denorm_mode_32 3
		.amdhsa_float_denorm_mode_16_64 3
		.amdhsa_dx10_clamp 1
		.amdhsa_ieee_mode 1
		.amdhsa_fp16_overflow 0
		.amdhsa_tg_split 0
		.amdhsa_exception_fp_ieee_invalid_op 0
		.amdhsa_exception_fp_denorm_src 0
		.amdhsa_exception_fp_ieee_div_zero 0
		.amdhsa_exception_fp_ieee_overflow 0
		.amdhsa_exception_fp_ieee_underflow 0
		.amdhsa_exception_fp_ieee_inexact 0
		.amdhsa_exception_int_div_zero 0
	.end_amdhsa_kernel
	.section	.text._ZN7rocprim17ROCPRIM_400000_NS6detail17trampoline_kernelINS0_14default_configENS1_35adjacent_difference_config_selectorILb1EjEEZNS1_24adjacent_difference_implIS3_Lb1ELb0EPKjPjN6thrust23THRUST_200600_302600_NS4plusIjEEEE10hipError_tPvRmT2_T3_mT4_P12ihipStream_tbEUlT_E_NS1_11comp_targetILNS1_3genE10ELNS1_11target_archE1201ELNS1_3gpuE5ELNS1_3repE0EEENS1_30default_config_static_selectorELNS0_4arch9wavefront6targetE1EEEvT1_,"axG",@progbits,_ZN7rocprim17ROCPRIM_400000_NS6detail17trampoline_kernelINS0_14default_configENS1_35adjacent_difference_config_selectorILb1EjEEZNS1_24adjacent_difference_implIS3_Lb1ELb0EPKjPjN6thrust23THRUST_200600_302600_NS4plusIjEEEE10hipError_tPvRmT2_T3_mT4_P12ihipStream_tbEUlT_E_NS1_11comp_targetILNS1_3genE10ELNS1_11target_archE1201ELNS1_3gpuE5ELNS1_3repE0EEENS1_30default_config_static_selectorELNS0_4arch9wavefront6targetE1EEEvT1_,comdat
.Lfunc_end609:
	.size	_ZN7rocprim17ROCPRIM_400000_NS6detail17trampoline_kernelINS0_14default_configENS1_35adjacent_difference_config_selectorILb1EjEEZNS1_24adjacent_difference_implIS3_Lb1ELb0EPKjPjN6thrust23THRUST_200600_302600_NS4plusIjEEEE10hipError_tPvRmT2_T3_mT4_P12ihipStream_tbEUlT_E_NS1_11comp_targetILNS1_3genE10ELNS1_11target_archE1201ELNS1_3gpuE5ELNS1_3repE0EEENS1_30default_config_static_selectorELNS0_4arch9wavefront6targetE1EEEvT1_, .Lfunc_end609-_ZN7rocprim17ROCPRIM_400000_NS6detail17trampoline_kernelINS0_14default_configENS1_35adjacent_difference_config_selectorILb1EjEEZNS1_24adjacent_difference_implIS3_Lb1ELb0EPKjPjN6thrust23THRUST_200600_302600_NS4plusIjEEEE10hipError_tPvRmT2_T3_mT4_P12ihipStream_tbEUlT_E_NS1_11comp_targetILNS1_3genE10ELNS1_11target_archE1201ELNS1_3gpuE5ELNS1_3repE0EEENS1_30default_config_static_selectorELNS0_4arch9wavefront6targetE1EEEvT1_
                                        ; -- End function
	.section	.AMDGPU.csdata,"",@progbits
; Kernel info:
; codeLenInByte = 0
; NumSgprs: 4
; NumVgprs: 0
; NumAgprs: 0
; TotalNumVgprs: 0
; ScratchSize: 0
; MemoryBound: 0
; FloatMode: 240
; IeeeMode: 1
; LDSByteSize: 0 bytes/workgroup (compile time only)
; SGPRBlocks: 0
; VGPRBlocks: 0
; NumSGPRsForWavesPerEU: 4
; NumVGPRsForWavesPerEU: 1
; AccumOffset: 4
; Occupancy: 8
; WaveLimiterHint : 0
; COMPUTE_PGM_RSRC2:SCRATCH_EN: 0
; COMPUTE_PGM_RSRC2:USER_SGPR: 6
; COMPUTE_PGM_RSRC2:TRAP_HANDLER: 0
; COMPUTE_PGM_RSRC2:TGID_X_EN: 1
; COMPUTE_PGM_RSRC2:TGID_Y_EN: 0
; COMPUTE_PGM_RSRC2:TGID_Z_EN: 0
; COMPUTE_PGM_RSRC2:TIDIG_COMP_CNT: 0
; COMPUTE_PGM_RSRC3_GFX90A:ACCUM_OFFSET: 0
; COMPUTE_PGM_RSRC3_GFX90A:TG_SPLIT: 0
	.section	.text._ZN7rocprim17ROCPRIM_400000_NS6detail17trampoline_kernelINS0_14default_configENS1_35adjacent_difference_config_selectorILb1EjEEZNS1_24adjacent_difference_implIS3_Lb1ELb0EPKjPjN6thrust23THRUST_200600_302600_NS4plusIjEEEE10hipError_tPvRmT2_T3_mT4_P12ihipStream_tbEUlT_E_NS1_11comp_targetILNS1_3genE5ELNS1_11target_archE942ELNS1_3gpuE9ELNS1_3repE0EEENS1_30default_config_static_selectorELNS0_4arch9wavefront6targetE1EEEvT1_,"axG",@progbits,_ZN7rocprim17ROCPRIM_400000_NS6detail17trampoline_kernelINS0_14default_configENS1_35adjacent_difference_config_selectorILb1EjEEZNS1_24adjacent_difference_implIS3_Lb1ELb0EPKjPjN6thrust23THRUST_200600_302600_NS4plusIjEEEE10hipError_tPvRmT2_T3_mT4_P12ihipStream_tbEUlT_E_NS1_11comp_targetILNS1_3genE5ELNS1_11target_archE942ELNS1_3gpuE9ELNS1_3repE0EEENS1_30default_config_static_selectorELNS0_4arch9wavefront6targetE1EEEvT1_,comdat
	.protected	_ZN7rocprim17ROCPRIM_400000_NS6detail17trampoline_kernelINS0_14default_configENS1_35adjacent_difference_config_selectorILb1EjEEZNS1_24adjacent_difference_implIS3_Lb1ELb0EPKjPjN6thrust23THRUST_200600_302600_NS4plusIjEEEE10hipError_tPvRmT2_T3_mT4_P12ihipStream_tbEUlT_E_NS1_11comp_targetILNS1_3genE5ELNS1_11target_archE942ELNS1_3gpuE9ELNS1_3repE0EEENS1_30default_config_static_selectorELNS0_4arch9wavefront6targetE1EEEvT1_ ; -- Begin function _ZN7rocprim17ROCPRIM_400000_NS6detail17trampoline_kernelINS0_14default_configENS1_35adjacent_difference_config_selectorILb1EjEEZNS1_24adjacent_difference_implIS3_Lb1ELb0EPKjPjN6thrust23THRUST_200600_302600_NS4plusIjEEEE10hipError_tPvRmT2_T3_mT4_P12ihipStream_tbEUlT_E_NS1_11comp_targetILNS1_3genE5ELNS1_11target_archE942ELNS1_3gpuE9ELNS1_3repE0EEENS1_30default_config_static_selectorELNS0_4arch9wavefront6targetE1EEEvT1_
	.globl	_ZN7rocprim17ROCPRIM_400000_NS6detail17trampoline_kernelINS0_14default_configENS1_35adjacent_difference_config_selectorILb1EjEEZNS1_24adjacent_difference_implIS3_Lb1ELb0EPKjPjN6thrust23THRUST_200600_302600_NS4plusIjEEEE10hipError_tPvRmT2_T3_mT4_P12ihipStream_tbEUlT_E_NS1_11comp_targetILNS1_3genE5ELNS1_11target_archE942ELNS1_3gpuE9ELNS1_3repE0EEENS1_30default_config_static_selectorELNS0_4arch9wavefront6targetE1EEEvT1_
	.p2align	8
	.type	_ZN7rocprim17ROCPRIM_400000_NS6detail17trampoline_kernelINS0_14default_configENS1_35adjacent_difference_config_selectorILb1EjEEZNS1_24adjacent_difference_implIS3_Lb1ELb0EPKjPjN6thrust23THRUST_200600_302600_NS4plusIjEEEE10hipError_tPvRmT2_T3_mT4_P12ihipStream_tbEUlT_E_NS1_11comp_targetILNS1_3genE5ELNS1_11target_archE942ELNS1_3gpuE9ELNS1_3repE0EEENS1_30default_config_static_selectorELNS0_4arch9wavefront6targetE1EEEvT1_,@function
_ZN7rocprim17ROCPRIM_400000_NS6detail17trampoline_kernelINS0_14default_configENS1_35adjacent_difference_config_selectorILb1EjEEZNS1_24adjacent_difference_implIS3_Lb1ELb0EPKjPjN6thrust23THRUST_200600_302600_NS4plusIjEEEE10hipError_tPvRmT2_T3_mT4_P12ihipStream_tbEUlT_E_NS1_11comp_targetILNS1_3genE5ELNS1_11target_archE942ELNS1_3gpuE9ELNS1_3repE0EEENS1_30default_config_static_selectorELNS0_4arch9wavefront6targetE1EEEvT1_: ; @_ZN7rocprim17ROCPRIM_400000_NS6detail17trampoline_kernelINS0_14default_configENS1_35adjacent_difference_config_selectorILb1EjEEZNS1_24adjacent_difference_implIS3_Lb1ELb0EPKjPjN6thrust23THRUST_200600_302600_NS4plusIjEEEE10hipError_tPvRmT2_T3_mT4_P12ihipStream_tbEUlT_E_NS1_11comp_targetILNS1_3genE5ELNS1_11target_archE942ELNS1_3gpuE9ELNS1_3repE0EEENS1_30default_config_static_selectorELNS0_4arch9wavefront6targetE1EEEvT1_
; %bb.0:
	.section	.rodata,"a",@progbits
	.p2align	6, 0x0
	.amdhsa_kernel _ZN7rocprim17ROCPRIM_400000_NS6detail17trampoline_kernelINS0_14default_configENS1_35adjacent_difference_config_selectorILb1EjEEZNS1_24adjacent_difference_implIS3_Lb1ELb0EPKjPjN6thrust23THRUST_200600_302600_NS4plusIjEEEE10hipError_tPvRmT2_T3_mT4_P12ihipStream_tbEUlT_E_NS1_11comp_targetILNS1_3genE5ELNS1_11target_archE942ELNS1_3gpuE9ELNS1_3repE0EEENS1_30default_config_static_selectorELNS0_4arch9wavefront6targetE1EEEvT1_
		.amdhsa_group_segment_fixed_size 0
		.amdhsa_private_segment_fixed_size 0
		.amdhsa_kernarg_size 56
		.amdhsa_user_sgpr_count 6
		.amdhsa_user_sgpr_private_segment_buffer 1
		.amdhsa_user_sgpr_dispatch_ptr 0
		.amdhsa_user_sgpr_queue_ptr 0
		.amdhsa_user_sgpr_kernarg_segment_ptr 1
		.amdhsa_user_sgpr_dispatch_id 0
		.amdhsa_user_sgpr_flat_scratch_init 0
		.amdhsa_user_sgpr_kernarg_preload_length 0
		.amdhsa_user_sgpr_kernarg_preload_offset 0
		.amdhsa_user_sgpr_private_segment_size 0
		.amdhsa_uses_dynamic_stack 0
		.amdhsa_system_sgpr_private_segment_wavefront_offset 0
		.amdhsa_system_sgpr_workgroup_id_x 1
		.amdhsa_system_sgpr_workgroup_id_y 0
		.amdhsa_system_sgpr_workgroup_id_z 0
		.amdhsa_system_sgpr_workgroup_info 0
		.amdhsa_system_vgpr_workitem_id 0
		.amdhsa_next_free_vgpr 1
		.amdhsa_next_free_sgpr 0
		.amdhsa_accum_offset 4
		.amdhsa_reserve_vcc 0
		.amdhsa_reserve_flat_scratch 0
		.amdhsa_float_round_mode_32 0
		.amdhsa_float_round_mode_16_64 0
		.amdhsa_float_denorm_mode_32 3
		.amdhsa_float_denorm_mode_16_64 3
		.amdhsa_dx10_clamp 1
		.amdhsa_ieee_mode 1
		.amdhsa_fp16_overflow 0
		.amdhsa_tg_split 0
		.amdhsa_exception_fp_ieee_invalid_op 0
		.amdhsa_exception_fp_denorm_src 0
		.amdhsa_exception_fp_ieee_div_zero 0
		.amdhsa_exception_fp_ieee_overflow 0
		.amdhsa_exception_fp_ieee_underflow 0
		.amdhsa_exception_fp_ieee_inexact 0
		.amdhsa_exception_int_div_zero 0
	.end_amdhsa_kernel
	.section	.text._ZN7rocprim17ROCPRIM_400000_NS6detail17trampoline_kernelINS0_14default_configENS1_35adjacent_difference_config_selectorILb1EjEEZNS1_24adjacent_difference_implIS3_Lb1ELb0EPKjPjN6thrust23THRUST_200600_302600_NS4plusIjEEEE10hipError_tPvRmT2_T3_mT4_P12ihipStream_tbEUlT_E_NS1_11comp_targetILNS1_3genE5ELNS1_11target_archE942ELNS1_3gpuE9ELNS1_3repE0EEENS1_30default_config_static_selectorELNS0_4arch9wavefront6targetE1EEEvT1_,"axG",@progbits,_ZN7rocprim17ROCPRIM_400000_NS6detail17trampoline_kernelINS0_14default_configENS1_35adjacent_difference_config_selectorILb1EjEEZNS1_24adjacent_difference_implIS3_Lb1ELb0EPKjPjN6thrust23THRUST_200600_302600_NS4plusIjEEEE10hipError_tPvRmT2_T3_mT4_P12ihipStream_tbEUlT_E_NS1_11comp_targetILNS1_3genE5ELNS1_11target_archE942ELNS1_3gpuE9ELNS1_3repE0EEENS1_30default_config_static_selectorELNS0_4arch9wavefront6targetE1EEEvT1_,comdat
.Lfunc_end610:
	.size	_ZN7rocprim17ROCPRIM_400000_NS6detail17trampoline_kernelINS0_14default_configENS1_35adjacent_difference_config_selectorILb1EjEEZNS1_24adjacent_difference_implIS3_Lb1ELb0EPKjPjN6thrust23THRUST_200600_302600_NS4plusIjEEEE10hipError_tPvRmT2_T3_mT4_P12ihipStream_tbEUlT_E_NS1_11comp_targetILNS1_3genE5ELNS1_11target_archE942ELNS1_3gpuE9ELNS1_3repE0EEENS1_30default_config_static_selectorELNS0_4arch9wavefront6targetE1EEEvT1_, .Lfunc_end610-_ZN7rocprim17ROCPRIM_400000_NS6detail17trampoline_kernelINS0_14default_configENS1_35adjacent_difference_config_selectorILb1EjEEZNS1_24adjacent_difference_implIS3_Lb1ELb0EPKjPjN6thrust23THRUST_200600_302600_NS4plusIjEEEE10hipError_tPvRmT2_T3_mT4_P12ihipStream_tbEUlT_E_NS1_11comp_targetILNS1_3genE5ELNS1_11target_archE942ELNS1_3gpuE9ELNS1_3repE0EEENS1_30default_config_static_selectorELNS0_4arch9wavefront6targetE1EEEvT1_
                                        ; -- End function
	.section	.AMDGPU.csdata,"",@progbits
; Kernel info:
; codeLenInByte = 0
; NumSgprs: 4
; NumVgprs: 0
; NumAgprs: 0
; TotalNumVgprs: 0
; ScratchSize: 0
; MemoryBound: 0
; FloatMode: 240
; IeeeMode: 1
; LDSByteSize: 0 bytes/workgroup (compile time only)
; SGPRBlocks: 0
; VGPRBlocks: 0
; NumSGPRsForWavesPerEU: 4
; NumVGPRsForWavesPerEU: 1
; AccumOffset: 4
; Occupancy: 8
; WaveLimiterHint : 0
; COMPUTE_PGM_RSRC2:SCRATCH_EN: 0
; COMPUTE_PGM_RSRC2:USER_SGPR: 6
; COMPUTE_PGM_RSRC2:TRAP_HANDLER: 0
; COMPUTE_PGM_RSRC2:TGID_X_EN: 1
; COMPUTE_PGM_RSRC2:TGID_Y_EN: 0
; COMPUTE_PGM_RSRC2:TGID_Z_EN: 0
; COMPUTE_PGM_RSRC2:TIDIG_COMP_CNT: 0
; COMPUTE_PGM_RSRC3_GFX90A:ACCUM_OFFSET: 0
; COMPUTE_PGM_RSRC3_GFX90A:TG_SPLIT: 0
	.section	.text._ZN7rocprim17ROCPRIM_400000_NS6detail17trampoline_kernelINS0_14default_configENS1_35adjacent_difference_config_selectorILb1EjEEZNS1_24adjacent_difference_implIS3_Lb1ELb0EPKjPjN6thrust23THRUST_200600_302600_NS4plusIjEEEE10hipError_tPvRmT2_T3_mT4_P12ihipStream_tbEUlT_E_NS1_11comp_targetILNS1_3genE4ELNS1_11target_archE910ELNS1_3gpuE8ELNS1_3repE0EEENS1_30default_config_static_selectorELNS0_4arch9wavefront6targetE1EEEvT1_,"axG",@progbits,_ZN7rocprim17ROCPRIM_400000_NS6detail17trampoline_kernelINS0_14default_configENS1_35adjacent_difference_config_selectorILb1EjEEZNS1_24adjacent_difference_implIS3_Lb1ELb0EPKjPjN6thrust23THRUST_200600_302600_NS4plusIjEEEE10hipError_tPvRmT2_T3_mT4_P12ihipStream_tbEUlT_E_NS1_11comp_targetILNS1_3genE4ELNS1_11target_archE910ELNS1_3gpuE8ELNS1_3repE0EEENS1_30default_config_static_selectorELNS0_4arch9wavefront6targetE1EEEvT1_,comdat
	.protected	_ZN7rocprim17ROCPRIM_400000_NS6detail17trampoline_kernelINS0_14default_configENS1_35adjacent_difference_config_selectorILb1EjEEZNS1_24adjacent_difference_implIS3_Lb1ELb0EPKjPjN6thrust23THRUST_200600_302600_NS4plusIjEEEE10hipError_tPvRmT2_T3_mT4_P12ihipStream_tbEUlT_E_NS1_11comp_targetILNS1_3genE4ELNS1_11target_archE910ELNS1_3gpuE8ELNS1_3repE0EEENS1_30default_config_static_selectorELNS0_4arch9wavefront6targetE1EEEvT1_ ; -- Begin function _ZN7rocprim17ROCPRIM_400000_NS6detail17trampoline_kernelINS0_14default_configENS1_35adjacent_difference_config_selectorILb1EjEEZNS1_24adjacent_difference_implIS3_Lb1ELb0EPKjPjN6thrust23THRUST_200600_302600_NS4plusIjEEEE10hipError_tPvRmT2_T3_mT4_P12ihipStream_tbEUlT_E_NS1_11comp_targetILNS1_3genE4ELNS1_11target_archE910ELNS1_3gpuE8ELNS1_3repE0EEENS1_30default_config_static_selectorELNS0_4arch9wavefront6targetE1EEEvT1_
	.globl	_ZN7rocprim17ROCPRIM_400000_NS6detail17trampoline_kernelINS0_14default_configENS1_35adjacent_difference_config_selectorILb1EjEEZNS1_24adjacent_difference_implIS3_Lb1ELb0EPKjPjN6thrust23THRUST_200600_302600_NS4plusIjEEEE10hipError_tPvRmT2_T3_mT4_P12ihipStream_tbEUlT_E_NS1_11comp_targetILNS1_3genE4ELNS1_11target_archE910ELNS1_3gpuE8ELNS1_3repE0EEENS1_30default_config_static_selectorELNS0_4arch9wavefront6targetE1EEEvT1_
	.p2align	8
	.type	_ZN7rocprim17ROCPRIM_400000_NS6detail17trampoline_kernelINS0_14default_configENS1_35adjacent_difference_config_selectorILb1EjEEZNS1_24adjacent_difference_implIS3_Lb1ELb0EPKjPjN6thrust23THRUST_200600_302600_NS4plusIjEEEE10hipError_tPvRmT2_T3_mT4_P12ihipStream_tbEUlT_E_NS1_11comp_targetILNS1_3genE4ELNS1_11target_archE910ELNS1_3gpuE8ELNS1_3repE0EEENS1_30default_config_static_selectorELNS0_4arch9wavefront6targetE1EEEvT1_,@function
_ZN7rocprim17ROCPRIM_400000_NS6detail17trampoline_kernelINS0_14default_configENS1_35adjacent_difference_config_selectorILb1EjEEZNS1_24adjacent_difference_implIS3_Lb1ELb0EPKjPjN6thrust23THRUST_200600_302600_NS4plusIjEEEE10hipError_tPvRmT2_T3_mT4_P12ihipStream_tbEUlT_E_NS1_11comp_targetILNS1_3genE4ELNS1_11target_archE910ELNS1_3gpuE8ELNS1_3repE0EEENS1_30default_config_static_selectorELNS0_4arch9wavefront6targetE1EEEvT1_: ; @_ZN7rocprim17ROCPRIM_400000_NS6detail17trampoline_kernelINS0_14default_configENS1_35adjacent_difference_config_selectorILb1EjEEZNS1_24adjacent_difference_implIS3_Lb1ELb0EPKjPjN6thrust23THRUST_200600_302600_NS4plusIjEEEE10hipError_tPvRmT2_T3_mT4_P12ihipStream_tbEUlT_E_NS1_11comp_targetILNS1_3genE4ELNS1_11target_archE910ELNS1_3gpuE8ELNS1_3repE0EEENS1_30default_config_static_selectorELNS0_4arch9wavefront6targetE1EEEvT1_
; %bb.0:
	s_load_dwordx8 s[8:15], s[4:5], 0x0
	s_mov_b32 s0, 0x59999780
	s_load_dwordx4 s[16:19], s[4:5], 0x28
	s_movk_i32 s2, 0xa00
	s_mul_i32 s4, s6, 0xa00
	s_waitcnt lgkmcnt(0)
	s_lshl_b64 s[10:11], s[10:11], 2
	s_add_u32 s26, s8, s10
	s_addc_u32 s27, s9, s11
	s_add_u32 s0, 0xe0, s0
	s_addc_u32 s3, 0, 0
	v_add_co_u32_e64 v1, s[0:1], s0, 2.0
	s_cmp_lg_u64 s[0:1], 0
	s_addc_u32 s0, s3, 0x199999
	v_readfirstlane_b32 s3, v1
	s_mul_hi_u32 s5, s3, 0xfffff600
	s_mul_i32 s1, s0, 0xfffff600
	s_sub_i32 s5, s5, s3
	s_add_i32 s5, s5, s1
	s_mul_i32 s9, s3, 0xfffff600
	s_mul_hi_u32 s1, s3, s5
	s_mul_i32 s8, s3, s5
	s_mul_hi_u32 s3, s3, s9
	s_add_u32 s3, s3, s8
	s_addc_u32 s1, 0, s1
	s_mul_hi_u32 s20, s0, s9
	s_mul_i32 s9, s0, s9
	s_add_u32 s3, s3, s9
	s_mul_hi_u32 s8, s0, s5
	s_addc_u32 s1, s1, s20
	s_addc_u32 s3, s8, 0
	s_mul_i32 s5, s0, s5
	s_add_u32 s1, s1, s5
	s_addc_u32 s3, 0, s3
	v_add_co_u32_e32 v1, vcc, s1, v1
	s_cmp_lg_u64 vcc, 0
	s_addc_u32 s0, s0, s3
	v_readfirstlane_b32 s5, v1
	s_mul_i32 s3, s14, s0
	s_mul_hi_u32 s8, s14, s5
	s_mul_hi_u32 s1, s14, s0
	s_add_u32 s3, s8, s3
	s_addc_u32 s1, 0, s1
	s_mul_hi_u32 s9, s15, s5
	s_mul_i32 s5, s15, s5
	s_add_u32 s3, s3, s5
	s_mul_hi_u32 s8, s15, s0
	s_addc_u32 s1, s1, s9
	s_addc_u32 s3, s8, 0
	s_mul_i32 s0, s15, s0
	s_add_u32 s0, s1, s0
	s_addc_u32 s1, 0, s3
	s_add_u32 s3, s0, 1
	s_addc_u32 s5, s1, 0
	s_add_u32 s8, s0, 2
	s_mul_i32 s20, s1, 0xa00
	s_mul_hi_u32 s21, s0, 0xa00
	s_addc_u32 s9, s1, 0
	s_add_i32 s21, s21, s20
	s_mul_i32 s20, s0, 0xa00
	v_mov_b32_e32 v1, s20
	v_sub_co_u32_e32 v1, vcc, s14, v1
	s_cmp_lg_u64 vcc, 0
	s_subb_u32 s20, s15, s21
	v_subrev_co_u32_e32 v2, vcc, s2, v1
	s_cmp_lg_u64 vcc, 0
	s_subb_u32 s2, s20, 0
	v_readfirstlane_b32 s21, v2
	s_cmpk_gt_u32 s21, 0x9ff
	s_cselect_b32 s21, -1, 0
	s_cmp_eq_u32 s2, 0
	s_cselect_b32 s2, s21, -1
	s_cmp_lg_u32 s2, 0
	s_cselect_b32 s2, s8, s3
	s_cselect_b32 s3, s9, s5
	v_readfirstlane_b32 s5, v1
	s_cmpk_gt_u32 s5, 0x9ff
	s_cselect_b32 s5, -1, 0
	s_cmp_eq_u32 s20, 0
	s_cselect_b32 s5, s5, -1
	s_cmp_lg_u32 s5, 0
	s_cselect_b32 s3, s3, s1
	s_cselect_b32 s2, s2, s0
	s_mul_i32 s0, s3, 0xa00
	s_mul_hi_u32 s1, s2, 0xa00
	s_add_i32 s1, s1, s0
	s_mul_i32 s0, s2, 0xa00
	s_sub_u32 s0, s14, s0
	s_subb_u32 s1, s15, s1
	s_cmp_lg_u64 s[0:1], 0
	s_cselect_b64 s[0:1], -1, 0
	v_cndmask_b32_e64 v1, 0, 1, s[0:1]
	v_readfirstlane_b32 s0, v1
	s_add_u32 s2, s2, s0
	s_addc_u32 s3, s3, 0
	s_add_u32 s8, s18, s6
	s_addc_u32 s9, s19, 0
	s_add_u32 s20, s2, -1
	s_addc_u32 s21, s3, -1
	v_pk_mov_b32 v[2:3], s[20:21], s[20:21] op_sel:[0,1]
	v_cmp_ge_u64_e64 s[0:1], s[8:9], v[2:3]
	s_mov_b32 s7, 0
	s_mov_b64 s[22:23], -1
	s_and_b64 vcc, exec, s[0:1]
	s_mul_i32 s15, s20, 0xfffff600
	s_cbranch_vccz .LBB611_12
; %bb.1:
	s_mov_b32 s5, s7
	s_add_i32 s28, s15, s14
	s_lshl_b64 s[22:23], s[4:5], 2
	s_add_u32 s22, s26, s22
	s_addc_u32 s23, s27, s23
	v_cmp_gt_u32_e32 vcc, s28, v0
                                        ; implicit-def: $vgpr2_vgpr3_vgpr4_vgpr5_vgpr6
	s_and_saveexec_b64 s[24:25], vcc
	s_cbranch_execz .LBB611_3
; %bb.2:
	v_lshlrev_b32_e32 v1, 2, v0
	global_load_dword v2, v1, s[22:23]
.LBB611_3:
	s_or_b64 exec, exec, s[24:25]
	v_or_b32_e32 v1, 0x200, v0
	v_cmp_gt_u32_e32 vcc, s28, v1
	s_and_saveexec_b64 s[24:25], vcc
	s_cbranch_execz .LBB611_5
; %bb.4:
	v_lshlrev_b32_e32 v1, 2, v0
	global_load_dword v3, v1, s[22:23] offset:2048
.LBB611_5:
	s_or_b64 exec, exec, s[24:25]
	v_or_b32_e32 v1, 0x400, v0
	v_cmp_gt_u32_e32 vcc, s28, v1
	s_and_saveexec_b64 s[24:25], vcc
	s_cbranch_execz .LBB611_7
; %bb.6:
	v_lshlrev_b32_e32 v1, 2, v1
	global_load_dword v4, v1, s[22:23]
.LBB611_7:
	s_or_b64 exec, exec, s[24:25]
	v_or_b32_e32 v1, 0x600, v0
	v_cmp_gt_u32_e32 vcc, s28, v1
	s_and_saveexec_b64 s[24:25], vcc
	s_cbranch_execz .LBB611_9
; %bb.8:
	v_lshlrev_b32_e32 v1, 2, v1
	global_load_dword v5, v1, s[22:23]
.LBB611_9:
	;; [unrolled: 9-line block ×3, first 2 shown]
	s_or_b64 exec, exec, s[24:25]
	v_lshlrev_b32_e32 v1, 2, v0
	s_mov_b64 s[22:23], 0
	s_waitcnt vmcnt(0)
	ds_write2st64_b32 v1, v2, v3 offset1:8
	ds_write2st64_b32 v1, v4, v5 offset0:16 offset1:24
	ds_write_b32 v1, v6 offset:8192
	s_waitcnt lgkmcnt(0)
	s_barrier
.LBB611_12:
	s_and_b64 vcc, exec, s[22:23]
	v_lshlrev_b32_e32 v1, 2, v0
	s_cbranch_vccz .LBB611_14
; %bb.13:
	s_mov_b32 s5, 0
	s_lshl_b64 s[22:23], s[4:5], 2
	s_add_u32 s22, s26, s22
	s_addc_u32 s23, s27, s23
	v_mov_b32_e32 v2, s23
	v_add_co_u32_e32 v4, vcc, s22, v1
	v_addc_co_u32_e32 v5, vcc, 0, v2, vcc
	v_add_co_u32_e32 v2, vcc, 0x1000, v4
	v_addc_co_u32_e32 v3, vcc, 0, v5, vcc
	global_load_dword v6, v1, s[22:23]
	global_load_dword v7, v1, s[22:23] offset:2048
	global_load_dword v8, v[2:3], off
	global_load_dword v9, v[2:3], off offset:2048
	v_add_co_u32_e32 v2, vcc, 0x2000, v4
	v_addc_co_u32_e32 v3, vcc, 0, v5, vcc
	global_load_dword v2, v[2:3], off
	s_waitcnt vmcnt(3)
	ds_write2st64_b32 v1, v6, v7 offset1:8
	s_waitcnt vmcnt(1)
	ds_write2st64_b32 v1, v8, v9 offset0:16 offset1:24
	s_waitcnt vmcnt(0)
	ds_write_b32 v1, v2 offset:8192
	s_waitcnt lgkmcnt(0)
	s_barrier
.LBB611_14:
	v_mul_u32_u24_e32 v2, 5, v0
	v_lshlrev_b32_e32 v3, 2, v2
	ds_read_b32 v2, v3
	ds_read2_b32 v[20:21], v3 offset0:1 offset1:2
	ds_read2_b32 v[22:23], v3 offset0:3 offset1:4
	s_cmp_eq_u64 s[8:9], 0
	s_waitcnt lgkmcnt(0)
	s_barrier
	s_cbranch_scc1 .LBB611_19
; %bb.15:
	s_lshl_b64 s[18:19], s[18:19], 2
	s_add_u32 s5, s16, s18
	s_addc_u32 s16, s17, s19
	s_lshl_b64 s[6:7], s[6:7], 2
	s_add_u32 s5, s5, s6
	s_addc_u32 s7, s16, s7
	s_add_u32 s6, s5, -4
	s_addc_u32 s7, s7, -1
	s_load_dword s5, s[6:7], 0x0
	s_cmp_eq_u64 s[8:9], s[20:21]
	s_cbranch_scc1 .LBB611_20
; %bb.16:
	v_cmp_ne_u32_e32 vcc, 0, v0
	s_waitcnt lgkmcnt(0)
	v_mov_b32_e32 v3, s5
	ds_write_b32 v1, v23
	s_waitcnt lgkmcnt(0)
	s_barrier
	s_and_saveexec_b64 s[6:7], vcc
	s_cbranch_execz .LBB611_18
; %bb.17:
	v_add_u32_e32 v3, -4, v1
	ds_read_b32 v3, v3
.LBB611_18:
	s_or_b64 exec, exec, s[6:7]
	v_add_u32_e32 v8, v23, v22
	v_add_u32_e32 v9, v22, v21
	;; [unrolled: 1-line block ×4, first 2 shown]
	s_cbranch_execz .LBB611_21
	s_branch .LBB611_24
.LBB611_19:
                                        ; implicit-def: $vgpr14_vgpr15_vgpr16_vgpr17_vgpr18
                                        ; implicit-def: $vgpr10_vgpr11_vgpr12_vgpr13_vgpr14
	s_mov_b64 s[6:7], 0
                                        ; implicit-def: $vgpr6_vgpr7_vgpr8_vgpr9_vgpr10
                                        ; implicit-def: $vgpr3
                                        ; implicit-def: $vgpr4_vgpr5_vgpr6_vgpr7_vgpr8
	s_branch .LBB611_25
.LBB611_20:
                                        ; implicit-def: $vgpr14_vgpr15_vgpr16_vgpr17_vgpr18
                                        ; implicit-def: $vgpr10_vgpr11_vgpr12_vgpr13_vgpr14
                                        ; implicit-def: $vgpr3
                                        ; implicit-def: $vgpr6_vgpr7_vgpr8_vgpr9_vgpr10
                                        ; implicit-def: $vgpr4_vgpr5_vgpr6_vgpr7_vgpr8
.LBB611_21:
	s_waitcnt lgkmcnt(0)
	v_mul_u32_u24_e32 v3, 5, v0
	v_cmp_ne_u32_e32 vcc, 0, v0
	v_mov_b32_e32 v4, s5
	ds_write_b32 v1, v23
	s_waitcnt lgkmcnt(0)
	s_barrier
	s_and_saveexec_b64 s[6:7], vcc
	s_cbranch_execz .LBB611_23
; %bb.22:
	v_add_u32_e32 v4, -4, v1
	ds_read_b32 v4, v4
.LBB611_23:
	s_or_b64 exec, exec, s[6:7]
	s_mul_i32 s5, s8, 0xfffff600
	s_add_i32 s5, s5, s14
	v_add_u32_e32 v5, 4, v3
	v_add_u32_e32 v6, v23, v22
	v_cmp_gt_u32_e32 vcc, s5, v5
	v_add_u32_e32 v5, 3, v3
	v_cndmask_b32_e32 v8, v23, v6, vcc
	v_add_u32_e32 v6, v22, v21
	v_cmp_gt_u32_e32 vcc, s5, v5
	v_add_u32_e32 v5, 2, v3
	v_cndmask_b32_e32 v9, v22, v6, vcc
	;; [unrolled: 4-line block ×3, first 2 shown]
	v_add_u32_e32 v6, v20, v2
	v_cmp_gt_u32_e32 vcc, s5, v5
	v_cndmask_b32_e32 v15, v20, v6, vcc
	v_cmp_gt_u32_e32 vcc, s5, v3
	s_waitcnt lgkmcnt(0)
	v_cndmask_b32_e32 v3, 0, v4, vcc
.LBB611_24:
	s_mov_b64 s[6:7], -1
	s_cbranch_execnz .LBB611_33
.LBB611_25:
	s_cmp_lg_u64 s[2:3], 1
	v_add_u32_e32 v9, v22, v21
	v_add_u32_e32 v8, v23, v22
	;; [unrolled: 1-line block ×4, first 2 shown]
	v_cmp_ne_u32_e32 vcc, 0, v0
	s_cbranch_scc0 .LBB611_29
; %bb.26:
	ds_write_b32 v1, v23
	s_waitcnt lgkmcnt(0)
	s_barrier
	s_waitcnt lgkmcnt(0)
                                        ; implicit-def: $vgpr3
	s_and_saveexec_b64 s[2:3], vcc
	s_cbranch_execz .LBB611_28
; %bb.27:
	v_add_u32_e32 v3, -4, v1
	ds_read_b32 v3, v3
	s_or_b64 s[6:7], s[6:7], exec
.LBB611_28:
	s_or_b64 exec, exec, s[2:3]
	s_branch .LBB611_33
.LBB611_29:
                                        ; implicit-def: $vgpr3
	s_cbranch_execz .LBB611_33
; %bb.30:
	v_mad_u32_u24 v4, v0, 5, 4
	v_cmp_gt_u32_e32 vcc, s14, v4
	v_mad_u32_u24 v4, v0, 5, 3
	v_cndmask_b32_e32 v8, v23, v8, vcc
	v_cmp_gt_u32_e32 vcc, s14, v4
	v_mad_u32_u24 v4, v0, 5, 2
	v_cndmask_b32_e32 v9, v22, v9, vcc
	v_cmp_gt_u32_e32 vcc, s14, v4
	v_mad_u32_u24 v4, v0, 5, 1
	s_waitcnt lgkmcnt(0)
	v_mul_u32_u24_e32 v3, 5, v0
	v_cndmask_b32_e32 v12, v21, v12, vcc
	v_cmp_gt_u32_e32 vcc, s14, v4
	v_cndmask_b32_e32 v15, v20, v15, vcc
	v_cmp_ne_u32_e32 vcc, 0, v0
	v_cmp_gt_u32_e64 s[2:3], s14, v3
	s_and_b64 s[8:9], vcc, s[2:3]
	ds_write_b32 v1, v23
	s_waitcnt lgkmcnt(0)
	s_barrier
	s_waitcnt lgkmcnt(0)
                                        ; implicit-def: $vgpr3
	s_and_saveexec_b64 s[2:3], s[8:9]
	s_cbranch_execz .LBB611_32
; %bb.31:
	v_add_u32_e32 v3, -4, v1
	ds_read_b32 v3, v3
	s_or_b64 s[6:7], s[6:7], exec
.LBB611_32:
	s_or_b64 exec, exec, s[2:3]
.LBB611_33:
	s_and_saveexec_b64 s[2:3], s[6:7]
	s_cbranch_execz .LBB611_35
; %bb.34:
	s_waitcnt lgkmcnt(0)
	v_add_u32_e32 v2, v3, v2
.LBB611_35:
	s_or_b64 exec, exec, s[2:3]
	s_add_u32 s6, s12, s10
	s_addc_u32 s7, s13, s11
	s_and_b64 vcc, exec, s[0:1]
	s_waitcnt lgkmcnt(0)
	v_mul_u32_u24_e32 v3, 20, v0
	v_lshlrev_b32_e32 v13, 4, v0
	s_barrier
	s_cbranch_vccz .LBB611_45
; %bb.36:
	s_mov_b32 s5, 0
	s_add_i32 s15, s15, s14
	s_lshl_b64 s[0:1], s[4:5], 2
	v_sub_u32_e32 v4, v3, v13
	s_add_u32 s0, s6, s0
	ds_write2_b32 v3, v2, v15 offset1:1
	ds_write2_b32 v3, v12, v9 offset0:2 offset1:3
	ds_write_b32 v3, v8 offset:16
	s_waitcnt lgkmcnt(0)
	s_barrier
	ds_read2st64_b32 v[10:11], v4 offset0:8 offset1:16
	ds_read2st64_b32 v[4:5], v4 offset0:24 offset1:32
	s_addc_u32 s1, s7, s1
	v_mov_b32_e32 v7, s1
	v_add_co_u32_e32 v6, vcc, s0, v1
	v_addc_co_u32_e32 v7, vcc, 0, v7, vcc
	v_cmp_gt_u32_e32 vcc, s15, v0
	s_and_saveexec_b64 s[0:1], vcc
	s_cbranch_execz .LBB611_38
; %bb.37:
	v_sub_u32_e32 v14, 0, v13
	v_add_u32_e32 v14, v3, v14
	ds_read_b32 v14, v14
	s_waitcnt lgkmcnt(0)
	global_store_dword v[6:7], v14, off
.LBB611_38:
	s_or_b64 exec, exec, s[0:1]
	v_or_b32_e32 v14, 0x200, v0
	v_cmp_gt_u32_e32 vcc, s15, v14
	s_and_saveexec_b64 s[0:1], vcc
	s_cbranch_execz .LBB611_40
; %bb.39:
	s_waitcnt lgkmcnt(1)
	global_store_dword v[6:7], v10, off offset:2048
.LBB611_40:
	s_or_b64 exec, exec, s[0:1]
	s_waitcnt lgkmcnt(1)
	v_or_b32_e32 v10, 0x400, v0
	v_cmp_gt_u32_e32 vcc, s15, v10
	s_and_saveexec_b64 s[0:1], vcc
	s_cbranch_execz .LBB611_42
; %bb.41:
	v_add_co_u32_e32 v16, vcc, 0x1000, v6
	v_addc_co_u32_e32 v17, vcc, 0, v7, vcc
	global_store_dword v[16:17], v11, off
.LBB611_42:
	s_or_b64 exec, exec, s[0:1]
	v_or_b32_e32 v10, 0x600, v0
	v_cmp_gt_u32_e32 vcc, s15, v10
	s_and_saveexec_b64 s[0:1], vcc
	s_cbranch_execz .LBB611_44
; %bb.43:
	v_add_co_u32_e32 v10, vcc, 0x1000, v6
	v_addc_co_u32_e32 v11, vcc, 0, v7, vcc
	s_waitcnt lgkmcnt(0)
	global_store_dword v[10:11], v4, off offset:2048
.LBB611_44:
	s_or_b64 exec, exec, s[0:1]
	v_or_b32_e32 v0, 0x800, v0
	v_cmp_gt_u32_e64 s[0:1], s15, v0
	s_branch .LBB611_47
.LBB611_45:
	s_mov_b64 s[0:1], 0
                                        ; implicit-def: $vgpr5
                                        ; implicit-def: $vgpr6_vgpr7
	s_cbranch_execz .LBB611_47
; %bb.46:
	s_mov_b32 s5, 0
	s_lshl_b64 s[2:3], s[4:5], 2
	s_add_u32 s2, s6, s2
	s_addc_u32 s3, s7, s3
	v_sub_u32_e32 v0, v3, v13
	ds_write2_b32 v3, v2, v15 offset1:1
	ds_write2_b32 v3, v12, v9 offset0:2 offset1:3
	ds_write_b32 v3, v8 offset:16
	s_waitcnt lgkmcnt(0)
	s_barrier
	ds_read2st64_b32 v[2:3], v0 offset1:8
	ds_read2st64_b32 v[8:9], v0 offset0:16 offset1:24
	ds_read_b32 v5, v0 offset:8192
	v_mov_b32_e32 v0, s3
	v_add_co_u32_e32 v6, vcc, s2, v1
	v_addc_co_u32_e32 v7, vcc, 0, v0, vcc
	v_add_co_u32_e32 v0, vcc, 0x1000, v6
	s_waitcnt lgkmcnt(2)
	global_store_dword v1, v2, s[2:3]
	global_store_dword v1, v3, s[2:3] offset:2048
	v_addc_co_u32_e32 v1, vcc, 0, v7, vcc
	s_or_b64 s[0:1], s[0:1], exec
	s_waitcnt lgkmcnt(1)
	global_store_dword v[0:1], v8, off
	global_store_dword v[0:1], v9, off offset:2048
.LBB611_47:
	s_and_saveexec_b64 s[2:3], s[0:1]
	s_cbranch_execnz .LBB611_49
; %bb.48:
	s_endpgm
.LBB611_49:
	v_add_co_u32_e32 v0, vcc, 0x2000, v6
	v_addc_co_u32_e32 v1, vcc, 0, v7, vcc
	s_waitcnt lgkmcnt(0)
	global_store_dword v[0:1], v5, off
	s_endpgm
	.section	.rodata,"a",@progbits
	.p2align	6, 0x0
	.amdhsa_kernel _ZN7rocprim17ROCPRIM_400000_NS6detail17trampoline_kernelINS0_14default_configENS1_35adjacent_difference_config_selectorILb1EjEEZNS1_24adjacent_difference_implIS3_Lb1ELb0EPKjPjN6thrust23THRUST_200600_302600_NS4plusIjEEEE10hipError_tPvRmT2_T3_mT4_P12ihipStream_tbEUlT_E_NS1_11comp_targetILNS1_3genE4ELNS1_11target_archE910ELNS1_3gpuE8ELNS1_3repE0EEENS1_30default_config_static_selectorELNS0_4arch9wavefront6targetE1EEEvT1_
		.amdhsa_group_segment_fixed_size 10240
		.amdhsa_private_segment_fixed_size 0
		.amdhsa_kernarg_size 56
		.amdhsa_user_sgpr_count 6
		.amdhsa_user_sgpr_private_segment_buffer 1
		.amdhsa_user_sgpr_dispatch_ptr 0
		.amdhsa_user_sgpr_queue_ptr 0
		.amdhsa_user_sgpr_kernarg_segment_ptr 1
		.amdhsa_user_sgpr_dispatch_id 0
		.amdhsa_user_sgpr_flat_scratch_init 0
		.amdhsa_user_sgpr_kernarg_preload_length 0
		.amdhsa_user_sgpr_kernarg_preload_offset 0
		.amdhsa_user_sgpr_private_segment_size 0
		.amdhsa_uses_dynamic_stack 0
		.amdhsa_system_sgpr_private_segment_wavefront_offset 0
		.amdhsa_system_sgpr_workgroup_id_x 1
		.amdhsa_system_sgpr_workgroup_id_y 0
		.amdhsa_system_sgpr_workgroup_id_z 0
		.amdhsa_system_sgpr_workgroup_info 0
		.amdhsa_system_vgpr_workitem_id 0
		.amdhsa_next_free_vgpr 24
		.amdhsa_next_free_sgpr 29
		.amdhsa_accum_offset 24
		.amdhsa_reserve_vcc 1
		.amdhsa_reserve_flat_scratch 0
		.amdhsa_float_round_mode_32 0
		.amdhsa_float_round_mode_16_64 0
		.amdhsa_float_denorm_mode_32 3
		.amdhsa_float_denorm_mode_16_64 3
		.amdhsa_dx10_clamp 1
		.amdhsa_ieee_mode 1
		.amdhsa_fp16_overflow 0
		.amdhsa_tg_split 0
		.amdhsa_exception_fp_ieee_invalid_op 0
		.amdhsa_exception_fp_denorm_src 0
		.amdhsa_exception_fp_ieee_div_zero 0
		.amdhsa_exception_fp_ieee_overflow 0
		.amdhsa_exception_fp_ieee_underflow 0
		.amdhsa_exception_fp_ieee_inexact 0
		.amdhsa_exception_int_div_zero 0
	.end_amdhsa_kernel
	.section	.text._ZN7rocprim17ROCPRIM_400000_NS6detail17trampoline_kernelINS0_14default_configENS1_35adjacent_difference_config_selectorILb1EjEEZNS1_24adjacent_difference_implIS3_Lb1ELb0EPKjPjN6thrust23THRUST_200600_302600_NS4plusIjEEEE10hipError_tPvRmT2_T3_mT4_P12ihipStream_tbEUlT_E_NS1_11comp_targetILNS1_3genE4ELNS1_11target_archE910ELNS1_3gpuE8ELNS1_3repE0EEENS1_30default_config_static_selectorELNS0_4arch9wavefront6targetE1EEEvT1_,"axG",@progbits,_ZN7rocprim17ROCPRIM_400000_NS6detail17trampoline_kernelINS0_14default_configENS1_35adjacent_difference_config_selectorILb1EjEEZNS1_24adjacent_difference_implIS3_Lb1ELb0EPKjPjN6thrust23THRUST_200600_302600_NS4plusIjEEEE10hipError_tPvRmT2_T3_mT4_P12ihipStream_tbEUlT_E_NS1_11comp_targetILNS1_3genE4ELNS1_11target_archE910ELNS1_3gpuE8ELNS1_3repE0EEENS1_30default_config_static_selectorELNS0_4arch9wavefront6targetE1EEEvT1_,comdat
.Lfunc_end611:
	.size	_ZN7rocprim17ROCPRIM_400000_NS6detail17trampoline_kernelINS0_14default_configENS1_35adjacent_difference_config_selectorILb1EjEEZNS1_24adjacent_difference_implIS3_Lb1ELb0EPKjPjN6thrust23THRUST_200600_302600_NS4plusIjEEEE10hipError_tPvRmT2_T3_mT4_P12ihipStream_tbEUlT_E_NS1_11comp_targetILNS1_3genE4ELNS1_11target_archE910ELNS1_3gpuE8ELNS1_3repE0EEENS1_30default_config_static_selectorELNS0_4arch9wavefront6targetE1EEEvT1_, .Lfunc_end611-_ZN7rocprim17ROCPRIM_400000_NS6detail17trampoline_kernelINS0_14default_configENS1_35adjacent_difference_config_selectorILb1EjEEZNS1_24adjacent_difference_implIS3_Lb1ELb0EPKjPjN6thrust23THRUST_200600_302600_NS4plusIjEEEE10hipError_tPvRmT2_T3_mT4_P12ihipStream_tbEUlT_E_NS1_11comp_targetILNS1_3genE4ELNS1_11target_archE910ELNS1_3gpuE8ELNS1_3repE0EEENS1_30default_config_static_selectorELNS0_4arch9wavefront6targetE1EEEvT1_
                                        ; -- End function
	.section	.AMDGPU.csdata,"",@progbits
; Kernel info:
; codeLenInByte = 1964
; NumSgprs: 33
; NumVgprs: 24
; NumAgprs: 0
; TotalNumVgprs: 24
; ScratchSize: 0
; MemoryBound: 0
; FloatMode: 240
; IeeeMode: 1
; LDSByteSize: 10240 bytes/workgroup (compile time only)
; SGPRBlocks: 4
; VGPRBlocks: 2
; NumSGPRsForWavesPerEU: 33
; NumVGPRsForWavesPerEU: 24
; AccumOffset: 24
; Occupancy: 8
; WaveLimiterHint : 1
; COMPUTE_PGM_RSRC2:SCRATCH_EN: 0
; COMPUTE_PGM_RSRC2:USER_SGPR: 6
; COMPUTE_PGM_RSRC2:TRAP_HANDLER: 0
; COMPUTE_PGM_RSRC2:TGID_X_EN: 1
; COMPUTE_PGM_RSRC2:TGID_Y_EN: 0
; COMPUTE_PGM_RSRC2:TGID_Z_EN: 0
; COMPUTE_PGM_RSRC2:TIDIG_COMP_CNT: 0
; COMPUTE_PGM_RSRC3_GFX90A:ACCUM_OFFSET: 5
; COMPUTE_PGM_RSRC3_GFX90A:TG_SPLIT: 0
	.section	.text._ZN7rocprim17ROCPRIM_400000_NS6detail17trampoline_kernelINS0_14default_configENS1_35adjacent_difference_config_selectorILb1EjEEZNS1_24adjacent_difference_implIS3_Lb1ELb0EPKjPjN6thrust23THRUST_200600_302600_NS4plusIjEEEE10hipError_tPvRmT2_T3_mT4_P12ihipStream_tbEUlT_E_NS1_11comp_targetILNS1_3genE3ELNS1_11target_archE908ELNS1_3gpuE7ELNS1_3repE0EEENS1_30default_config_static_selectorELNS0_4arch9wavefront6targetE1EEEvT1_,"axG",@progbits,_ZN7rocprim17ROCPRIM_400000_NS6detail17trampoline_kernelINS0_14default_configENS1_35adjacent_difference_config_selectorILb1EjEEZNS1_24adjacent_difference_implIS3_Lb1ELb0EPKjPjN6thrust23THRUST_200600_302600_NS4plusIjEEEE10hipError_tPvRmT2_T3_mT4_P12ihipStream_tbEUlT_E_NS1_11comp_targetILNS1_3genE3ELNS1_11target_archE908ELNS1_3gpuE7ELNS1_3repE0EEENS1_30default_config_static_selectorELNS0_4arch9wavefront6targetE1EEEvT1_,comdat
	.protected	_ZN7rocprim17ROCPRIM_400000_NS6detail17trampoline_kernelINS0_14default_configENS1_35adjacent_difference_config_selectorILb1EjEEZNS1_24adjacent_difference_implIS3_Lb1ELb0EPKjPjN6thrust23THRUST_200600_302600_NS4plusIjEEEE10hipError_tPvRmT2_T3_mT4_P12ihipStream_tbEUlT_E_NS1_11comp_targetILNS1_3genE3ELNS1_11target_archE908ELNS1_3gpuE7ELNS1_3repE0EEENS1_30default_config_static_selectorELNS0_4arch9wavefront6targetE1EEEvT1_ ; -- Begin function _ZN7rocprim17ROCPRIM_400000_NS6detail17trampoline_kernelINS0_14default_configENS1_35adjacent_difference_config_selectorILb1EjEEZNS1_24adjacent_difference_implIS3_Lb1ELb0EPKjPjN6thrust23THRUST_200600_302600_NS4plusIjEEEE10hipError_tPvRmT2_T3_mT4_P12ihipStream_tbEUlT_E_NS1_11comp_targetILNS1_3genE3ELNS1_11target_archE908ELNS1_3gpuE7ELNS1_3repE0EEENS1_30default_config_static_selectorELNS0_4arch9wavefront6targetE1EEEvT1_
	.globl	_ZN7rocprim17ROCPRIM_400000_NS6detail17trampoline_kernelINS0_14default_configENS1_35adjacent_difference_config_selectorILb1EjEEZNS1_24adjacent_difference_implIS3_Lb1ELb0EPKjPjN6thrust23THRUST_200600_302600_NS4plusIjEEEE10hipError_tPvRmT2_T3_mT4_P12ihipStream_tbEUlT_E_NS1_11comp_targetILNS1_3genE3ELNS1_11target_archE908ELNS1_3gpuE7ELNS1_3repE0EEENS1_30default_config_static_selectorELNS0_4arch9wavefront6targetE1EEEvT1_
	.p2align	8
	.type	_ZN7rocprim17ROCPRIM_400000_NS6detail17trampoline_kernelINS0_14default_configENS1_35adjacent_difference_config_selectorILb1EjEEZNS1_24adjacent_difference_implIS3_Lb1ELb0EPKjPjN6thrust23THRUST_200600_302600_NS4plusIjEEEE10hipError_tPvRmT2_T3_mT4_P12ihipStream_tbEUlT_E_NS1_11comp_targetILNS1_3genE3ELNS1_11target_archE908ELNS1_3gpuE7ELNS1_3repE0EEENS1_30default_config_static_selectorELNS0_4arch9wavefront6targetE1EEEvT1_,@function
_ZN7rocprim17ROCPRIM_400000_NS6detail17trampoline_kernelINS0_14default_configENS1_35adjacent_difference_config_selectorILb1EjEEZNS1_24adjacent_difference_implIS3_Lb1ELb0EPKjPjN6thrust23THRUST_200600_302600_NS4plusIjEEEE10hipError_tPvRmT2_T3_mT4_P12ihipStream_tbEUlT_E_NS1_11comp_targetILNS1_3genE3ELNS1_11target_archE908ELNS1_3gpuE7ELNS1_3repE0EEENS1_30default_config_static_selectorELNS0_4arch9wavefront6targetE1EEEvT1_: ; @_ZN7rocprim17ROCPRIM_400000_NS6detail17trampoline_kernelINS0_14default_configENS1_35adjacent_difference_config_selectorILb1EjEEZNS1_24adjacent_difference_implIS3_Lb1ELb0EPKjPjN6thrust23THRUST_200600_302600_NS4plusIjEEEE10hipError_tPvRmT2_T3_mT4_P12ihipStream_tbEUlT_E_NS1_11comp_targetILNS1_3genE3ELNS1_11target_archE908ELNS1_3gpuE7ELNS1_3repE0EEENS1_30default_config_static_selectorELNS0_4arch9wavefront6targetE1EEEvT1_
; %bb.0:
	.section	.rodata,"a",@progbits
	.p2align	6, 0x0
	.amdhsa_kernel _ZN7rocprim17ROCPRIM_400000_NS6detail17trampoline_kernelINS0_14default_configENS1_35adjacent_difference_config_selectorILb1EjEEZNS1_24adjacent_difference_implIS3_Lb1ELb0EPKjPjN6thrust23THRUST_200600_302600_NS4plusIjEEEE10hipError_tPvRmT2_T3_mT4_P12ihipStream_tbEUlT_E_NS1_11comp_targetILNS1_3genE3ELNS1_11target_archE908ELNS1_3gpuE7ELNS1_3repE0EEENS1_30default_config_static_selectorELNS0_4arch9wavefront6targetE1EEEvT1_
		.amdhsa_group_segment_fixed_size 0
		.amdhsa_private_segment_fixed_size 0
		.amdhsa_kernarg_size 56
		.amdhsa_user_sgpr_count 6
		.amdhsa_user_sgpr_private_segment_buffer 1
		.amdhsa_user_sgpr_dispatch_ptr 0
		.amdhsa_user_sgpr_queue_ptr 0
		.amdhsa_user_sgpr_kernarg_segment_ptr 1
		.amdhsa_user_sgpr_dispatch_id 0
		.amdhsa_user_sgpr_flat_scratch_init 0
		.amdhsa_user_sgpr_kernarg_preload_length 0
		.amdhsa_user_sgpr_kernarg_preload_offset 0
		.amdhsa_user_sgpr_private_segment_size 0
		.amdhsa_uses_dynamic_stack 0
		.amdhsa_system_sgpr_private_segment_wavefront_offset 0
		.amdhsa_system_sgpr_workgroup_id_x 1
		.amdhsa_system_sgpr_workgroup_id_y 0
		.amdhsa_system_sgpr_workgroup_id_z 0
		.amdhsa_system_sgpr_workgroup_info 0
		.amdhsa_system_vgpr_workitem_id 0
		.amdhsa_next_free_vgpr 1
		.amdhsa_next_free_sgpr 0
		.amdhsa_accum_offset 4
		.amdhsa_reserve_vcc 0
		.amdhsa_reserve_flat_scratch 0
		.amdhsa_float_round_mode_32 0
		.amdhsa_float_round_mode_16_64 0
		.amdhsa_float_denorm_mode_32 3
		.amdhsa_float_denorm_mode_16_64 3
		.amdhsa_dx10_clamp 1
		.amdhsa_ieee_mode 1
		.amdhsa_fp16_overflow 0
		.amdhsa_tg_split 0
		.amdhsa_exception_fp_ieee_invalid_op 0
		.amdhsa_exception_fp_denorm_src 0
		.amdhsa_exception_fp_ieee_div_zero 0
		.amdhsa_exception_fp_ieee_overflow 0
		.amdhsa_exception_fp_ieee_underflow 0
		.amdhsa_exception_fp_ieee_inexact 0
		.amdhsa_exception_int_div_zero 0
	.end_amdhsa_kernel
	.section	.text._ZN7rocprim17ROCPRIM_400000_NS6detail17trampoline_kernelINS0_14default_configENS1_35adjacent_difference_config_selectorILb1EjEEZNS1_24adjacent_difference_implIS3_Lb1ELb0EPKjPjN6thrust23THRUST_200600_302600_NS4plusIjEEEE10hipError_tPvRmT2_T3_mT4_P12ihipStream_tbEUlT_E_NS1_11comp_targetILNS1_3genE3ELNS1_11target_archE908ELNS1_3gpuE7ELNS1_3repE0EEENS1_30default_config_static_selectorELNS0_4arch9wavefront6targetE1EEEvT1_,"axG",@progbits,_ZN7rocprim17ROCPRIM_400000_NS6detail17trampoline_kernelINS0_14default_configENS1_35adjacent_difference_config_selectorILb1EjEEZNS1_24adjacent_difference_implIS3_Lb1ELb0EPKjPjN6thrust23THRUST_200600_302600_NS4plusIjEEEE10hipError_tPvRmT2_T3_mT4_P12ihipStream_tbEUlT_E_NS1_11comp_targetILNS1_3genE3ELNS1_11target_archE908ELNS1_3gpuE7ELNS1_3repE0EEENS1_30default_config_static_selectorELNS0_4arch9wavefront6targetE1EEEvT1_,comdat
.Lfunc_end612:
	.size	_ZN7rocprim17ROCPRIM_400000_NS6detail17trampoline_kernelINS0_14default_configENS1_35adjacent_difference_config_selectorILb1EjEEZNS1_24adjacent_difference_implIS3_Lb1ELb0EPKjPjN6thrust23THRUST_200600_302600_NS4plusIjEEEE10hipError_tPvRmT2_T3_mT4_P12ihipStream_tbEUlT_E_NS1_11comp_targetILNS1_3genE3ELNS1_11target_archE908ELNS1_3gpuE7ELNS1_3repE0EEENS1_30default_config_static_selectorELNS0_4arch9wavefront6targetE1EEEvT1_, .Lfunc_end612-_ZN7rocprim17ROCPRIM_400000_NS6detail17trampoline_kernelINS0_14default_configENS1_35adjacent_difference_config_selectorILb1EjEEZNS1_24adjacent_difference_implIS3_Lb1ELb0EPKjPjN6thrust23THRUST_200600_302600_NS4plusIjEEEE10hipError_tPvRmT2_T3_mT4_P12ihipStream_tbEUlT_E_NS1_11comp_targetILNS1_3genE3ELNS1_11target_archE908ELNS1_3gpuE7ELNS1_3repE0EEENS1_30default_config_static_selectorELNS0_4arch9wavefront6targetE1EEEvT1_
                                        ; -- End function
	.section	.AMDGPU.csdata,"",@progbits
; Kernel info:
; codeLenInByte = 0
; NumSgprs: 4
; NumVgprs: 0
; NumAgprs: 0
; TotalNumVgprs: 0
; ScratchSize: 0
; MemoryBound: 0
; FloatMode: 240
; IeeeMode: 1
; LDSByteSize: 0 bytes/workgroup (compile time only)
; SGPRBlocks: 0
; VGPRBlocks: 0
; NumSGPRsForWavesPerEU: 4
; NumVGPRsForWavesPerEU: 1
; AccumOffset: 4
; Occupancy: 8
; WaveLimiterHint : 0
; COMPUTE_PGM_RSRC2:SCRATCH_EN: 0
; COMPUTE_PGM_RSRC2:USER_SGPR: 6
; COMPUTE_PGM_RSRC2:TRAP_HANDLER: 0
; COMPUTE_PGM_RSRC2:TGID_X_EN: 1
; COMPUTE_PGM_RSRC2:TGID_Y_EN: 0
; COMPUTE_PGM_RSRC2:TGID_Z_EN: 0
; COMPUTE_PGM_RSRC2:TIDIG_COMP_CNT: 0
; COMPUTE_PGM_RSRC3_GFX90A:ACCUM_OFFSET: 0
; COMPUTE_PGM_RSRC3_GFX90A:TG_SPLIT: 0
	.section	.text._ZN7rocprim17ROCPRIM_400000_NS6detail17trampoline_kernelINS0_14default_configENS1_35adjacent_difference_config_selectorILb1EjEEZNS1_24adjacent_difference_implIS3_Lb1ELb0EPKjPjN6thrust23THRUST_200600_302600_NS4plusIjEEEE10hipError_tPvRmT2_T3_mT4_P12ihipStream_tbEUlT_E_NS1_11comp_targetILNS1_3genE2ELNS1_11target_archE906ELNS1_3gpuE6ELNS1_3repE0EEENS1_30default_config_static_selectorELNS0_4arch9wavefront6targetE1EEEvT1_,"axG",@progbits,_ZN7rocprim17ROCPRIM_400000_NS6detail17trampoline_kernelINS0_14default_configENS1_35adjacent_difference_config_selectorILb1EjEEZNS1_24adjacent_difference_implIS3_Lb1ELb0EPKjPjN6thrust23THRUST_200600_302600_NS4plusIjEEEE10hipError_tPvRmT2_T3_mT4_P12ihipStream_tbEUlT_E_NS1_11comp_targetILNS1_3genE2ELNS1_11target_archE906ELNS1_3gpuE6ELNS1_3repE0EEENS1_30default_config_static_selectorELNS0_4arch9wavefront6targetE1EEEvT1_,comdat
	.protected	_ZN7rocprim17ROCPRIM_400000_NS6detail17trampoline_kernelINS0_14default_configENS1_35adjacent_difference_config_selectorILb1EjEEZNS1_24adjacent_difference_implIS3_Lb1ELb0EPKjPjN6thrust23THRUST_200600_302600_NS4plusIjEEEE10hipError_tPvRmT2_T3_mT4_P12ihipStream_tbEUlT_E_NS1_11comp_targetILNS1_3genE2ELNS1_11target_archE906ELNS1_3gpuE6ELNS1_3repE0EEENS1_30default_config_static_selectorELNS0_4arch9wavefront6targetE1EEEvT1_ ; -- Begin function _ZN7rocprim17ROCPRIM_400000_NS6detail17trampoline_kernelINS0_14default_configENS1_35adjacent_difference_config_selectorILb1EjEEZNS1_24adjacent_difference_implIS3_Lb1ELb0EPKjPjN6thrust23THRUST_200600_302600_NS4plusIjEEEE10hipError_tPvRmT2_T3_mT4_P12ihipStream_tbEUlT_E_NS1_11comp_targetILNS1_3genE2ELNS1_11target_archE906ELNS1_3gpuE6ELNS1_3repE0EEENS1_30default_config_static_selectorELNS0_4arch9wavefront6targetE1EEEvT1_
	.globl	_ZN7rocprim17ROCPRIM_400000_NS6detail17trampoline_kernelINS0_14default_configENS1_35adjacent_difference_config_selectorILb1EjEEZNS1_24adjacent_difference_implIS3_Lb1ELb0EPKjPjN6thrust23THRUST_200600_302600_NS4plusIjEEEE10hipError_tPvRmT2_T3_mT4_P12ihipStream_tbEUlT_E_NS1_11comp_targetILNS1_3genE2ELNS1_11target_archE906ELNS1_3gpuE6ELNS1_3repE0EEENS1_30default_config_static_selectorELNS0_4arch9wavefront6targetE1EEEvT1_
	.p2align	8
	.type	_ZN7rocprim17ROCPRIM_400000_NS6detail17trampoline_kernelINS0_14default_configENS1_35adjacent_difference_config_selectorILb1EjEEZNS1_24adjacent_difference_implIS3_Lb1ELb0EPKjPjN6thrust23THRUST_200600_302600_NS4plusIjEEEE10hipError_tPvRmT2_T3_mT4_P12ihipStream_tbEUlT_E_NS1_11comp_targetILNS1_3genE2ELNS1_11target_archE906ELNS1_3gpuE6ELNS1_3repE0EEENS1_30default_config_static_selectorELNS0_4arch9wavefront6targetE1EEEvT1_,@function
_ZN7rocprim17ROCPRIM_400000_NS6detail17trampoline_kernelINS0_14default_configENS1_35adjacent_difference_config_selectorILb1EjEEZNS1_24adjacent_difference_implIS3_Lb1ELb0EPKjPjN6thrust23THRUST_200600_302600_NS4plusIjEEEE10hipError_tPvRmT2_T3_mT4_P12ihipStream_tbEUlT_E_NS1_11comp_targetILNS1_3genE2ELNS1_11target_archE906ELNS1_3gpuE6ELNS1_3repE0EEENS1_30default_config_static_selectorELNS0_4arch9wavefront6targetE1EEEvT1_: ; @_ZN7rocprim17ROCPRIM_400000_NS6detail17trampoline_kernelINS0_14default_configENS1_35adjacent_difference_config_selectorILb1EjEEZNS1_24adjacent_difference_implIS3_Lb1ELb0EPKjPjN6thrust23THRUST_200600_302600_NS4plusIjEEEE10hipError_tPvRmT2_T3_mT4_P12ihipStream_tbEUlT_E_NS1_11comp_targetILNS1_3genE2ELNS1_11target_archE906ELNS1_3gpuE6ELNS1_3repE0EEENS1_30default_config_static_selectorELNS0_4arch9wavefront6targetE1EEEvT1_
; %bb.0:
	.section	.rodata,"a",@progbits
	.p2align	6, 0x0
	.amdhsa_kernel _ZN7rocprim17ROCPRIM_400000_NS6detail17trampoline_kernelINS0_14default_configENS1_35adjacent_difference_config_selectorILb1EjEEZNS1_24adjacent_difference_implIS3_Lb1ELb0EPKjPjN6thrust23THRUST_200600_302600_NS4plusIjEEEE10hipError_tPvRmT2_T3_mT4_P12ihipStream_tbEUlT_E_NS1_11comp_targetILNS1_3genE2ELNS1_11target_archE906ELNS1_3gpuE6ELNS1_3repE0EEENS1_30default_config_static_selectorELNS0_4arch9wavefront6targetE1EEEvT1_
		.amdhsa_group_segment_fixed_size 0
		.amdhsa_private_segment_fixed_size 0
		.amdhsa_kernarg_size 56
		.amdhsa_user_sgpr_count 6
		.amdhsa_user_sgpr_private_segment_buffer 1
		.amdhsa_user_sgpr_dispatch_ptr 0
		.amdhsa_user_sgpr_queue_ptr 0
		.amdhsa_user_sgpr_kernarg_segment_ptr 1
		.amdhsa_user_sgpr_dispatch_id 0
		.amdhsa_user_sgpr_flat_scratch_init 0
		.amdhsa_user_sgpr_kernarg_preload_length 0
		.amdhsa_user_sgpr_kernarg_preload_offset 0
		.amdhsa_user_sgpr_private_segment_size 0
		.amdhsa_uses_dynamic_stack 0
		.amdhsa_system_sgpr_private_segment_wavefront_offset 0
		.amdhsa_system_sgpr_workgroup_id_x 1
		.amdhsa_system_sgpr_workgroup_id_y 0
		.amdhsa_system_sgpr_workgroup_id_z 0
		.amdhsa_system_sgpr_workgroup_info 0
		.amdhsa_system_vgpr_workitem_id 0
		.amdhsa_next_free_vgpr 1
		.amdhsa_next_free_sgpr 0
		.amdhsa_accum_offset 4
		.amdhsa_reserve_vcc 0
		.amdhsa_reserve_flat_scratch 0
		.amdhsa_float_round_mode_32 0
		.amdhsa_float_round_mode_16_64 0
		.amdhsa_float_denorm_mode_32 3
		.amdhsa_float_denorm_mode_16_64 3
		.amdhsa_dx10_clamp 1
		.amdhsa_ieee_mode 1
		.amdhsa_fp16_overflow 0
		.amdhsa_tg_split 0
		.amdhsa_exception_fp_ieee_invalid_op 0
		.amdhsa_exception_fp_denorm_src 0
		.amdhsa_exception_fp_ieee_div_zero 0
		.amdhsa_exception_fp_ieee_overflow 0
		.amdhsa_exception_fp_ieee_underflow 0
		.amdhsa_exception_fp_ieee_inexact 0
		.amdhsa_exception_int_div_zero 0
	.end_amdhsa_kernel
	.section	.text._ZN7rocprim17ROCPRIM_400000_NS6detail17trampoline_kernelINS0_14default_configENS1_35adjacent_difference_config_selectorILb1EjEEZNS1_24adjacent_difference_implIS3_Lb1ELb0EPKjPjN6thrust23THRUST_200600_302600_NS4plusIjEEEE10hipError_tPvRmT2_T3_mT4_P12ihipStream_tbEUlT_E_NS1_11comp_targetILNS1_3genE2ELNS1_11target_archE906ELNS1_3gpuE6ELNS1_3repE0EEENS1_30default_config_static_selectorELNS0_4arch9wavefront6targetE1EEEvT1_,"axG",@progbits,_ZN7rocprim17ROCPRIM_400000_NS6detail17trampoline_kernelINS0_14default_configENS1_35adjacent_difference_config_selectorILb1EjEEZNS1_24adjacent_difference_implIS3_Lb1ELb0EPKjPjN6thrust23THRUST_200600_302600_NS4plusIjEEEE10hipError_tPvRmT2_T3_mT4_P12ihipStream_tbEUlT_E_NS1_11comp_targetILNS1_3genE2ELNS1_11target_archE906ELNS1_3gpuE6ELNS1_3repE0EEENS1_30default_config_static_selectorELNS0_4arch9wavefront6targetE1EEEvT1_,comdat
.Lfunc_end613:
	.size	_ZN7rocprim17ROCPRIM_400000_NS6detail17trampoline_kernelINS0_14default_configENS1_35adjacent_difference_config_selectorILb1EjEEZNS1_24adjacent_difference_implIS3_Lb1ELb0EPKjPjN6thrust23THRUST_200600_302600_NS4plusIjEEEE10hipError_tPvRmT2_T3_mT4_P12ihipStream_tbEUlT_E_NS1_11comp_targetILNS1_3genE2ELNS1_11target_archE906ELNS1_3gpuE6ELNS1_3repE0EEENS1_30default_config_static_selectorELNS0_4arch9wavefront6targetE1EEEvT1_, .Lfunc_end613-_ZN7rocprim17ROCPRIM_400000_NS6detail17trampoline_kernelINS0_14default_configENS1_35adjacent_difference_config_selectorILb1EjEEZNS1_24adjacent_difference_implIS3_Lb1ELb0EPKjPjN6thrust23THRUST_200600_302600_NS4plusIjEEEE10hipError_tPvRmT2_T3_mT4_P12ihipStream_tbEUlT_E_NS1_11comp_targetILNS1_3genE2ELNS1_11target_archE906ELNS1_3gpuE6ELNS1_3repE0EEENS1_30default_config_static_selectorELNS0_4arch9wavefront6targetE1EEEvT1_
                                        ; -- End function
	.section	.AMDGPU.csdata,"",@progbits
; Kernel info:
; codeLenInByte = 0
; NumSgprs: 4
; NumVgprs: 0
; NumAgprs: 0
; TotalNumVgprs: 0
; ScratchSize: 0
; MemoryBound: 0
; FloatMode: 240
; IeeeMode: 1
; LDSByteSize: 0 bytes/workgroup (compile time only)
; SGPRBlocks: 0
; VGPRBlocks: 0
; NumSGPRsForWavesPerEU: 4
; NumVGPRsForWavesPerEU: 1
; AccumOffset: 4
; Occupancy: 8
; WaveLimiterHint : 0
; COMPUTE_PGM_RSRC2:SCRATCH_EN: 0
; COMPUTE_PGM_RSRC2:USER_SGPR: 6
; COMPUTE_PGM_RSRC2:TRAP_HANDLER: 0
; COMPUTE_PGM_RSRC2:TGID_X_EN: 1
; COMPUTE_PGM_RSRC2:TGID_Y_EN: 0
; COMPUTE_PGM_RSRC2:TGID_Z_EN: 0
; COMPUTE_PGM_RSRC2:TIDIG_COMP_CNT: 0
; COMPUTE_PGM_RSRC3_GFX90A:ACCUM_OFFSET: 0
; COMPUTE_PGM_RSRC3_GFX90A:TG_SPLIT: 0
	.section	.text._ZN7rocprim17ROCPRIM_400000_NS6detail17trampoline_kernelINS0_14default_configENS1_35adjacent_difference_config_selectorILb1EjEEZNS1_24adjacent_difference_implIS3_Lb1ELb0EPKjPjN6thrust23THRUST_200600_302600_NS4plusIjEEEE10hipError_tPvRmT2_T3_mT4_P12ihipStream_tbEUlT_E_NS1_11comp_targetILNS1_3genE9ELNS1_11target_archE1100ELNS1_3gpuE3ELNS1_3repE0EEENS1_30default_config_static_selectorELNS0_4arch9wavefront6targetE1EEEvT1_,"axG",@progbits,_ZN7rocprim17ROCPRIM_400000_NS6detail17trampoline_kernelINS0_14default_configENS1_35adjacent_difference_config_selectorILb1EjEEZNS1_24adjacent_difference_implIS3_Lb1ELb0EPKjPjN6thrust23THRUST_200600_302600_NS4plusIjEEEE10hipError_tPvRmT2_T3_mT4_P12ihipStream_tbEUlT_E_NS1_11comp_targetILNS1_3genE9ELNS1_11target_archE1100ELNS1_3gpuE3ELNS1_3repE0EEENS1_30default_config_static_selectorELNS0_4arch9wavefront6targetE1EEEvT1_,comdat
	.protected	_ZN7rocprim17ROCPRIM_400000_NS6detail17trampoline_kernelINS0_14default_configENS1_35adjacent_difference_config_selectorILb1EjEEZNS1_24adjacent_difference_implIS3_Lb1ELb0EPKjPjN6thrust23THRUST_200600_302600_NS4plusIjEEEE10hipError_tPvRmT2_T3_mT4_P12ihipStream_tbEUlT_E_NS1_11comp_targetILNS1_3genE9ELNS1_11target_archE1100ELNS1_3gpuE3ELNS1_3repE0EEENS1_30default_config_static_selectorELNS0_4arch9wavefront6targetE1EEEvT1_ ; -- Begin function _ZN7rocprim17ROCPRIM_400000_NS6detail17trampoline_kernelINS0_14default_configENS1_35adjacent_difference_config_selectorILb1EjEEZNS1_24adjacent_difference_implIS3_Lb1ELb0EPKjPjN6thrust23THRUST_200600_302600_NS4plusIjEEEE10hipError_tPvRmT2_T3_mT4_P12ihipStream_tbEUlT_E_NS1_11comp_targetILNS1_3genE9ELNS1_11target_archE1100ELNS1_3gpuE3ELNS1_3repE0EEENS1_30default_config_static_selectorELNS0_4arch9wavefront6targetE1EEEvT1_
	.globl	_ZN7rocprim17ROCPRIM_400000_NS6detail17trampoline_kernelINS0_14default_configENS1_35adjacent_difference_config_selectorILb1EjEEZNS1_24adjacent_difference_implIS3_Lb1ELb0EPKjPjN6thrust23THRUST_200600_302600_NS4plusIjEEEE10hipError_tPvRmT2_T3_mT4_P12ihipStream_tbEUlT_E_NS1_11comp_targetILNS1_3genE9ELNS1_11target_archE1100ELNS1_3gpuE3ELNS1_3repE0EEENS1_30default_config_static_selectorELNS0_4arch9wavefront6targetE1EEEvT1_
	.p2align	8
	.type	_ZN7rocprim17ROCPRIM_400000_NS6detail17trampoline_kernelINS0_14default_configENS1_35adjacent_difference_config_selectorILb1EjEEZNS1_24adjacent_difference_implIS3_Lb1ELb0EPKjPjN6thrust23THRUST_200600_302600_NS4plusIjEEEE10hipError_tPvRmT2_T3_mT4_P12ihipStream_tbEUlT_E_NS1_11comp_targetILNS1_3genE9ELNS1_11target_archE1100ELNS1_3gpuE3ELNS1_3repE0EEENS1_30default_config_static_selectorELNS0_4arch9wavefront6targetE1EEEvT1_,@function
_ZN7rocprim17ROCPRIM_400000_NS6detail17trampoline_kernelINS0_14default_configENS1_35adjacent_difference_config_selectorILb1EjEEZNS1_24adjacent_difference_implIS3_Lb1ELb0EPKjPjN6thrust23THRUST_200600_302600_NS4plusIjEEEE10hipError_tPvRmT2_T3_mT4_P12ihipStream_tbEUlT_E_NS1_11comp_targetILNS1_3genE9ELNS1_11target_archE1100ELNS1_3gpuE3ELNS1_3repE0EEENS1_30default_config_static_selectorELNS0_4arch9wavefront6targetE1EEEvT1_: ; @_ZN7rocprim17ROCPRIM_400000_NS6detail17trampoline_kernelINS0_14default_configENS1_35adjacent_difference_config_selectorILb1EjEEZNS1_24adjacent_difference_implIS3_Lb1ELb0EPKjPjN6thrust23THRUST_200600_302600_NS4plusIjEEEE10hipError_tPvRmT2_T3_mT4_P12ihipStream_tbEUlT_E_NS1_11comp_targetILNS1_3genE9ELNS1_11target_archE1100ELNS1_3gpuE3ELNS1_3repE0EEENS1_30default_config_static_selectorELNS0_4arch9wavefront6targetE1EEEvT1_
; %bb.0:
	.section	.rodata,"a",@progbits
	.p2align	6, 0x0
	.amdhsa_kernel _ZN7rocprim17ROCPRIM_400000_NS6detail17trampoline_kernelINS0_14default_configENS1_35adjacent_difference_config_selectorILb1EjEEZNS1_24adjacent_difference_implIS3_Lb1ELb0EPKjPjN6thrust23THRUST_200600_302600_NS4plusIjEEEE10hipError_tPvRmT2_T3_mT4_P12ihipStream_tbEUlT_E_NS1_11comp_targetILNS1_3genE9ELNS1_11target_archE1100ELNS1_3gpuE3ELNS1_3repE0EEENS1_30default_config_static_selectorELNS0_4arch9wavefront6targetE1EEEvT1_
		.amdhsa_group_segment_fixed_size 0
		.amdhsa_private_segment_fixed_size 0
		.amdhsa_kernarg_size 56
		.amdhsa_user_sgpr_count 6
		.amdhsa_user_sgpr_private_segment_buffer 1
		.amdhsa_user_sgpr_dispatch_ptr 0
		.amdhsa_user_sgpr_queue_ptr 0
		.amdhsa_user_sgpr_kernarg_segment_ptr 1
		.amdhsa_user_sgpr_dispatch_id 0
		.amdhsa_user_sgpr_flat_scratch_init 0
		.amdhsa_user_sgpr_kernarg_preload_length 0
		.amdhsa_user_sgpr_kernarg_preload_offset 0
		.amdhsa_user_sgpr_private_segment_size 0
		.amdhsa_uses_dynamic_stack 0
		.amdhsa_system_sgpr_private_segment_wavefront_offset 0
		.amdhsa_system_sgpr_workgroup_id_x 1
		.amdhsa_system_sgpr_workgroup_id_y 0
		.amdhsa_system_sgpr_workgroup_id_z 0
		.amdhsa_system_sgpr_workgroup_info 0
		.amdhsa_system_vgpr_workitem_id 0
		.amdhsa_next_free_vgpr 1
		.amdhsa_next_free_sgpr 0
		.amdhsa_accum_offset 4
		.amdhsa_reserve_vcc 0
		.amdhsa_reserve_flat_scratch 0
		.amdhsa_float_round_mode_32 0
		.amdhsa_float_round_mode_16_64 0
		.amdhsa_float_denorm_mode_32 3
		.amdhsa_float_denorm_mode_16_64 3
		.amdhsa_dx10_clamp 1
		.amdhsa_ieee_mode 1
		.amdhsa_fp16_overflow 0
		.amdhsa_tg_split 0
		.amdhsa_exception_fp_ieee_invalid_op 0
		.amdhsa_exception_fp_denorm_src 0
		.amdhsa_exception_fp_ieee_div_zero 0
		.amdhsa_exception_fp_ieee_overflow 0
		.amdhsa_exception_fp_ieee_underflow 0
		.amdhsa_exception_fp_ieee_inexact 0
		.amdhsa_exception_int_div_zero 0
	.end_amdhsa_kernel
	.section	.text._ZN7rocprim17ROCPRIM_400000_NS6detail17trampoline_kernelINS0_14default_configENS1_35adjacent_difference_config_selectorILb1EjEEZNS1_24adjacent_difference_implIS3_Lb1ELb0EPKjPjN6thrust23THRUST_200600_302600_NS4plusIjEEEE10hipError_tPvRmT2_T3_mT4_P12ihipStream_tbEUlT_E_NS1_11comp_targetILNS1_3genE9ELNS1_11target_archE1100ELNS1_3gpuE3ELNS1_3repE0EEENS1_30default_config_static_selectorELNS0_4arch9wavefront6targetE1EEEvT1_,"axG",@progbits,_ZN7rocprim17ROCPRIM_400000_NS6detail17trampoline_kernelINS0_14default_configENS1_35adjacent_difference_config_selectorILb1EjEEZNS1_24adjacent_difference_implIS3_Lb1ELb0EPKjPjN6thrust23THRUST_200600_302600_NS4plusIjEEEE10hipError_tPvRmT2_T3_mT4_P12ihipStream_tbEUlT_E_NS1_11comp_targetILNS1_3genE9ELNS1_11target_archE1100ELNS1_3gpuE3ELNS1_3repE0EEENS1_30default_config_static_selectorELNS0_4arch9wavefront6targetE1EEEvT1_,comdat
.Lfunc_end614:
	.size	_ZN7rocprim17ROCPRIM_400000_NS6detail17trampoline_kernelINS0_14default_configENS1_35adjacent_difference_config_selectorILb1EjEEZNS1_24adjacent_difference_implIS3_Lb1ELb0EPKjPjN6thrust23THRUST_200600_302600_NS4plusIjEEEE10hipError_tPvRmT2_T3_mT4_P12ihipStream_tbEUlT_E_NS1_11comp_targetILNS1_3genE9ELNS1_11target_archE1100ELNS1_3gpuE3ELNS1_3repE0EEENS1_30default_config_static_selectorELNS0_4arch9wavefront6targetE1EEEvT1_, .Lfunc_end614-_ZN7rocprim17ROCPRIM_400000_NS6detail17trampoline_kernelINS0_14default_configENS1_35adjacent_difference_config_selectorILb1EjEEZNS1_24adjacent_difference_implIS3_Lb1ELb0EPKjPjN6thrust23THRUST_200600_302600_NS4plusIjEEEE10hipError_tPvRmT2_T3_mT4_P12ihipStream_tbEUlT_E_NS1_11comp_targetILNS1_3genE9ELNS1_11target_archE1100ELNS1_3gpuE3ELNS1_3repE0EEENS1_30default_config_static_selectorELNS0_4arch9wavefront6targetE1EEEvT1_
                                        ; -- End function
	.section	.AMDGPU.csdata,"",@progbits
; Kernel info:
; codeLenInByte = 0
; NumSgprs: 4
; NumVgprs: 0
; NumAgprs: 0
; TotalNumVgprs: 0
; ScratchSize: 0
; MemoryBound: 0
; FloatMode: 240
; IeeeMode: 1
; LDSByteSize: 0 bytes/workgroup (compile time only)
; SGPRBlocks: 0
; VGPRBlocks: 0
; NumSGPRsForWavesPerEU: 4
; NumVGPRsForWavesPerEU: 1
; AccumOffset: 4
; Occupancy: 8
; WaveLimiterHint : 0
; COMPUTE_PGM_RSRC2:SCRATCH_EN: 0
; COMPUTE_PGM_RSRC2:USER_SGPR: 6
; COMPUTE_PGM_RSRC2:TRAP_HANDLER: 0
; COMPUTE_PGM_RSRC2:TGID_X_EN: 1
; COMPUTE_PGM_RSRC2:TGID_Y_EN: 0
; COMPUTE_PGM_RSRC2:TGID_Z_EN: 0
; COMPUTE_PGM_RSRC2:TIDIG_COMP_CNT: 0
; COMPUTE_PGM_RSRC3_GFX90A:ACCUM_OFFSET: 0
; COMPUTE_PGM_RSRC3_GFX90A:TG_SPLIT: 0
	.section	.text._ZN7rocprim17ROCPRIM_400000_NS6detail17trampoline_kernelINS0_14default_configENS1_35adjacent_difference_config_selectorILb1EjEEZNS1_24adjacent_difference_implIS3_Lb1ELb0EPKjPjN6thrust23THRUST_200600_302600_NS4plusIjEEEE10hipError_tPvRmT2_T3_mT4_P12ihipStream_tbEUlT_E_NS1_11comp_targetILNS1_3genE8ELNS1_11target_archE1030ELNS1_3gpuE2ELNS1_3repE0EEENS1_30default_config_static_selectorELNS0_4arch9wavefront6targetE1EEEvT1_,"axG",@progbits,_ZN7rocprim17ROCPRIM_400000_NS6detail17trampoline_kernelINS0_14default_configENS1_35adjacent_difference_config_selectorILb1EjEEZNS1_24adjacent_difference_implIS3_Lb1ELb0EPKjPjN6thrust23THRUST_200600_302600_NS4plusIjEEEE10hipError_tPvRmT2_T3_mT4_P12ihipStream_tbEUlT_E_NS1_11comp_targetILNS1_3genE8ELNS1_11target_archE1030ELNS1_3gpuE2ELNS1_3repE0EEENS1_30default_config_static_selectorELNS0_4arch9wavefront6targetE1EEEvT1_,comdat
	.protected	_ZN7rocprim17ROCPRIM_400000_NS6detail17trampoline_kernelINS0_14default_configENS1_35adjacent_difference_config_selectorILb1EjEEZNS1_24adjacent_difference_implIS3_Lb1ELb0EPKjPjN6thrust23THRUST_200600_302600_NS4plusIjEEEE10hipError_tPvRmT2_T3_mT4_P12ihipStream_tbEUlT_E_NS1_11comp_targetILNS1_3genE8ELNS1_11target_archE1030ELNS1_3gpuE2ELNS1_3repE0EEENS1_30default_config_static_selectorELNS0_4arch9wavefront6targetE1EEEvT1_ ; -- Begin function _ZN7rocprim17ROCPRIM_400000_NS6detail17trampoline_kernelINS0_14default_configENS1_35adjacent_difference_config_selectorILb1EjEEZNS1_24adjacent_difference_implIS3_Lb1ELb0EPKjPjN6thrust23THRUST_200600_302600_NS4plusIjEEEE10hipError_tPvRmT2_T3_mT4_P12ihipStream_tbEUlT_E_NS1_11comp_targetILNS1_3genE8ELNS1_11target_archE1030ELNS1_3gpuE2ELNS1_3repE0EEENS1_30default_config_static_selectorELNS0_4arch9wavefront6targetE1EEEvT1_
	.globl	_ZN7rocprim17ROCPRIM_400000_NS6detail17trampoline_kernelINS0_14default_configENS1_35adjacent_difference_config_selectorILb1EjEEZNS1_24adjacent_difference_implIS3_Lb1ELb0EPKjPjN6thrust23THRUST_200600_302600_NS4plusIjEEEE10hipError_tPvRmT2_T3_mT4_P12ihipStream_tbEUlT_E_NS1_11comp_targetILNS1_3genE8ELNS1_11target_archE1030ELNS1_3gpuE2ELNS1_3repE0EEENS1_30default_config_static_selectorELNS0_4arch9wavefront6targetE1EEEvT1_
	.p2align	8
	.type	_ZN7rocprim17ROCPRIM_400000_NS6detail17trampoline_kernelINS0_14default_configENS1_35adjacent_difference_config_selectorILb1EjEEZNS1_24adjacent_difference_implIS3_Lb1ELb0EPKjPjN6thrust23THRUST_200600_302600_NS4plusIjEEEE10hipError_tPvRmT2_T3_mT4_P12ihipStream_tbEUlT_E_NS1_11comp_targetILNS1_3genE8ELNS1_11target_archE1030ELNS1_3gpuE2ELNS1_3repE0EEENS1_30default_config_static_selectorELNS0_4arch9wavefront6targetE1EEEvT1_,@function
_ZN7rocprim17ROCPRIM_400000_NS6detail17trampoline_kernelINS0_14default_configENS1_35adjacent_difference_config_selectorILb1EjEEZNS1_24adjacent_difference_implIS3_Lb1ELb0EPKjPjN6thrust23THRUST_200600_302600_NS4plusIjEEEE10hipError_tPvRmT2_T3_mT4_P12ihipStream_tbEUlT_E_NS1_11comp_targetILNS1_3genE8ELNS1_11target_archE1030ELNS1_3gpuE2ELNS1_3repE0EEENS1_30default_config_static_selectorELNS0_4arch9wavefront6targetE1EEEvT1_: ; @_ZN7rocprim17ROCPRIM_400000_NS6detail17trampoline_kernelINS0_14default_configENS1_35adjacent_difference_config_selectorILb1EjEEZNS1_24adjacent_difference_implIS3_Lb1ELb0EPKjPjN6thrust23THRUST_200600_302600_NS4plusIjEEEE10hipError_tPvRmT2_T3_mT4_P12ihipStream_tbEUlT_E_NS1_11comp_targetILNS1_3genE8ELNS1_11target_archE1030ELNS1_3gpuE2ELNS1_3repE0EEENS1_30default_config_static_selectorELNS0_4arch9wavefront6targetE1EEEvT1_
; %bb.0:
	.section	.rodata,"a",@progbits
	.p2align	6, 0x0
	.amdhsa_kernel _ZN7rocprim17ROCPRIM_400000_NS6detail17trampoline_kernelINS0_14default_configENS1_35adjacent_difference_config_selectorILb1EjEEZNS1_24adjacent_difference_implIS3_Lb1ELb0EPKjPjN6thrust23THRUST_200600_302600_NS4plusIjEEEE10hipError_tPvRmT2_T3_mT4_P12ihipStream_tbEUlT_E_NS1_11comp_targetILNS1_3genE8ELNS1_11target_archE1030ELNS1_3gpuE2ELNS1_3repE0EEENS1_30default_config_static_selectorELNS0_4arch9wavefront6targetE1EEEvT1_
		.amdhsa_group_segment_fixed_size 0
		.amdhsa_private_segment_fixed_size 0
		.amdhsa_kernarg_size 56
		.amdhsa_user_sgpr_count 6
		.amdhsa_user_sgpr_private_segment_buffer 1
		.amdhsa_user_sgpr_dispatch_ptr 0
		.amdhsa_user_sgpr_queue_ptr 0
		.amdhsa_user_sgpr_kernarg_segment_ptr 1
		.amdhsa_user_sgpr_dispatch_id 0
		.amdhsa_user_sgpr_flat_scratch_init 0
		.amdhsa_user_sgpr_kernarg_preload_length 0
		.amdhsa_user_sgpr_kernarg_preload_offset 0
		.amdhsa_user_sgpr_private_segment_size 0
		.amdhsa_uses_dynamic_stack 0
		.amdhsa_system_sgpr_private_segment_wavefront_offset 0
		.amdhsa_system_sgpr_workgroup_id_x 1
		.amdhsa_system_sgpr_workgroup_id_y 0
		.amdhsa_system_sgpr_workgroup_id_z 0
		.amdhsa_system_sgpr_workgroup_info 0
		.amdhsa_system_vgpr_workitem_id 0
		.amdhsa_next_free_vgpr 1
		.amdhsa_next_free_sgpr 0
		.amdhsa_accum_offset 4
		.amdhsa_reserve_vcc 0
		.amdhsa_reserve_flat_scratch 0
		.amdhsa_float_round_mode_32 0
		.amdhsa_float_round_mode_16_64 0
		.amdhsa_float_denorm_mode_32 3
		.amdhsa_float_denorm_mode_16_64 3
		.amdhsa_dx10_clamp 1
		.amdhsa_ieee_mode 1
		.amdhsa_fp16_overflow 0
		.amdhsa_tg_split 0
		.amdhsa_exception_fp_ieee_invalid_op 0
		.amdhsa_exception_fp_denorm_src 0
		.amdhsa_exception_fp_ieee_div_zero 0
		.amdhsa_exception_fp_ieee_overflow 0
		.amdhsa_exception_fp_ieee_underflow 0
		.amdhsa_exception_fp_ieee_inexact 0
		.amdhsa_exception_int_div_zero 0
	.end_amdhsa_kernel
	.section	.text._ZN7rocprim17ROCPRIM_400000_NS6detail17trampoline_kernelINS0_14default_configENS1_35adjacent_difference_config_selectorILb1EjEEZNS1_24adjacent_difference_implIS3_Lb1ELb0EPKjPjN6thrust23THRUST_200600_302600_NS4plusIjEEEE10hipError_tPvRmT2_T3_mT4_P12ihipStream_tbEUlT_E_NS1_11comp_targetILNS1_3genE8ELNS1_11target_archE1030ELNS1_3gpuE2ELNS1_3repE0EEENS1_30default_config_static_selectorELNS0_4arch9wavefront6targetE1EEEvT1_,"axG",@progbits,_ZN7rocprim17ROCPRIM_400000_NS6detail17trampoline_kernelINS0_14default_configENS1_35adjacent_difference_config_selectorILb1EjEEZNS1_24adjacent_difference_implIS3_Lb1ELb0EPKjPjN6thrust23THRUST_200600_302600_NS4plusIjEEEE10hipError_tPvRmT2_T3_mT4_P12ihipStream_tbEUlT_E_NS1_11comp_targetILNS1_3genE8ELNS1_11target_archE1030ELNS1_3gpuE2ELNS1_3repE0EEENS1_30default_config_static_selectorELNS0_4arch9wavefront6targetE1EEEvT1_,comdat
.Lfunc_end615:
	.size	_ZN7rocprim17ROCPRIM_400000_NS6detail17trampoline_kernelINS0_14default_configENS1_35adjacent_difference_config_selectorILb1EjEEZNS1_24adjacent_difference_implIS3_Lb1ELb0EPKjPjN6thrust23THRUST_200600_302600_NS4plusIjEEEE10hipError_tPvRmT2_T3_mT4_P12ihipStream_tbEUlT_E_NS1_11comp_targetILNS1_3genE8ELNS1_11target_archE1030ELNS1_3gpuE2ELNS1_3repE0EEENS1_30default_config_static_selectorELNS0_4arch9wavefront6targetE1EEEvT1_, .Lfunc_end615-_ZN7rocprim17ROCPRIM_400000_NS6detail17trampoline_kernelINS0_14default_configENS1_35adjacent_difference_config_selectorILb1EjEEZNS1_24adjacent_difference_implIS3_Lb1ELb0EPKjPjN6thrust23THRUST_200600_302600_NS4plusIjEEEE10hipError_tPvRmT2_T3_mT4_P12ihipStream_tbEUlT_E_NS1_11comp_targetILNS1_3genE8ELNS1_11target_archE1030ELNS1_3gpuE2ELNS1_3repE0EEENS1_30default_config_static_selectorELNS0_4arch9wavefront6targetE1EEEvT1_
                                        ; -- End function
	.section	.AMDGPU.csdata,"",@progbits
; Kernel info:
; codeLenInByte = 0
; NumSgprs: 4
; NumVgprs: 0
; NumAgprs: 0
; TotalNumVgprs: 0
; ScratchSize: 0
; MemoryBound: 0
; FloatMode: 240
; IeeeMode: 1
; LDSByteSize: 0 bytes/workgroup (compile time only)
; SGPRBlocks: 0
; VGPRBlocks: 0
; NumSGPRsForWavesPerEU: 4
; NumVGPRsForWavesPerEU: 1
; AccumOffset: 4
; Occupancy: 8
; WaveLimiterHint : 0
; COMPUTE_PGM_RSRC2:SCRATCH_EN: 0
; COMPUTE_PGM_RSRC2:USER_SGPR: 6
; COMPUTE_PGM_RSRC2:TRAP_HANDLER: 0
; COMPUTE_PGM_RSRC2:TGID_X_EN: 1
; COMPUTE_PGM_RSRC2:TGID_Y_EN: 0
; COMPUTE_PGM_RSRC2:TGID_Z_EN: 0
; COMPUTE_PGM_RSRC2:TIDIG_COMP_CNT: 0
; COMPUTE_PGM_RSRC3_GFX90A:ACCUM_OFFSET: 0
; COMPUTE_PGM_RSRC3_GFX90A:TG_SPLIT: 0
	.section	.text._ZN7rocprim17ROCPRIM_400000_NS6detail17trampoline_kernelINS0_14default_configENS1_35adjacent_difference_config_selectorILb0EfEEZNS1_24adjacent_difference_implIS3_Lb0ELb0EPKfPfN6thrust23THRUST_200600_302600_NS4plusIfEEEE10hipError_tPvRmT2_T3_mT4_P12ihipStream_tbEUlT_E_NS1_11comp_targetILNS1_3genE0ELNS1_11target_archE4294967295ELNS1_3gpuE0ELNS1_3repE0EEENS1_30default_config_static_selectorELNS0_4arch9wavefront6targetE1EEEvT1_,"axG",@progbits,_ZN7rocprim17ROCPRIM_400000_NS6detail17trampoline_kernelINS0_14default_configENS1_35adjacent_difference_config_selectorILb0EfEEZNS1_24adjacent_difference_implIS3_Lb0ELb0EPKfPfN6thrust23THRUST_200600_302600_NS4plusIfEEEE10hipError_tPvRmT2_T3_mT4_P12ihipStream_tbEUlT_E_NS1_11comp_targetILNS1_3genE0ELNS1_11target_archE4294967295ELNS1_3gpuE0ELNS1_3repE0EEENS1_30default_config_static_selectorELNS0_4arch9wavefront6targetE1EEEvT1_,comdat
	.protected	_ZN7rocprim17ROCPRIM_400000_NS6detail17trampoline_kernelINS0_14default_configENS1_35adjacent_difference_config_selectorILb0EfEEZNS1_24adjacent_difference_implIS3_Lb0ELb0EPKfPfN6thrust23THRUST_200600_302600_NS4plusIfEEEE10hipError_tPvRmT2_T3_mT4_P12ihipStream_tbEUlT_E_NS1_11comp_targetILNS1_3genE0ELNS1_11target_archE4294967295ELNS1_3gpuE0ELNS1_3repE0EEENS1_30default_config_static_selectorELNS0_4arch9wavefront6targetE1EEEvT1_ ; -- Begin function _ZN7rocprim17ROCPRIM_400000_NS6detail17trampoline_kernelINS0_14default_configENS1_35adjacent_difference_config_selectorILb0EfEEZNS1_24adjacent_difference_implIS3_Lb0ELb0EPKfPfN6thrust23THRUST_200600_302600_NS4plusIfEEEE10hipError_tPvRmT2_T3_mT4_P12ihipStream_tbEUlT_E_NS1_11comp_targetILNS1_3genE0ELNS1_11target_archE4294967295ELNS1_3gpuE0ELNS1_3repE0EEENS1_30default_config_static_selectorELNS0_4arch9wavefront6targetE1EEEvT1_
	.globl	_ZN7rocprim17ROCPRIM_400000_NS6detail17trampoline_kernelINS0_14default_configENS1_35adjacent_difference_config_selectorILb0EfEEZNS1_24adjacent_difference_implIS3_Lb0ELb0EPKfPfN6thrust23THRUST_200600_302600_NS4plusIfEEEE10hipError_tPvRmT2_T3_mT4_P12ihipStream_tbEUlT_E_NS1_11comp_targetILNS1_3genE0ELNS1_11target_archE4294967295ELNS1_3gpuE0ELNS1_3repE0EEENS1_30default_config_static_selectorELNS0_4arch9wavefront6targetE1EEEvT1_
	.p2align	8
	.type	_ZN7rocprim17ROCPRIM_400000_NS6detail17trampoline_kernelINS0_14default_configENS1_35adjacent_difference_config_selectorILb0EfEEZNS1_24adjacent_difference_implIS3_Lb0ELb0EPKfPfN6thrust23THRUST_200600_302600_NS4plusIfEEEE10hipError_tPvRmT2_T3_mT4_P12ihipStream_tbEUlT_E_NS1_11comp_targetILNS1_3genE0ELNS1_11target_archE4294967295ELNS1_3gpuE0ELNS1_3repE0EEENS1_30default_config_static_selectorELNS0_4arch9wavefront6targetE1EEEvT1_,@function
_ZN7rocprim17ROCPRIM_400000_NS6detail17trampoline_kernelINS0_14default_configENS1_35adjacent_difference_config_selectorILb0EfEEZNS1_24adjacent_difference_implIS3_Lb0ELb0EPKfPfN6thrust23THRUST_200600_302600_NS4plusIfEEEE10hipError_tPvRmT2_T3_mT4_P12ihipStream_tbEUlT_E_NS1_11comp_targetILNS1_3genE0ELNS1_11target_archE4294967295ELNS1_3gpuE0ELNS1_3repE0EEENS1_30default_config_static_selectorELNS0_4arch9wavefront6targetE1EEEvT1_: ; @_ZN7rocprim17ROCPRIM_400000_NS6detail17trampoline_kernelINS0_14default_configENS1_35adjacent_difference_config_selectorILb0EfEEZNS1_24adjacent_difference_implIS3_Lb0ELb0EPKfPfN6thrust23THRUST_200600_302600_NS4plusIfEEEE10hipError_tPvRmT2_T3_mT4_P12ihipStream_tbEUlT_E_NS1_11comp_targetILNS1_3genE0ELNS1_11target_archE4294967295ELNS1_3gpuE0ELNS1_3repE0EEENS1_30default_config_static_selectorELNS0_4arch9wavefront6targetE1EEEvT1_
; %bb.0:
	.section	.rodata,"a",@progbits
	.p2align	6, 0x0
	.amdhsa_kernel _ZN7rocprim17ROCPRIM_400000_NS6detail17trampoline_kernelINS0_14default_configENS1_35adjacent_difference_config_selectorILb0EfEEZNS1_24adjacent_difference_implIS3_Lb0ELb0EPKfPfN6thrust23THRUST_200600_302600_NS4plusIfEEEE10hipError_tPvRmT2_T3_mT4_P12ihipStream_tbEUlT_E_NS1_11comp_targetILNS1_3genE0ELNS1_11target_archE4294967295ELNS1_3gpuE0ELNS1_3repE0EEENS1_30default_config_static_selectorELNS0_4arch9wavefront6targetE1EEEvT1_
		.amdhsa_group_segment_fixed_size 0
		.amdhsa_private_segment_fixed_size 0
		.amdhsa_kernarg_size 56
		.amdhsa_user_sgpr_count 6
		.amdhsa_user_sgpr_private_segment_buffer 1
		.amdhsa_user_sgpr_dispatch_ptr 0
		.amdhsa_user_sgpr_queue_ptr 0
		.amdhsa_user_sgpr_kernarg_segment_ptr 1
		.amdhsa_user_sgpr_dispatch_id 0
		.amdhsa_user_sgpr_flat_scratch_init 0
		.amdhsa_user_sgpr_kernarg_preload_length 0
		.amdhsa_user_sgpr_kernarg_preload_offset 0
		.amdhsa_user_sgpr_private_segment_size 0
		.amdhsa_uses_dynamic_stack 0
		.amdhsa_system_sgpr_private_segment_wavefront_offset 0
		.amdhsa_system_sgpr_workgroup_id_x 1
		.amdhsa_system_sgpr_workgroup_id_y 0
		.amdhsa_system_sgpr_workgroup_id_z 0
		.amdhsa_system_sgpr_workgroup_info 0
		.amdhsa_system_vgpr_workitem_id 0
		.amdhsa_next_free_vgpr 1
		.amdhsa_next_free_sgpr 0
		.amdhsa_accum_offset 4
		.amdhsa_reserve_vcc 0
		.amdhsa_reserve_flat_scratch 0
		.amdhsa_float_round_mode_32 0
		.amdhsa_float_round_mode_16_64 0
		.amdhsa_float_denorm_mode_32 3
		.amdhsa_float_denorm_mode_16_64 3
		.amdhsa_dx10_clamp 1
		.amdhsa_ieee_mode 1
		.amdhsa_fp16_overflow 0
		.amdhsa_tg_split 0
		.amdhsa_exception_fp_ieee_invalid_op 0
		.amdhsa_exception_fp_denorm_src 0
		.amdhsa_exception_fp_ieee_div_zero 0
		.amdhsa_exception_fp_ieee_overflow 0
		.amdhsa_exception_fp_ieee_underflow 0
		.amdhsa_exception_fp_ieee_inexact 0
		.amdhsa_exception_int_div_zero 0
	.end_amdhsa_kernel
	.section	.text._ZN7rocprim17ROCPRIM_400000_NS6detail17trampoline_kernelINS0_14default_configENS1_35adjacent_difference_config_selectorILb0EfEEZNS1_24adjacent_difference_implIS3_Lb0ELb0EPKfPfN6thrust23THRUST_200600_302600_NS4plusIfEEEE10hipError_tPvRmT2_T3_mT4_P12ihipStream_tbEUlT_E_NS1_11comp_targetILNS1_3genE0ELNS1_11target_archE4294967295ELNS1_3gpuE0ELNS1_3repE0EEENS1_30default_config_static_selectorELNS0_4arch9wavefront6targetE1EEEvT1_,"axG",@progbits,_ZN7rocprim17ROCPRIM_400000_NS6detail17trampoline_kernelINS0_14default_configENS1_35adjacent_difference_config_selectorILb0EfEEZNS1_24adjacent_difference_implIS3_Lb0ELb0EPKfPfN6thrust23THRUST_200600_302600_NS4plusIfEEEE10hipError_tPvRmT2_T3_mT4_P12ihipStream_tbEUlT_E_NS1_11comp_targetILNS1_3genE0ELNS1_11target_archE4294967295ELNS1_3gpuE0ELNS1_3repE0EEENS1_30default_config_static_selectorELNS0_4arch9wavefront6targetE1EEEvT1_,comdat
.Lfunc_end616:
	.size	_ZN7rocprim17ROCPRIM_400000_NS6detail17trampoline_kernelINS0_14default_configENS1_35adjacent_difference_config_selectorILb0EfEEZNS1_24adjacent_difference_implIS3_Lb0ELb0EPKfPfN6thrust23THRUST_200600_302600_NS4plusIfEEEE10hipError_tPvRmT2_T3_mT4_P12ihipStream_tbEUlT_E_NS1_11comp_targetILNS1_3genE0ELNS1_11target_archE4294967295ELNS1_3gpuE0ELNS1_3repE0EEENS1_30default_config_static_selectorELNS0_4arch9wavefront6targetE1EEEvT1_, .Lfunc_end616-_ZN7rocprim17ROCPRIM_400000_NS6detail17trampoline_kernelINS0_14default_configENS1_35adjacent_difference_config_selectorILb0EfEEZNS1_24adjacent_difference_implIS3_Lb0ELb0EPKfPfN6thrust23THRUST_200600_302600_NS4plusIfEEEE10hipError_tPvRmT2_T3_mT4_P12ihipStream_tbEUlT_E_NS1_11comp_targetILNS1_3genE0ELNS1_11target_archE4294967295ELNS1_3gpuE0ELNS1_3repE0EEENS1_30default_config_static_selectorELNS0_4arch9wavefront6targetE1EEEvT1_
                                        ; -- End function
	.section	.AMDGPU.csdata,"",@progbits
; Kernel info:
; codeLenInByte = 0
; NumSgprs: 4
; NumVgprs: 0
; NumAgprs: 0
; TotalNumVgprs: 0
; ScratchSize: 0
; MemoryBound: 0
; FloatMode: 240
; IeeeMode: 1
; LDSByteSize: 0 bytes/workgroup (compile time only)
; SGPRBlocks: 0
; VGPRBlocks: 0
; NumSGPRsForWavesPerEU: 4
; NumVGPRsForWavesPerEU: 1
; AccumOffset: 4
; Occupancy: 8
; WaveLimiterHint : 0
; COMPUTE_PGM_RSRC2:SCRATCH_EN: 0
; COMPUTE_PGM_RSRC2:USER_SGPR: 6
; COMPUTE_PGM_RSRC2:TRAP_HANDLER: 0
; COMPUTE_PGM_RSRC2:TGID_X_EN: 1
; COMPUTE_PGM_RSRC2:TGID_Y_EN: 0
; COMPUTE_PGM_RSRC2:TGID_Z_EN: 0
; COMPUTE_PGM_RSRC2:TIDIG_COMP_CNT: 0
; COMPUTE_PGM_RSRC3_GFX90A:ACCUM_OFFSET: 0
; COMPUTE_PGM_RSRC3_GFX90A:TG_SPLIT: 0
	.section	.text._ZN7rocprim17ROCPRIM_400000_NS6detail17trampoline_kernelINS0_14default_configENS1_35adjacent_difference_config_selectorILb0EfEEZNS1_24adjacent_difference_implIS3_Lb0ELb0EPKfPfN6thrust23THRUST_200600_302600_NS4plusIfEEEE10hipError_tPvRmT2_T3_mT4_P12ihipStream_tbEUlT_E_NS1_11comp_targetILNS1_3genE10ELNS1_11target_archE1201ELNS1_3gpuE5ELNS1_3repE0EEENS1_30default_config_static_selectorELNS0_4arch9wavefront6targetE1EEEvT1_,"axG",@progbits,_ZN7rocprim17ROCPRIM_400000_NS6detail17trampoline_kernelINS0_14default_configENS1_35adjacent_difference_config_selectorILb0EfEEZNS1_24adjacent_difference_implIS3_Lb0ELb0EPKfPfN6thrust23THRUST_200600_302600_NS4plusIfEEEE10hipError_tPvRmT2_T3_mT4_P12ihipStream_tbEUlT_E_NS1_11comp_targetILNS1_3genE10ELNS1_11target_archE1201ELNS1_3gpuE5ELNS1_3repE0EEENS1_30default_config_static_selectorELNS0_4arch9wavefront6targetE1EEEvT1_,comdat
	.protected	_ZN7rocprim17ROCPRIM_400000_NS6detail17trampoline_kernelINS0_14default_configENS1_35adjacent_difference_config_selectorILb0EfEEZNS1_24adjacent_difference_implIS3_Lb0ELb0EPKfPfN6thrust23THRUST_200600_302600_NS4plusIfEEEE10hipError_tPvRmT2_T3_mT4_P12ihipStream_tbEUlT_E_NS1_11comp_targetILNS1_3genE10ELNS1_11target_archE1201ELNS1_3gpuE5ELNS1_3repE0EEENS1_30default_config_static_selectorELNS0_4arch9wavefront6targetE1EEEvT1_ ; -- Begin function _ZN7rocprim17ROCPRIM_400000_NS6detail17trampoline_kernelINS0_14default_configENS1_35adjacent_difference_config_selectorILb0EfEEZNS1_24adjacent_difference_implIS3_Lb0ELb0EPKfPfN6thrust23THRUST_200600_302600_NS4plusIfEEEE10hipError_tPvRmT2_T3_mT4_P12ihipStream_tbEUlT_E_NS1_11comp_targetILNS1_3genE10ELNS1_11target_archE1201ELNS1_3gpuE5ELNS1_3repE0EEENS1_30default_config_static_selectorELNS0_4arch9wavefront6targetE1EEEvT1_
	.globl	_ZN7rocprim17ROCPRIM_400000_NS6detail17trampoline_kernelINS0_14default_configENS1_35adjacent_difference_config_selectorILb0EfEEZNS1_24adjacent_difference_implIS3_Lb0ELb0EPKfPfN6thrust23THRUST_200600_302600_NS4plusIfEEEE10hipError_tPvRmT2_T3_mT4_P12ihipStream_tbEUlT_E_NS1_11comp_targetILNS1_3genE10ELNS1_11target_archE1201ELNS1_3gpuE5ELNS1_3repE0EEENS1_30default_config_static_selectorELNS0_4arch9wavefront6targetE1EEEvT1_
	.p2align	8
	.type	_ZN7rocprim17ROCPRIM_400000_NS6detail17trampoline_kernelINS0_14default_configENS1_35adjacent_difference_config_selectorILb0EfEEZNS1_24adjacent_difference_implIS3_Lb0ELb0EPKfPfN6thrust23THRUST_200600_302600_NS4plusIfEEEE10hipError_tPvRmT2_T3_mT4_P12ihipStream_tbEUlT_E_NS1_11comp_targetILNS1_3genE10ELNS1_11target_archE1201ELNS1_3gpuE5ELNS1_3repE0EEENS1_30default_config_static_selectorELNS0_4arch9wavefront6targetE1EEEvT1_,@function
_ZN7rocprim17ROCPRIM_400000_NS6detail17trampoline_kernelINS0_14default_configENS1_35adjacent_difference_config_selectorILb0EfEEZNS1_24adjacent_difference_implIS3_Lb0ELb0EPKfPfN6thrust23THRUST_200600_302600_NS4plusIfEEEE10hipError_tPvRmT2_T3_mT4_P12ihipStream_tbEUlT_E_NS1_11comp_targetILNS1_3genE10ELNS1_11target_archE1201ELNS1_3gpuE5ELNS1_3repE0EEENS1_30default_config_static_selectorELNS0_4arch9wavefront6targetE1EEEvT1_: ; @_ZN7rocprim17ROCPRIM_400000_NS6detail17trampoline_kernelINS0_14default_configENS1_35adjacent_difference_config_selectorILb0EfEEZNS1_24adjacent_difference_implIS3_Lb0ELb0EPKfPfN6thrust23THRUST_200600_302600_NS4plusIfEEEE10hipError_tPvRmT2_T3_mT4_P12ihipStream_tbEUlT_E_NS1_11comp_targetILNS1_3genE10ELNS1_11target_archE1201ELNS1_3gpuE5ELNS1_3repE0EEENS1_30default_config_static_selectorELNS0_4arch9wavefront6targetE1EEEvT1_
; %bb.0:
	.section	.rodata,"a",@progbits
	.p2align	6, 0x0
	.amdhsa_kernel _ZN7rocprim17ROCPRIM_400000_NS6detail17trampoline_kernelINS0_14default_configENS1_35adjacent_difference_config_selectorILb0EfEEZNS1_24adjacent_difference_implIS3_Lb0ELb0EPKfPfN6thrust23THRUST_200600_302600_NS4plusIfEEEE10hipError_tPvRmT2_T3_mT4_P12ihipStream_tbEUlT_E_NS1_11comp_targetILNS1_3genE10ELNS1_11target_archE1201ELNS1_3gpuE5ELNS1_3repE0EEENS1_30default_config_static_selectorELNS0_4arch9wavefront6targetE1EEEvT1_
		.amdhsa_group_segment_fixed_size 0
		.amdhsa_private_segment_fixed_size 0
		.amdhsa_kernarg_size 56
		.amdhsa_user_sgpr_count 6
		.amdhsa_user_sgpr_private_segment_buffer 1
		.amdhsa_user_sgpr_dispatch_ptr 0
		.amdhsa_user_sgpr_queue_ptr 0
		.amdhsa_user_sgpr_kernarg_segment_ptr 1
		.amdhsa_user_sgpr_dispatch_id 0
		.amdhsa_user_sgpr_flat_scratch_init 0
		.amdhsa_user_sgpr_kernarg_preload_length 0
		.amdhsa_user_sgpr_kernarg_preload_offset 0
		.amdhsa_user_sgpr_private_segment_size 0
		.amdhsa_uses_dynamic_stack 0
		.amdhsa_system_sgpr_private_segment_wavefront_offset 0
		.amdhsa_system_sgpr_workgroup_id_x 1
		.amdhsa_system_sgpr_workgroup_id_y 0
		.amdhsa_system_sgpr_workgroup_id_z 0
		.amdhsa_system_sgpr_workgroup_info 0
		.amdhsa_system_vgpr_workitem_id 0
		.amdhsa_next_free_vgpr 1
		.amdhsa_next_free_sgpr 0
		.amdhsa_accum_offset 4
		.amdhsa_reserve_vcc 0
		.amdhsa_reserve_flat_scratch 0
		.amdhsa_float_round_mode_32 0
		.amdhsa_float_round_mode_16_64 0
		.amdhsa_float_denorm_mode_32 3
		.amdhsa_float_denorm_mode_16_64 3
		.amdhsa_dx10_clamp 1
		.amdhsa_ieee_mode 1
		.amdhsa_fp16_overflow 0
		.amdhsa_tg_split 0
		.amdhsa_exception_fp_ieee_invalid_op 0
		.amdhsa_exception_fp_denorm_src 0
		.amdhsa_exception_fp_ieee_div_zero 0
		.amdhsa_exception_fp_ieee_overflow 0
		.amdhsa_exception_fp_ieee_underflow 0
		.amdhsa_exception_fp_ieee_inexact 0
		.amdhsa_exception_int_div_zero 0
	.end_amdhsa_kernel
	.section	.text._ZN7rocprim17ROCPRIM_400000_NS6detail17trampoline_kernelINS0_14default_configENS1_35adjacent_difference_config_selectorILb0EfEEZNS1_24adjacent_difference_implIS3_Lb0ELb0EPKfPfN6thrust23THRUST_200600_302600_NS4plusIfEEEE10hipError_tPvRmT2_T3_mT4_P12ihipStream_tbEUlT_E_NS1_11comp_targetILNS1_3genE10ELNS1_11target_archE1201ELNS1_3gpuE5ELNS1_3repE0EEENS1_30default_config_static_selectorELNS0_4arch9wavefront6targetE1EEEvT1_,"axG",@progbits,_ZN7rocprim17ROCPRIM_400000_NS6detail17trampoline_kernelINS0_14default_configENS1_35adjacent_difference_config_selectorILb0EfEEZNS1_24adjacent_difference_implIS3_Lb0ELb0EPKfPfN6thrust23THRUST_200600_302600_NS4plusIfEEEE10hipError_tPvRmT2_T3_mT4_P12ihipStream_tbEUlT_E_NS1_11comp_targetILNS1_3genE10ELNS1_11target_archE1201ELNS1_3gpuE5ELNS1_3repE0EEENS1_30default_config_static_selectorELNS0_4arch9wavefront6targetE1EEEvT1_,comdat
.Lfunc_end617:
	.size	_ZN7rocprim17ROCPRIM_400000_NS6detail17trampoline_kernelINS0_14default_configENS1_35adjacent_difference_config_selectorILb0EfEEZNS1_24adjacent_difference_implIS3_Lb0ELb0EPKfPfN6thrust23THRUST_200600_302600_NS4plusIfEEEE10hipError_tPvRmT2_T3_mT4_P12ihipStream_tbEUlT_E_NS1_11comp_targetILNS1_3genE10ELNS1_11target_archE1201ELNS1_3gpuE5ELNS1_3repE0EEENS1_30default_config_static_selectorELNS0_4arch9wavefront6targetE1EEEvT1_, .Lfunc_end617-_ZN7rocprim17ROCPRIM_400000_NS6detail17trampoline_kernelINS0_14default_configENS1_35adjacent_difference_config_selectorILb0EfEEZNS1_24adjacent_difference_implIS3_Lb0ELb0EPKfPfN6thrust23THRUST_200600_302600_NS4plusIfEEEE10hipError_tPvRmT2_T3_mT4_P12ihipStream_tbEUlT_E_NS1_11comp_targetILNS1_3genE10ELNS1_11target_archE1201ELNS1_3gpuE5ELNS1_3repE0EEENS1_30default_config_static_selectorELNS0_4arch9wavefront6targetE1EEEvT1_
                                        ; -- End function
	.section	.AMDGPU.csdata,"",@progbits
; Kernel info:
; codeLenInByte = 0
; NumSgprs: 4
; NumVgprs: 0
; NumAgprs: 0
; TotalNumVgprs: 0
; ScratchSize: 0
; MemoryBound: 0
; FloatMode: 240
; IeeeMode: 1
; LDSByteSize: 0 bytes/workgroup (compile time only)
; SGPRBlocks: 0
; VGPRBlocks: 0
; NumSGPRsForWavesPerEU: 4
; NumVGPRsForWavesPerEU: 1
; AccumOffset: 4
; Occupancy: 8
; WaveLimiterHint : 0
; COMPUTE_PGM_RSRC2:SCRATCH_EN: 0
; COMPUTE_PGM_RSRC2:USER_SGPR: 6
; COMPUTE_PGM_RSRC2:TRAP_HANDLER: 0
; COMPUTE_PGM_RSRC2:TGID_X_EN: 1
; COMPUTE_PGM_RSRC2:TGID_Y_EN: 0
; COMPUTE_PGM_RSRC2:TGID_Z_EN: 0
; COMPUTE_PGM_RSRC2:TIDIG_COMP_CNT: 0
; COMPUTE_PGM_RSRC3_GFX90A:ACCUM_OFFSET: 0
; COMPUTE_PGM_RSRC3_GFX90A:TG_SPLIT: 0
	.section	.text._ZN7rocprim17ROCPRIM_400000_NS6detail17trampoline_kernelINS0_14default_configENS1_35adjacent_difference_config_selectorILb0EfEEZNS1_24adjacent_difference_implIS3_Lb0ELb0EPKfPfN6thrust23THRUST_200600_302600_NS4plusIfEEEE10hipError_tPvRmT2_T3_mT4_P12ihipStream_tbEUlT_E_NS1_11comp_targetILNS1_3genE5ELNS1_11target_archE942ELNS1_3gpuE9ELNS1_3repE0EEENS1_30default_config_static_selectorELNS0_4arch9wavefront6targetE1EEEvT1_,"axG",@progbits,_ZN7rocprim17ROCPRIM_400000_NS6detail17trampoline_kernelINS0_14default_configENS1_35adjacent_difference_config_selectorILb0EfEEZNS1_24adjacent_difference_implIS3_Lb0ELb0EPKfPfN6thrust23THRUST_200600_302600_NS4plusIfEEEE10hipError_tPvRmT2_T3_mT4_P12ihipStream_tbEUlT_E_NS1_11comp_targetILNS1_3genE5ELNS1_11target_archE942ELNS1_3gpuE9ELNS1_3repE0EEENS1_30default_config_static_selectorELNS0_4arch9wavefront6targetE1EEEvT1_,comdat
	.protected	_ZN7rocprim17ROCPRIM_400000_NS6detail17trampoline_kernelINS0_14default_configENS1_35adjacent_difference_config_selectorILb0EfEEZNS1_24adjacent_difference_implIS3_Lb0ELb0EPKfPfN6thrust23THRUST_200600_302600_NS4plusIfEEEE10hipError_tPvRmT2_T3_mT4_P12ihipStream_tbEUlT_E_NS1_11comp_targetILNS1_3genE5ELNS1_11target_archE942ELNS1_3gpuE9ELNS1_3repE0EEENS1_30default_config_static_selectorELNS0_4arch9wavefront6targetE1EEEvT1_ ; -- Begin function _ZN7rocprim17ROCPRIM_400000_NS6detail17trampoline_kernelINS0_14default_configENS1_35adjacent_difference_config_selectorILb0EfEEZNS1_24adjacent_difference_implIS3_Lb0ELb0EPKfPfN6thrust23THRUST_200600_302600_NS4plusIfEEEE10hipError_tPvRmT2_T3_mT4_P12ihipStream_tbEUlT_E_NS1_11comp_targetILNS1_3genE5ELNS1_11target_archE942ELNS1_3gpuE9ELNS1_3repE0EEENS1_30default_config_static_selectorELNS0_4arch9wavefront6targetE1EEEvT1_
	.globl	_ZN7rocprim17ROCPRIM_400000_NS6detail17trampoline_kernelINS0_14default_configENS1_35adjacent_difference_config_selectorILb0EfEEZNS1_24adjacent_difference_implIS3_Lb0ELb0EPKfPfN6thrust23THRUST_200600_302600_NS4plusIfEEEE10hipError_tPvRmT2_T3_mT4_P12ihipStream_tbEUlT_E_NS1_11comp_targetILNS1_3genE5ELNS1_11target_archE942ELNS1_3gpuE9ELNS1_3repE0EEENS1_30default_config_static_selectorELNS0_4arch9wavefront6targetE1EEEvT1_
	.p2align	8
	.type	_ZN7rocprim17ROCPRIM_400000_NS6detail17trampoline_kernelINS0_14default_configENS1_35adjacent_difference_config_selectorILb0EfEEZNS1_24adjacent_difference_implIS3_Lb0ELb0EPKfPfN6thrust23THRUST_200600_302600_NS4plusIfEEEE10hipError_tPvRmT2_T3_mT4_P12ihipStream_tbEUlT_E_NS1_11comp_targetILNS1_3genE5ELNS1_11target_archE942ELNS1_3gpuE9ELNS1_3repE0EEENS1_30default_config_static_selectorELNS0_4arch9wavefront6targetE1EEEvT1_,@function
_ZN7rocprim17ROCPRIM_400000_NS6detail17trampoline_kernelINS0_14default_configENS1_35adjacent_difference_config_selectorILb0EfEEZNS1_24adjacent_difference_implIS3_Lb0ELb0EPKfPfN6thrust23THRUST_200600_302600_NS4plusIfEEEE10hipError_tPvRmT2_T3_mT4_P12ihipStream_tbEUlT_E_NS1_11comp_targetILNS1_3genE5ELNS1_11target_archE942ELNS1_3gpuE9ELNS1_3repE0EEENS1_30default_config_static_selectorELNS0_4arch9wavefront6targetE1EEEvT1_: ; @_ZN7rocprim17ROCPRIM_400000_NS6detail17trampoline_kernelINS0_14default_configENS1_35adjacent_difference_config_selectorILb0EfEEZNS1_24adjacent_difference_implIS3_Lb0ELb0EPKfPfN6thrust23THRUST_200600_302600_NS4plusIfEEEE10hipError_tPvRmT2_T3_mT4_P12ihipStream_tbEUlT_E_NS1_11comp_targetILNS1_3genE5ELNS1_11target_archE942ELNS1_3gpuE9ELNS1_3repE0EEENS1_30default_config_static_selectorELNS0_4arch9wavefront6targetE1EEEvT1_
; %bb.0:
	.section	.rodata,"a",@progbits
	.p2align	6, 0x0
	.amdhsa_kernel _ZN7rocprim17ROCPRIM_400000_NS6detail17trampoline_kernelINS0_14default_configENS1_35adjacent_difference_config_selectorILb0EfEEZNS1_24adjacent_difference_implIS3_Lb0ELb0EPKfPfN6thrust23THRUST_200600_302600_NS4plusIfEEEE10hipError_tPvRmT2_T3_mT4_P12ihipStream_tbEUlT_E_NS1_11comp_targetILNS1_3genE5ELNS1_11target_archE942ELNS1_3gpuE9ELNS1_3repE0EEENS1_30default_config_static_selectorELNS0_4arch9wavefront6targetE1EEEvT1_
		.amdhsa_group_segment_fixed_size 0
		.amdhsa_private_segment_fixed_size 0
		.amdhsa_kernarg_size 56
		.amdhsa_user_sgpr_count 6
		.amdhsa_user_sgpr_private_segment_buffer 1
		.amdhsa_user_sgpr_dispatch_ptr 0
		.amdhsa_user_sgpr_queue_ptr 0
		.amdhsa_user_sgpr_kernarg_segment_ptr 1
		.amdhsa_user_sgpr_dispatch_id 0
		.amdhsa_user_sgpr_flat_scratch_init 0
		.amdhsa_user_sgpr_kernarg_preload_length 0
		.amdhsa_user_sgpr_kernarg_preload_offset 0
		.amdhsa_user_sgpr_private_segment_size 0
		.amdhsa_uses_dynamic_stack 0
		.amdhsa_system_sgpr_private_segment_wavefront_offset 0
		.amdhsa_system_sgpr_workgroup_id_x 1
		.amdhsa_system_sgpr_workgroup_id_y 0
		.amdhsa_system_sgpr_workgroup_id_z 0
		.amdhsa_system_sgpr_workgroup_info 0
		.amdhsa_system_vgpr_workitem_id 0
		.amdhsa_next_free_vgpr 1
		.amdhsa_next_free_sgpr 0
		.amdhsa_accum_offset 4
		.amdhsa_reserve_vcc 0
		.amdhsa_reserve_flat_scratch 0
		.amdhsa_float_round_mode_32 0
		.amdhsa_float_round_mode_16_64 0
		.amdhsa_float_denorm_mode_32 3
		.amdhsa_float_denorm_mode_16_64 3
		.amdhsa_dx10_clamp 1
		.amdhsa_ieee_mode 1
		.amdhsa_fp16_overflow 0
		.amdhsa_tg_split 0
		.amdhsa_exception_fp_ieee_invalid_op 0
		.amdhsa_exception_fp_denorm_src 0
		.amdhsa_exception_fp_ieee_div_zero 0
		.amdhsa_exception_fp_ieee_overflow 0
		.amdhsa_exception_fp_ieee_underflow 0
		.amdhsa_exception_fp_ieee_inexact 0
		.amdhsa_exception_int_div_zero 0
	.end_amdhsa_kernel
	.section	.text._ZN7rocprim17ROCPRIM_400000_NS6detail17trampoline_kernelINS0_14default_configENS1_35adjacent_difference_config_selectorILb0EfEEZNS1_24adjacent_difference_implIS3_Lb0ELb0EPKfPfN6thrust23THRUST_200600_302600_NS4plusIfEEEE10hipError_tPvRmT2_T3_mT4_P12ihipStream_tbEUlT_E_NS1_11comp_targetILNS1_3genE5ELNS1_11target_archE942ELNS1_3gpuE9ELNS1_3repE0EEENS1_30default_config_static_selectorELNS0_4arch9wavefront6targetE1EEEvT1_,"axG",@progbits,_ZN7rocprim17ROCPRIM_400000_NS6detail17trampoline_kernelINS0_14default_configENS1_35adjacent_difference_config_selectorILb0EfEEZNS1_24adjacent_difference_implIS3_Lb0ELb0EPKfPfN6thrust23THRUST_200600_302600_NS4plusIfEEEE10hipError_tPvRmT2_T3_mT4_P12ihipStream_tbEUlT_E_NS1_11comp_targetILNS1_3genE5ELNS1_11target_archE942ELNS1_3gpuE9ELNS1_3repE0EEENS1_30default_config_static_selectorELNS0_4arch9wavefront6targetE1EEEvT1_,comdat
.Lfunc_end618:
	.size	_ZN7rocprim17ROCPRIM_400000_NS6detail17trampoline_kernelINS0_14default_configENS1_35adjacent_difference_config_selectorILb0EfEEZNS1_24adjacent_difference_implIS3_Lb0ELb0EPKfPfN6thrust23THRUST_200600_302600_NS4plusIfEEEE10hipError_tPvRmT2_T3_mT4_P12ihipStream_tbEUlT_E_NS1_11comp_targetILNS1_3genE5ELNS1_11target_archE942ELNS1_3gpuE9ELNS1_3repE0EEENS1_30default_config_static_selectorELNS0_4arch9wavefront6targetE1EEEvT1_, .Lfunc_end618-_ZN7rocprim17ROCPRIM_400000_NS6detail17trampoline_kernelINS0_14default_configENS1_35adjacent_difference_config_selectorILb0EfEEZNS1_24adjacent_difference_implIS3_Lb0ELb0EPKfPfN6thrust23THRUST_200600_302600_NS4plusIfEEEE10hipError_tPvRmT2_T3_mT4_P12ihipStream_tbEUlT_E_NS1_11comp_targetILNS1_3genE5ELNS1_11target_archE942ELNS1_3gpuE9ELNS1_3repE0EEENS1_30default_config_static_selectorELNS0_4arch9wavefront6targetE1EEEvT1_
                                        ; -- End function
	.section	.AMDGPU.csdata,"",@progbits
; Kernel info:
; codeLenInByte = 0
; NumSgprs: 4
; NumVgprs: 0
; NumAgprs: 0
; TotalNumVgprs: 0
; ScratchSize: 0
; MemoryBound: 0
; FloatMode: 240
; IeeeMode: 1
; LDSByteSize: 0 bytes/workgroup (compile time only)
; SGPRBlocks: 0
; VGPRBlocks: 0
; NumSGPRsForWavesPerEU: 4
; NumVGPRsForWavesPerEU: 1
; AccumOffset: 4
; Occupancy: 8
; WaveLimiterHint : 0
; COMPUTE_PGM_RSRC2:SCRATCH_EN: 0
; COMPUTE_PGM_RSRC2:USER_SGPR: 6
; COMPUTE_PGM_RSRC2:TRAP_HANDLER: 0
; COMPUTE_PGM_RSRC2:TGID_X_EN: 1
; COMPUTE_PGM_RSRC2:TGID_Y_EN: 0
; COMPUTE_PGM_RSRC2:TGID_Z_EN: 0
; COMPUTE_PGM_RSRC2:TIDIG_COMP_CNT: 0
; COMPUTE_PGM_RSRC3_GFX90A:ACCUM_OFFSET: 0
; COMPUTE_PGM_RSRC3_GFX90A:TG_SPLIT: 0
	.section	.text._ZN7rocprim17ROCPRIM_400000_NS6detail17trampoline_kernelINS0_14default_configENS1_35adjacent_difference_config_selectorILb0EfEEZNS1_24adjacent_difference_implIS3_Lb0ELb0EPKfPfN6thrust23THRUST_200600_302600_NS4plusIfEEEE10hipError_tPvRmT2_T3_mT4_P12ihipStream_tbEUlT_E_NS1_11comp_targetILNS1_3genE4ELNS1_11target_archE910ELNS1_3gpuE8ELNS1_3repE0EEENS1_30default_config_static_selectorELNS0_4arch9wavefront6targetE1EEEvT1_,"axG",@progbits,_ZN7rocprim17ROCPRIM_400000_NS6detail17trampoline_kernelINS0_14default_configENS1_35adjacent_difference_config_selectorILb0EfEEZNS1_24adjacent_difference_implIS3_Lb0ELb0EPKfPfN6thrust23THRUST_200600_302600_NS4plusIfEEEE10hipError_tPvRmT2_T3_mT4_P12ihipStream_tbEUlT_E_NS1_11comp_targetILNS1_3genE4ELNS1_11target_archE910ELNS1_3gpuE8ELNS1_3repE0EEENS1_30default_config_static_selectorELNS0_4arch9wavefront6targetE1EEEvT1_,comdat
	.protected	_ZN7rocprim17ROCPRIM_400000_NS6detail17trampoline_kernelINS0_14default_configENS1_35adjacent_difference_config_selectorILb0EfEEZNS1_24adjacent_difference_implIS3_Lb0ELb0EPKfPfN6thrust23THRUST_200600_302600_NS4plusIfEEEE10hipError_tPvRmT2_T3_mT4_P12ihipStream_tbEUlT_E_NS1_11comp_targetILNS1_3genE4ELNS1_11target_archE910ELNS1_3gpuE8ELNS1_3repE0EEENS1_30default_config_static_selectorELNS0_4arch9wavefront6targetE1EEEvT1_ ; -- Begin function _ZN7rocprim17ROCPRIM_400000_NS6detail17trampoline_kernelINS0_14default_configENS1_35adjacent_difference_config_selectorILb0EfEEZNS1_24adjacent_difference_implIS3_Lb0ELb0EPKfPfN6thrust23THRUST_200600_302600_NS4plusIfEEEE10hipError_tPvRmT2_T3_mT4_P12ihipStream_tbEUlT_E_NS1_11comp_targetILNS1_3genE4ELNS1_11target_archE910ELNS1_3gpuE8ELNS1_3repE0EEENS1_30default_config_static_selectorELNS0_4arch9wavefront6targetE1EEEvT1_
	.globl	_ZN7rocprim17ROCPRIM_400000_NS6detail17trampoline_kernelINS0_14default_configENS1_35adjacent_difference_config_selectorILb0EfEEZNS1_24adjacent_difference_implIS3_Lb0ELb0EPKfPfN6thrust23THRUST_200600_302600_NS4plusIfEEEE10hipError_tPvRmT2_T3_mT4_P12ihipStream_tbEUlT_E_NS1_11comp_targetILNS1_3genE4ELNS1_11target_archE910ELNS1_3gpuE8ELNS1_3repE0EEENS1_30default_config_static_selectorELNS0_4arch9wavefront6targetE1EEEvT1_
	.p2align	8
	.type	_ZN7rocprim17ROCPRIM_400000_NS6detail17trampoline_kernelINS0_14default_configENS1_35adjacent_difference_config_selectorILb0EfEEZNS1_24adjacent_difference_implIS3_Lb0ELb0EPKfPfN6thrust23THRUST_200600_302600_NS4plusIfEEEE10hipError_tPvRmT2_T3_mT4_P12ihipStream_tbEUlT_E_NS1_11comp_targetILNS1_3genE4ELNS1_11target_archE910ELNS1_3gpuE8ELNS1_3repE0EEENS1_30default_config_static_selectorELNS0_4arch9wavefront6targetE1EEEvT1_,@function
_ZN7rocprim17ROCPRIM_400000_NS6detail17trampoline_kernelINS0_14default_configENS1_35adjacent_difference_config_selectorILb0EfEEZNS1_24adjacent_difference_implIS3_Lb0ELb0EPKfPfN6thrust23THRUST_200600_302600_NS4plusIfEEEE10hipError_tPvRmT2_T3_mT4_P12ihipStream_tbEUlT_E_NS1_11comp_targetILNS1_3genE4ELNS1_11target_archE910ELNS1_3gpuE8ELNS1_3repE0EEENS1_30default_config_static_selectorELNS0_4arch9wavefront6targetE1EEEvT1_: ; @_ZN7rocprim17ROCPRIM_400000_NS6detail17trampoline_kernelINS0_14default_configENS1_35adjacent_difference_config_selectorILb0EfEEZNS1_24adjacent_difference_implIS3_Lb0ELb0EPKfPfN6thrust23THRUST_200600_302600_NS4plusIfEEEE10hipError_tPvRmT2_T3_mT4_P12ihipStream_tbEUlT_E_NS1_11comp_targetILNS1_3genE4ELNS1_11target_archE910ELNS1_3gpuE8ELNS1_3repE0EEENS1_30default_config_static_selectorELNS0_4arch9wavefront6targetE1EEEvT1_
; %bb.0:
	s_load_dwordx8 s[8:15], s[4:5], 0x0
	s_mov_b32 s2, 0x59999780
	s_load_dwordx2 s[0:1], s[4:5], 0x30
	s_movk_i32 s7, 0xa00
	s_mul_i32 s16, s6, 0xa00
	s_waitcnt lgkmcnt(0)
	s_lshl_b64 s[18:19], s[10:11], 2
	s_add_u32 s20, s8, s18
	s_addc_u32 s21, s9, s19
	s_add_u32 s2, 0xe0, s2
	s_addc_u32 s4, 0, 0
	v_add_co_u32_e64 v1, s[2:3], s2, 2.0
	s_cmp_lg_u64 s[2:3], 0
	s_addc_u32 s2, s4, 0x199999
	v_readfirstlane_b32 s4, v1
	s_mul_hi_u32 s5, s4, 0xfffff600
	s_mul_i32 s3, s2, 0xfffff600
	s_sub_i32 s5, s5, s4
	s_add_i32 s5, s5, s3
	s_mul_i32 s9, s4, 0xfffff600
	s_mul_hi_u32 s3, s4, s5
	s_mul_i32 s8, s4, s5
	s_mul_hi_u32 s4, s4, s9
	s_add_u32 s4, s4, s8
	s_addc_u32 s3, 0, s3
	s_mul_hi_u32 s10, s2, s9
	s_mul_i32 s9, s2, s9
	s_add_u32 s4, s4, s9
	s_mul_hi_u32 s8, s2, s5
	s_addc_u32 s3, s3, s10
	s_addc_u32 s4, s8, 0
	s_mul_i32 s5, s2, s5
	s_add_u32 s3, s3, s5
	s_addc_u32 s4, 0, s4
	v_add_co_u32_e32 v1, vcc, s3, v1
	s_cmp_lg_u64 vcc, 0
	s_addc_u32 s2, s2, s4
	v_readfirstlane_b32 s5, v1
	s_mul_i32 s4, s14, s2
	s_mul_hi_u32 s8, s14, s5
	s_mul_hi_u32 s3, s14, s2
	s_add_u32 s4, s8, s4
	s_addc_u32 s3, 0, s3
	s_mul_hi_u32 s9, s15, s5
	s_mul_i32 s5, s15, s5
	s_add_u32 s4, s4, s5
	s_mul_hi_u32 s8, s15, s2
	s_addc_u32 s3, s3, s9
	s_addc_u32 s4, s8, 0
	s_mul_i32 s2, s15, s2
	s_add_u32 s2, s3, s2
	s_addc_u32 s3, 0, s4
	s_add_u32 s4, s2, 1
	s_addc_u32 s5, s3, 0
	s_add_u32 s8, s2, 2
	s_mul_i32 s10, s3, 0xa00
	s_mul_hi_u32 s11, s2, 0xa00
	s_addc_u32 s9, s3, 0
	s_add_i32 s11, s11, s10
	s_mul_i32 s10, s2, 0xa00
	v_mov_b32_e32 v1, s10
	v_sub_co_u32_e32 v1, vcc, s14, v1
	s_cmp_lg_u64 vcc, 0
	s_subb_u32 s10, s15, s11
	v_subrev_co_u32_e32 v2, vcc, s7, v1
	s_cmp_lg_u64 vcc, 0
	s_subb_u32 s7, s10, 0
	v_readfirstlane_b32 s11, v2
	s_cmpk_gt_u32 s11, 0x9ff
	s_cselect_b32 s11, -1, 0
	s_cmp_eq_u32 s7, 0
	s_cselect_b32 s7, s11, -1
	s_cmp_lg_u32 s7, 0
	v_readfirstlane_b32 s7, v1
	s_cselect_b32 s4, s8, s4
	s_cselect_b32 s5, s9, s5
	s_cmpk_gt_u32 s7, 0x9ff
	s_cselect_b32 s7, -1, 0
	s_cmp_eq_u32 s10, 0
	s_cselect_b32 s7, s7, -1
	s_cmp_lg_u32 s7, 0
	s_cselect_b32 s5, s5, s3
	s_cselect_b32 s4, s4, s2
	s_mul_i32 s2, s5, 0xa00
	s_mul_hi_u32 s3, s4, 0xa00
	s_add_i32 s3, s3, s2
	s_mul_i32 s2, s4, 0xa00
	s_sub_u32 s2, s14, s2
	s_subb_u32 s3, s15, s3
	s_cmp_lg_u64 s[2:3], 0
	s_cselect_b64 s[2:3], -1, 0
	v_cndmask_b32_e64 v1, 0, 1, s[2:3]
	v_readfirstlane_b32 s2, v1
	s_add_u32 s2, s4, s2
	s_addc_u32 s3, s5, 0
	s_add_u32 s4, s0, s6
	s_addc_u32 s5, s1, 0
	s_add_u32 s6, s2, -1
	s_addc_u32 s7, s3, -1
	v_pk_mov_b32 v[2:3], s[6:7], s[6:7] op_sel:[0,1]
	v_cmp_ge_u64_e64 s[0:1], s[4:5], v[2:3]
	s_mov_b32 s17, 0
	s_mov_b64 s[8:9], -1
	s_and_b64 vcc, exec, s[0:1]
	s_mul_i32 s15, s6, 0xfffff600
	s_cbranch_vccz .LBB619_12
; %bb.1:
	s_add_i32 s22, s15, s14
	s_lshl_b64 s[8:9], s[16:17], 2
	s_add_u32 s8, s20, s8
	s_addc_u32 s9, s21, s9
	v_cmp_gt_u32_e32 vcc, s22, v0
                                        ; implicit-def: $vgpr2_vgpr3_vgpr4_vgpr5_vgpr6
	s_and_saveexec_b64 s[10:11], vcc
	s_cbranch_execz .LBB619_3
; %bb.2:
	v_lshlrev_b32_e32 v1, 2, v0
	global_load_dword v2, v1, s[8:9]
.LBB619_3:
	s_or_b64 exec, exec, s[10:11]
	v_or_b32_e32 v1, 0x200, v0
	v_cmp_gt_u32_e32 vcc, s22, v1
	s_and_saveexec_b64 s[10:11], vcc
	s_cbranch_execz .LBB619_5
; %bb.4:
	v_lshlrev_b32_e32 v1, 2, v0
	global_load_dword v3, v1, s[8:9] offset:2048
.LBB619_5:
	s_or_b64 exec, exec, s[10:11]
	v_or_b32_e32 v1, 0x400, v0
	v_cmp_gt_u32_e32 vcc, s22, v1
	s_and_saveexec_b64 s[10:11], vcc
	s_cbranch_execz .LBB619_7
; %bb.6:
	v_lshlrev_b32_e32 v1, 2, v1
	global_load_dword v4, v1, s[8:9]
.LBB619_7:
	s_or_b64 exec, exec, s[10:11]
	v_or_b32_e32 v1, 0x600, v0
	v_cmp_gt_u32_e32 vcc, s22, v1
	s_and_saveexec_b64 s[10:11], vcc
	s_cbranch_execz .LBB619_9
; %bb.8:
	v_lshlrev_b32_e32 v1, 2, v1
	global_load_dword v5, v1, s[8:9]
.LBB619_9:
	;; [unrolled: 9-line block ×3, first 2 shown]
	s_or_b64 exec, exec, s[10:11]
	v_lshlrev_b32_e32 v1, 2, v0
	s_mov_b64 s[8:9], 0
	s_waitcnt vmcnt(0)
	ds_write2st64_b32 v1, v2, v3 offset1:8
	ds_write2st64_b32 v1, v4, v5 offset0:16 offset1:24
	ds_write_b32 v1, v6 offset:8192
	s_waitcnt lgkmcnt(0)
	s_barrier
.LBB619_12:
	s_and_b64 vcc, exec, s[8:9]
	v_lshlrev_b32_e32 v1, 2, v0
	s_cbranch_vccz .LBB619_14
; %bb.13:
	s_lshl_b64 s[8:9], s[16:17], 2
	s_add_u32 s8, s20, s8
	s_addc_u32 s9, s21, s9
	v_mov_b32_e32 v2, s9
	v_add_co_u32_e32 v4, vcc, s8, v1
	v_addc_co_u32_e32 v5, vcc, 0, v2, vcc
	v_add_co_u32_e32 v2, vcc, 0x1000, v4
	v_addc_co_u32_e32 v3, vcc, 0, v5, vcc
	global_load_dword v6, v1, s[8:9]
	global_load_dword v7, v1, s[8:9] offset:2048
	global_load_dword v8, v[2:3], off
	global_load_dword v9, v[2:3], off offset:2048
	v_add_co_u32_e32 v2, vcc, 0x2000, v4
	v_addc_co_u32_e32 v3, vcc, 0, v5, vcc
	global_load_dword v2, v[2:3], off
	s_waitcnt vmcnt(3)
	ds_write2st64_b32 v1, v6, v7 offset1:8
	s_waitcnt vmcnt(1)
	ds_write2st64_b32 v1, v8, v9 offset0:16 offset1:24
	s_waitcnt vmcnt(0)
	ds_write_b32 v1, v2 offset:8192
	s_waitcnt lgkmcnt(0)
	s_barrier
.LBB619_14:
	v_mul_u32_u24_e32 v2, 5, v0
	v_lshlrev_b32_e32 v2, 2, v2
	ds_read2_b32 v[4:5], v2 offset1:1
	ds_read2_b32 v[6:7], v2 offset0:2 offset1:3
	ds_read_b32 v11, v2 offset:16
	s_cmp_eq_u64 s[4:5], 0
	s_waitcnt lgkmcnt(0)
	s_barrier
	s_cbranch_scc1 .LBB619_19
; %bb.15:
	s_lshl_b64 s[8:9], s[16:17], 2
	s_add_u32 s8, s20, s8
	s_addc_u32 s9, s21, s9
	s_add_u32 s8, s8, -4
	s_addc_u32 s9, s9, -1
	s_load_dword s8, s[8:9], 0x0
	s_cmp_eq_u64 s[4:5], s[6:7]
	s_cbranch_scc1 .LBB619_20
; %bb.16:
	v_cmp_ne_u32_e32 vcc, 0, v0
	s_waitcnt lgkmcnt(0)
	v_mov_b32_e32 v12, s8
	ds_write_b32 v1, v11
	s_waitcnt lgkmcnt(0)
	s_barrier
	s_and_saveexec_b64 s[6:7], vcc
	s_cbranch_execz .LBB619_18
; %bb.17:
	v_add_u32_e32 v2, -4, v1
	ds_read_b32 v12, v2
.LBB619_18:
	s_or_b64 exec, exec, s[6:7]
	v_mov_b32_e32 v10, v6
	v_mov_b32_e32 v8, v4
	;; [unrolled: 1-line block ×3, first 2 shown]
	v_pk_add_f32 v[2:3], v[6:7], v[10:11] op_sel:[1,0]
	v_pk_add_f32 v[8:9], v[4:5], v[8:9] op_sel:[1,0]
	s_waitcnt lgkmcnt(0)
	v_add_f32_e32 v12, v4, v12
	s_branch .LBB619_24
.LBB619_19:
                                        ; implicit-def: $vgpr3
                                        ; implicit-def: $vgpr9
                                        ; implicit-def: $vgpr12
	s_branch .LBB619_25
.LBB619_20:
                                        ; implicit-def: $vgpr3
                                        ; implicit-def: $vgpr9
                                        ; implicit-def: $vgpr12
	s_cbranch_execz .LBB619_24
; %bb.21:
	v_mul_u32_u24_e32 v10, 5, v0
	v_cmp_ne_u32_e32 vcc, 0, v0
	s_waitcnt lgkmcnt(0)
	v_mov_b32_e32 v12, s8
	ds_write_b32 v1, v11
	s_waitcnt lgkmcnt(0)
	s_barrier
	s_and_saveexec_b64 s[6:7], vcc
	s_cbranch_execz .LBB619_23
; %bb.22:
	v_add_u32_e32 v2, -4, v1
	ds_read_b32 v12, v2
.LBB619_23:
	s_or_b64 exec, exec, s[6:7]
	s_mulk_i32 s4, 0xf600
	s_add_i32 s4, s4, s14
	v_add_u32_e32 v2, 4, v10
	v_add_f32_e32 v3, v7, v11
	v_cmp_gt_u32_e32 vcc, s4, v2
	v_cndmask_b32_e32 v3, v11, v3, vcc
	v_add_u32_e32 v13, 3, v10
	v_mov_b32_e32 v2, v7
	v_pk_add_f32 v[8:9], v[6:7], v[2:3]
	v_cmp_gt_u32_e32 vcc, s4, v13
	v_cndmask_b32_e32 v2, v7, v8, vcc
	v_add_u32_e32 v13, 2, v10
	v_mov_b32_e32 v8, v5
	v_pk_add_f32 v[8:9], v[8:9], v[6:7]
	v_cmp_gt_u32_e32 vcc, s4, v13
	v_cndmask_b32_e32 v9, v6, v8, vcc
	v_add_u32_e32 v8, 1, v10
	v_mov_b32_e32 v13, v4
	s_waitcnt lgkmcnt(0)
	v_pk_add_f32 v[14:15], v[12:13], v[4:5]
	v_cmp_gt_u32_e32 vcc, s4, v8
	v_cndmask_b32_e32 v8, v5, v15, vcc
	v_add_f32_e32 v12, v4, v12
	v_cmp_gt_u32_e32 vcc, s4, v10
	v_cndmask_b32_e32 v12, v4, v12, vcc
.LBB619_24:
	s_cbranch_execnz .LBB619_33
.LBB619_25:
	s_cmp_eq_u64 s[2:3], 1
	v_cmp_ne_u32_e32 vcc, 0, v0
	s_cbranch_scc1 .LBB619_29
; %bb.26:
	v_mov_b32_e32 v10, v7
	v_mov_b32_e32 v8, v5
	;; [unrolled: 1-line block ×3, first 2 shown]
	v_pk_add_f32 v[2:3], v[6:7], v[10:11]
	v_pk_add_f32 v[8:9], v[4:5], v[8:9]
	v_mov_b32_e32 v12, v4
	ds_write_b32 v1, v11
	s_waitcnt lgkmcnt(0)
	s_barrier
	s_and_saveexec_b64 s[2:3], vcc
	s_cbranch_execz .LBB619_28
; %bb.27:
	v_add_u32_e32 v10, -4, v1
	ds_read_b32 v10, v10
	s_waitcnt lgkmcnt(0)
	v_add_f32_e32 v12, v4, v10
.LBB619_28:
	s_or_b64 exec, exec, s[2:3]
	s_cbranch_execz .LBB619_30
	s_branch .LBB619_33
.LBB619_29:
                                        ; implicit-def: $vgpr3
                                        ; implicit-def: $vgpr9
                                        ; implicit-def: $vgpr12
.LBB619_30:
	v_mad_u32_u24 v2, v0, 5, 4
	v_cmp_gt_u32_e32 vcc, s14, v2
	v_mad_u32_u24 v2, v0, 5, 3
	v_cmp_gt_u32_e64 s[2:3], s14, v2
	v_mov_b32_e32 v2, v7
	v_pk_add_f32 v[2:3], v[6:7], v[2:3]
	v_mad_u32_u24 v3, v0, 5, 2
	v_mul_u32_u24_e32 v14, 5, v0
	v_cmp_gt_u32_e64 s[4:5], s14, v3
	v_mad_u32_u24 v3, v0, 5, 1
	v_mov_b32_e32 v8, v5
	v_cmp_gt_u32_e64 s[6:7], s14, v3
	v_mov_b32_e32 v3, v4
	s_waitcnt lgkmcnt(0)
	v_cmp_ne_u32_e64 s[8:9], 0, v0
	v_cmp_gt_u32_e64 s[10:11], s14, v14
	v_add_f32_e32 v10, v7, v11
	v_pk_add_f32 v[8:9], v[8:9], v[6:7]
	v_pk_add_f32 v[12:13], v[2:3], v[4:5]
	s_and_b64 s[10:11], s[8:9], s[10:11]
	ds_write_b32 v1, v11
	s_waitcnt lgkmcnt(0)
	s_barrier
	s_and_saveexec_b64 s[8:9], s[10:11]
	s_cbranch_execz .LBB619_32
; %bb.31:
	v_add_u32_e32 v3, -4, v1
	ds_read_b32 v3, v3
	s_waitcnt lgkmcnt(0)
	v_add_f32_e32 v4, v4, v3
.LBB619_32:
	s_or_b64 exec, exec, s[8:9]
	v_cndmask_b32_e32 v3, v11, v10, vcc
	v_cndmask_b32_e64 v2, v7, v2, s[2:3]
	v_cndmask_b32_e64 v9, v6, v8, s[4:5]
	;; [unrolled: 1-line block ×3, first 2 shown]
	v_mov_b32_e32 v12, v4
.LBB619_33:
	s_add_u32 s4, s12, s18
	s_addc_u32 s5, s13, s19
	s_and_b64 vcc, exec, s[0:1]
	v_mul_u32_u24_e32 v13, 20, v0
	v_lshlrev_b32_e32 v14, 4, v0
	s_waitcnt lgkmcnt(0)
	s_barrier
	s_cbranch_vccz .LBB619_43
; %bb.34:
	s_add_i32 s15, s15, s14
	s_lshl_b64 s[0:1], s[16:17], 2
	v_sub_u32_e32 v4, v13, v14
	s_add_u32 s0, s4, s0
	ds_write2_b32 v13, v12, v8 offset1:1
	ds_write2_b32 v13, v9, v2 offset0:2 offset1:3
	ds_write_b32 v13, v3 offset:16
	s_waitcnt lgkmcnt(0)
	s_barrier
	ds_read2st64_b32 v[10:11], v4 offset0:8 offset1:16
	ds_read2st64_b32 v[4:5], v4 offset0:24 offset1:32
	s_addc_u32 s1, s5, s1
	v_mov_b32_e32 v7, s1
	v_add_co_u32_e32 v6, vcc, s0, v1
	v_addc_co_u32_e32 v7, vcc, 0, v7, vcc
	v_cmp_gt_u32_e32 vcc, s15, v0
	s_and_saveexec_b64 s[0:1], vcc
	s_cbranch_execz .LBB619_36
; %bb.35:
	v_sub_u32_e32 v15, 0, v14
	v_add_u32_e32 v15, v13, v15
	ds_read_b32 v15, v15
	s_waitcnt lgkmcnt(0)
	global_store_dword v[6:7], v15, off
.LBB619_36:
	s_or_b64 exec, exec, s[0:1]
	v_or_b32_e32 v15, 0x200, v0
	v_cmp_gt_u32_e32 vcc, s15, v15
	s_and_saveexec_b64 s[0:1], vcc
	s_cbranch_execz .LBB619_38
; %bb.37:
	s_waitcnt lgkmcnt(1)
	global_store_dword v[6:7], v10, off offset:2048
.LBB619_38:
	s_or_b64 exec, exec, s[0:1]
	s_waitcnt lgkmcnt(1)
	v_or_b32_e32 v10, 0x400, v0
	v_cmp_gt_u32_e32 vcc, s15, v10
	s_and_saveexec_b64 s[0:1], vcc
	s_cbranch_execz .LBB619_40
; %bb.39:
	v_add_co_u32_e32 v16, vcc, 0x1000, v6
	v_addc_co_u32_e32 v17, vcc, 0, v7, vcc
	global_store_dword v[16:17], v11, off
.LBB619_40:
	s_or_b64 exec, exec, s[0:1]
	v_or_b32_e32 v10, 0x600, v0
	v_cmp_gt_u32_e32 vcc, s15, v10
	s_and_saveexec_b64 s[0:1], vcc
	s_cbranch_execz .LBB619_42
; %bb.41:
	v_add_co_u32_e32 v10, vcc, 0x1000, v6
	v_addc_co_u32_e32 v11, vcc, 0, v7, vcc
	s_waitcnt lgkmcnt(0)
	global_store_dword v[10:11], v4, off offset:2048
.LBB619_42:
	s_or_b64 exec, exec, s[0:1]
	v_or_b32_e32 v0, 0x800, v0
	v_cmp_gt_u32_e64 s[0:1], s15, v0
	s_branch .LBB619_45
.LBB619_43:
	s_mov_b64 s[0:1], 0
                                        ; implicit-def: $vgpr5
                                        ; implicit-def: $vgpr6_vgpr7
	s_cbranch_execz .LBB619_45
; %bb.44:
	s_lshl_b64 s[2:3], s[16:17], 2
	s_add_u32 s2, s4, s2
	s_addc_u32 s3, s5, s3
	v_sub_u32_e32 v0, v13, v14
	ds_write2_b32 v13, v12, v8 offset1:1
	ds_write2_b32 v13, v9, v2 offset0:2 offset1:3
	ds_write_b32 v13, v3 offset:16
	s_waitcnt lgkmcnt(0)
	s_barrier
	ds_read2st64_b32 v[2:3], v0 offset1:8
	ds_read2st64_b32 v[8:9], v0 offset0:16 offset1:24
	ds_read_b32 v5, v0 offset:8192
	v_mov_b32_e32 v0, s3
	v_add_co_u32_e32 v6, vcc, s2, v1
	v_addc_co_u32_e32 v7, vcc, 0, v0, vcc
	v_add_co_u32_e32 v0, vcc, 0x1000, v6
	s_waitcnt lgkmcnt(2)
	global_store_dword v1, v2, s[2:3]
	global_store_dword v1, v3, s[2:3] offset:2048
	v_addc_co_u32_e32 v1, vcc, 0, v7, vcc
	s_or_b64 s[0:1], s[0:1], exec
	s_waitcnt lgkmcnt(1)
	global_store_dword v[0:1], v8, off
	global_store_dword v[0:1], v9, off offset:2048
.LBB619_45:
	s_and_saveexec_b64 s[2:3], s[0:1]
	s_cbranch_execnz .LBB619_47
; %bb.46:
	s_endpgm
.LBB619_47:
	v_add_co_u32_e32 v0, vcc, 0x2000, v6
	v_addc_co_u32_e32 v1, vcc, 0, v7, vcc
	s_waitcnt lgkmcnt(0)
	global_store_dword v[0:1], v5, off
	s_endpgm
	.section	.rodata,"a",@progbits
	.p2align	6, 0x0
	.amdhsa_kernel _ZN7rocprim17ROCPRIM_400000_NS6detail17trampoline_kernelINS0_14default_configENS1_35adjacent_difference_config_selectorILb0EfEEZNS1_24adjacent_difference_implIS3_Lb0ELb0EPKfPfN6thrust23THRUST_200600_302600_NS4plusIfEEEE10hipError_tPvRmT2_T3_mT4_P12ihipStream_tbEUlT_E_NS1_11comp_targetILNS1_3genE4ELNS1_11target_archE910ELNS1_3gpuE8ELNS1_3repE0EEENS1_30default_config_static_selectorELNS0_4arch9wavefront6targetE1EEEvT1_
		.amdhsa_group_segment_fixed_size 10240
		.amdhsa_private_segment_fixed_size 0
		.amdhsa_kernarg_size 56
		.amdhsa_user_sgpr_count 6
		.amdhsa_user_sgpr_private_segment_buffer 1
		.amdhsa_user_sgpr_dispatch_ptr 0
		.amdhsa_user_sgpr_queue_ptr 0
		.amdhsa_user_sgpr_kernarg_segment_ptr 1
		.amdhsa_user_sgpr_dispatch_id 0
		.amdhsa_user_sgpr_flat_scratch_init 0
		.amdhsa_user_sgpr_kernarg_preload_length 0
		.amdhsa_user_sgpr_kernarg_preload_offset 0
		.amdhsa_user_sgpr_private_segment_size 0
		.amdhsa_uses_dynamic_stack 0
		.amdhsa_system_sgpr_private_segment_wavefront_offset 0
		.amdhsa_system_sgpr_workgroup_id_x 1
		.amdhsa_system_sgpr_workgroup_id_y 0
		.amdhsa_system_sgpr_workgroup_id_z 0
		.amdhsa_system_sgpr_workgroup_info 0
		.amdhsa_system_vgpr_workitem_id 0
		.amdhsa_next_free_vgpr 18
		.amdhsa_next_free_sgpr 23
		.amdhsa_accum_offset 20
		.amdhsa_reserve_vcc 1
		.amdhsa_reserve_flat_scratch 0
		.amdhsa_float_round_mode_32 0
		.amdhsa_float_round_mode_16_64 0
		.amdhsa_float_denorm_mode_32 3
		.amdhsa_float_denorm_mode_16_64 3
		.amdhsa_dx10_clamp 1
		.amdhsa_ieee_mode 1
		.amdhsa_fp16_overflow 0
		.amdhsa_tg_split 0
		.amdhsa_exception_fp_ieee_invalid_op 0
		.amdhsa_exception_fp_denorm_src 0
		.amdhsa_exception_fp_ieee_div_zero 0
		.amdhsa_exception_fp_ieee_overflow 0
		.amdhsa_exception_fp_ieee_underflow 0
		.amdhsa_exception_fp_ieee_inexact 0
		.amdhsa_exception_int_div_zero 0
	.end_amdhsa_kernel
	.section	.text._ZN7rocprim17ROCPRIM_400000_NS6detail17trampoline_kernelINS0_14default_configENS1_35adjacent_difference_config_selectorILb0EfEEZNS1_24adjacent_difference_implIS3_Lb0ELb0EPKfPfN6thrust23THRUST_200600_302600_NS4plusIfEEEE10hipError_tPvRmT2_T3_mT4_P12ihipStream_tbEUlT_E_NS1_11comp_targetILNS1_3genE4ELNS1_11target_archE910ELNS1_3gpuE8ELNS1_3repE0EEENS1_30default_config_static_selectorELNS0_4arch9wavefront6targetE1EEEvT1_,"axG",@progbits,_ZN7rocprim17ROCPRIM_400000_NS6detail17trampoline_kernelINS0_14default_configENS1_35adjacent_difference_config_selectorILb0EfEEZNS1_24adjacent_difference_implIS3_Lb0ELb0EPKfPfN6thrust23THRUST_200600_302600_NS4plusIfEEEE10hipError_tPvRmT2_T3_mT4_P12ihipStream_tbEUlT_E_NS1_11comp_targetILNS1_3genE4ELNS1_11target_archE910ELNS1_3gpuE8ELNS1_3repE0EEENS1_30default_config_static_selectorELNS0_4arch9wavefront6targetE1EEEvT1_,comdat
.Lfunc_end619:
	.size	_ZN7rocprim17ROCPRIM_400000_NS6detail17trampoline_kernelINS0_14default_configENS1_35adjacent_difference_config_selectorILb0EfEEZNS1_24adjacent_difference_implIS3_Lb0ELb0EPKfPfN6thrust23THRUST_200600_302600_NS4plusIfEEEE10hipError_tPvRmT2_T3_mT4_P12ihipStream_tbEUlT_E_NS1_11comp_targetILNS1_3genE4ELNS1_11target_archE910ELNS1_3gpuE8ELNS1_3repE0EEENS1_30default_config_static_selectorELNS0_4arch9wavefront6targetE1EEEvT1_, .Lfunc_end619-_ZN7rocprim17ROCPRIM_400000_NS6detail17trampoline_kernelINS0_14default_configENS1_35adjacent_difference_config_selectorILb0EfEEZNS1_24adjacent_difference_implIS3_Lb0ELb0EPKfPfN6thrust23THRUST_200600_302600_NS4plusIfEEEE10hipError_tPvRmT2_T3_mT4_P12ihipStream_tbEUlT_E_NS1_11comp_targetILNS1_3genE4ELNS1_11target_archE910ELNS1_3gpuE8ELNS1_3repE0EEENS1_30default_config_static_selectorELNS0_4arch9wavefront6targetE1EEEvT1_
                                        ; -- End function
	.section	.AMDGPU.csdata,"",@progbits
; Kernel info:
; codeLenInByte = 2040
; NumSgprs: 27
; NumVgprs: 18
; NumAgprs: 0
; TotalNumVgprs: 18
; ScratchSize: 0
; MemoryBound: 0
; FloatMode: 240
; IeeeMode: 1
; LDSByteSize: 10240 bytes/workgroup (compile time only)
; SGPRBlocks: 3
; VGPRBlocks: 2
; NumSGPRsForWavesPerEU: 27
; NumVGPRsForWavesPerEU: 18
; AccumOffset: 20
; Occupancy: 8
; WaveLimiterHint : 1
; COMPUTE_PGM_RSRC2:SCRATCH_EN: 0
; COMPUTE_PGM_RSRC2:USER_SGPR: 6
; COMPUTE_PGM_RSRC2:TRAP_HANDLER: 0
; COMPUTE_PGM_RSRC2:TGID_X_EN: 1
; COMPUTE_PGM_RSRC2:TGID_Y_EN: 0
; COMPUTE_PGM_RSRC2:TGID_Z_EN: 0
; COMPUTE_PGM_RSRC2:TIDIG_COMP_CNT: 0
; COMPUTE_PGM_RSRC3_GFX90A:ACCUM_OFFSET: 4
; COMPUTE_PGM_RSRC3_GFX90A:TG_SPLIT: 0
	.section	.text._ZN7rocprim17ROCPRIM_400000_NS6detail17trampoline_kernelINS0_14default_configENS1_35adjacent_difference_config_selectorILb0EfEEZNS1_24adjacent_difference_implIS3_Lb0ELb0EPKfPfN6thrust23THRUST_200600_302600_NS4plusIfEEEE10hipError_tPvRmT2_T3_mT4_P12ihipStream_tbEUlT_E_NS1_11comp_targetILNS1_3genE3ELNS1_11target_archE908ELNS1_3gpuE7ELNS1_3repE0EEENS1_30default_config_static_selectorELNS0_4arch9wavefront6targetE1EEEvT1_,"axG",@progbits,_ZN7rocprim17ROCPRIM_400000_NS6detail17trampoline_kernelINS0_14default_configENS1_35adjacent_difference_config_selectorILb0EfEEZNS1_24adjacent_difference_implIS3_Lb0ELb0EPKfPfN6thrust23THRUST_200600_302600_NS4plusIfEEEE10hipError_tPvRmT2_T3_mT4_P12ihipStream_tbEUlT_E_NS1_11comp_targetILNS1_3genE3ELNS1_11target_archE908ELNS1_3gpuE7ELNS1_3repE0EEENS1_30default_config_static_selectorELNS0_4arch9wavefront6targetE1EEEvT1_,comdat
	.protected	_ZN7rocprim17ROCPRIM_400000_NS6detail17trampoline_kernelINS0_14default_configENS1_35adjacent_difference_config_selectorILb0EfEEZNS1_24adjacent_difference_implIS3_Lb0ELb0EPKfPfN6thrust23THRUST_200600_302600_NS4plusIfEEEE10hipError_tPvRmT2_T3_mT4_P12ihipStream_tbEUlT_E_NS1_11comp_targetILNS1_3genE3ELNS1_11target_archE908ELNS1_3gpuE7ELNS1_3repE0EEENS1_30default_config_static_selectorELNS0_4arch9wavefront6targetE1EEEvT1_ ; -- Begin function _ZN7rocprim17ROCPRIM_400000_NS6detail17trampoline_kernelINS0_14default_configENS1_35adjacent_difference_config_selectorILb0EfEEZNS1_24adjacent_difference_implIS3_Lb0ELb0EPKfPfN6thrust23THRUST_200600_302600_NS4plusIfEEEE10hipError_tPvRmT2_T3_mT4_P12ihipStream_tbEUlT_E_NS1_11comp_targetILNS1_3genE3ELNS1_11target_archE908ELNS1_3gpuE7ELNS1_3repE0EEENS1_30default_config_static_selectorELNS0_4arch9wavefront6targetE1EEEvT1_
	.globl	_ZN7rocprim17ROCPRIM_400000_NS6detail17trampoline_kernelINS0_14default_configENS1_35adjacent_difference_config_selectorILb0EfEEZNS1_24adjacent_difference_implIS3_Lb0ELb0EPKfPfN6thrust23THRUST_200600_302600_NS4plusIfEEEE10hipError_tPvRmT2_T3_mT4_P12ihipStream_tbEUlT_E_NS1_11comp_targetILNS1_3genE3ELNS1_11target_archE908ELNS1_3gpuE7ELNS1_3repE0EEENS1_30default_config_static_selectorELNS0_4arch9wavefront6targetE1EEEvT1_
	.p2align	8
	.type	_ZN7rocprim17ROCPRIM_400000_NS6detail17trampoline_kernelINS0_14default_configENS1_35adjacent_difference_config_selectorILb0EfEEZNS1_24adjacent_difference_implIS3_Lb0ELb0EPKfPfN6thrust23THRUST_200600_302600_NS4plusIfEEEE10hipError_tPvRmT2_T3_mT4_P12ihipStream_tbEUlT_E_NS1_11comp_targetILNS1_3genE3ELNS1_11target_archE908ELNS1_3gpuE7ELNS1_3repE0EEENS1_30default_config_static_selectorELNS0_4arch9wavefront6targetE1EEEvT1_,@function
_ZN7rocprim17ROCPRIM_400000_NS6detail17trampoline_kernelINS0_14default_configENS1_35adjacent_difference_config_selectorILb0EfEEZNS1_24adjacent_difference_implIS3_Lb0ELb0EPKfPfN6thrust23THRUST_200600_302600_NS4plusIfEEEE10hipError_tPvRmT2_T3_mT4_P12ihipStream_tbEUlT_E_NS1_11comp_targetILNS1_3genE3ELNS1_11target_archE908ELNS1_3gpuE7ELNS1_3repE0EEENS1_30default_config_static_selectorELNS0_4arch9wavefront6targetE1EEEvT1_: ; @_ZN7rocprim17ROCPRIM_400000_NS6detail17trampoline_kernelINS0_14default_configENS1_35adjacent_difference_config_selectorILb0EfEEZNS1_24adjacent_difference_implIS3_Lb0ELb0EPKfPfN6thrust23THRUST_200600_302600_NS4plusIfEEEE10hipError_tPvRmT2_T3_mT4_P12ihipStream_tbEUlT_E_NS1_11comp_targetILNS1_3genE3ELNS1_11target_archE908ELNS1_3gpuE7ELNS1_3repE0EEENS1_30default_config_static_selectorELNS0_4arch9wavefront6targetE1EEEvT1_
; %bb.0:
	.section	.rodata,"a",@progbits
	.p2align	6, 0x0
	.amdhsa_kernel _ZN7rocprim17ROCPRIM_400000_NS6detail17trampoline_kernelINS0_14default_configENS1_35adjacent_difference_config_selectorILb0EfEEZNS1_24adjacent_difference_implIS3_Lb0ELb0EPKfPfN6thrust23THRUST_200600_302600_NS4plusIfEEEE10hipError_tPvRmT2_T3_mT4_P12ihipStream_tbEUlT_E_NS1_11comp_targetILNS1_3genE3ELNS1_11target_archE908ELNS1_3gpuE7ELNS1_3repE0EEENS1_30default_config_static_selectorELNS0_4arch9wavefront6targetE1EEEvT1_
		.amdhsa_group_segment_fixed_size 0
		.amdhsa_private_segment_fixed_size 0
		.amdhsa_kernarg_size 56
		.amdhsa_user_sgpr_count 6
		.amdhsa_user_sgpr_private_segment_buffer 1
		.amdhsa_user_sgpr_dispatch_ptr 0
		.amdhsa_user_sgpr_queue_ptr 0
		.amdhsa_user_sgpr_kernarg_segment_ptr 1
		.amdhsa_user_sgpr_dispatch_id 0
		.amdhsa_user_sgpr_flat_scratch_init 0
		.amdhsa_user_sgpr_kernarg_preload_length 0
		.amdhsa_user_sgpr_kernarg_preload_offset 0
		.amdhsa_user_sgpr_private_segment_size 0
		.amdhsa_uses_dynamic_stack 0
		.amdhsa_system_sgpr_private_segment_wavefront_offset 0
		.amdhsa_system_sgpr_workgroup_id_x 1
		.amdhsa_system_sgpr_workgroup_id_y 0
		.amdhsa_system_sgpr_workgroup_id_z 0
		.amdhsa_system_sgpr_workgroup_info 0
		.amdhsa_system_vgpr_workitem_id 0
		.amdhsa_next_free_vgpr 1
		.amdhsa_next_free_sgpr 0
		.amdhsa_accum_offset 4
		.amdhsa_reserve_vcc 0
		.amdhsa_reserve_flat_scratch 0
		.amdhsa_float_round_mode_32 0
		.amdhsa_float_round_mode_16_64 0
		.amdhsa_float_denorm_mode_32 3
		.amdhsa_float_denorm_mode_16_64 3
		.amdhsa_dx10_clamp 1
		.amdhsa_ieee_mode 1
		.amdhsa_fp16_overflow 0
		.amdhsa_tg_split 0
		.amdhsa_exception_fp_ieee_invalid_op 0
		.amdhsa_exception_fp_denorm_src 0
		.amdhsa_exception_fp_ieee_div_zero 0
		.amdhsa_exception_fp_ieee_overflow 0
		.amdhsa_exception_fp_ieee_underflow 0
		.amdhsa_exception_fp_ieee_inexact 0
		.amdhsa_exception_int_div_zero 0
	.end_amdhsa_kernel
	.section	.text._ZN7rocprim17ROCPRIM_400000_NS6detail17trampoline_kernelINS0_14default_configENS1_35adjacent_difference_config_selectorILb0EfEEZNS1_24adjacent_difference_implIS3_Lb0ELb0EPKfPfN6thrust23THRUST_200600_302600_NS4plusIfEEEE10hipError_tPvRmT2_T3_mT4_P12ihipStream_tbEUlT_E_NS1_11comp_targetILNS1_3genE3ELNS1_11target_archE908ELNS1_3gpuE7ELNS1_3repE0EEENS1_30default_config_static_selectorELNS0_4arch9wavefront6targetE1EEEvT1_,"axG",@progbits,_ZN7rocprim17ROCPRIM_400000_NS6detail17trampoline_kernelINS0_14default_configENS1_35adjacent_difference_config_selectorILb0EfEEZNS1_24adjacent_difference_implIS3_Lb0ELb0EPKfPfN6thrust23THRUST_200600_302600_NS4plusIfEEEE10hipError_tPvRmT2_T3_mT4_P12ihipStream_tbEUlT_E_NS1_11comp_targetILNS1_3genE3ELNS1_11target_archE908ELNS1_3gpuE7ELNS1_3repE0EEENS1_30default_config_static_selectorELNS0_4arch9wavefront6targetE1EEEvT1_,comdat
.Lfunc_end620:
	.size	_ZN7rocprim17ROCPRIM_400000_NS6detail17trampoline_kernelINS0_14default_configENS1_35adjacent_difference_config_selectorILb0EfEEZNS1_24adjacent_difference_implIS3_Lb0ELb0EPKfPfN6thrust23THRUST_200600_302600_NS4plusIfEEEE10hipError_tPvRmT2_T3_mT4_P12ihipStream_tbEUlT_E_NS1_11comp_targetILNS1_3genE3ELNS1_11target_archE908ELNS1_3gpuE7ELNS1_3repE0EEENS1_30default_config_static_selectorELNS0_4arch9wavefront6targetE1EEEvT1_, .Lfunc_end620-_ZN7rocprim17ROCPRIM_400000_NS6detail17trampoline_kernelINS0_14default_configENS1_35adjacent_difference_config_selectorILb0EfEEZNS1_24adjacent_difference_implIS3_Lb0ELb0EPKfPfN6thrust23THRUST_200600_302600_NS4plusIfEEEE10hipError_tPvRmT2_T3_mT4_P12ihipStream_tbEUlT_E_NS1_11comp_targetILNS1_3genE3ELNS1_11target_archE908ELNS1_3gpuE7ELNS1_3repE0EEENS1_30default_config_static_selectorELNS0_4arch9wavefront6targetE1EEEvT1_
                                        ; -- End function
	.section	.AMDGPU.csdata,"",@progbits
; Kernel info:
; codeLenInByte = 0
; NumSgprs: 4
; NumVgprs: 0
; NumAgprs: 0
; TotalNumVgprs: 0
; ScratchSize: 0
; MemoryBound: 0
; FloatMode: 240
; IeeeMode: 1
; LDSByteSize: 0 bytes/workgroup (compile time only)
; SGPRBlocks: 0
; VGPRBlocks: 0
; NumSGPRsForWavesPerEU: 4
; NumVGPRsForWavesPerEU: 1
; AccumOffset: 4
; Occupancy: 8
; WaveLimiterHint : 0
; COMPUTE_PGM_RSRC2:SCRATCH_EN: 0
; COMPUTE_PGM_RSRC2:USER_SGPR: 6
; COMPUTE_PGM_RSRC2:TRAP_HANDLER: 0
; COMPUTE_PGM_RSRC2:TGID_X_EN: 1
; COMPUTE_PGM_RSRC2:TGID_Y_EN: 0
; COMPUTE_PGM_RSRC2:TGID_Z_EN: 0
; COMPUTE_PGM_RSRC2:TIDIG_COMP_CNT: 0
; COMPUTE_PGM_RSRC3_GFX90A:ACCUM_OFFSET: 0
; COMPUTE_PGM_RSRC3_GFX90A:TG_SPLIT: 0
	.section	.text._ZN7rocprim17ROCPRIM_400000_NS6detail17trampoline_kernelINS0_14default_configENS1_35adjacent_difference_config_selectorILb0EfEEZNS1_24adjacent_difference_implIS3_Lb0ELb0EPKfPfN6thrust23THRUST_200600_302600_NS4plusIfEEEE10hipError_tPvRmT2_T3_mT4_P12ihipStream_tbEUlT_E_NS1_11comp_targetILNS1_3genE2ELNS1_11target_archE906ELNS1_3gpuE6ELNS1_3repE0EEENS1_30default_config_static_selectorELNS0_4arch9wavefront6targetE1EEEvT1_,"axG",@progbits,_ZN7rocprim17ROCPRIM_400000_NS6detail17trampoline_kernelINS0_14default_configENS1_35adjacent_difference_config_selectorILb0EfEEZNS1_24adjacent_difference_implIS3_Lb0ELb0EPKfPfN6thrust23THRUST_200600_302600_NS4plusIfEEEE10hipError_tPvRmT2_T3_mT4_P12ihipStream_tbEUlT_E_NS1_11comp_targetILNS1_3genE2ELNS1_11target_archE906ELNS1_3gpuE6ELNS1_3repE0EEENS1_30default_config_static_selectorELNS0_4arch9wavefront6targetE1EEEvT1_,comdat
	.protected	_ZN7rocprim17ROCPRIM_400000_NS6detail17trampoline_kernelINS0_14default_configENS1_35adjacent_difference_config_selectorILb0EfEEZNS1_24adjacent_difference_implIS3_Lb0ELb0EPKfPfN6thrust23THRUST_200600_302600_NS4plusIfEEEE10hipError_tPvRmT2_T3_mT4_P12ihipStream_tbEUlT_E_NS1_11comp_targetILNS1_3genE2ELNS1_11target_archE906ELNS1_3gpuE6ELNS1_3repE0EEENS1_30default_config_static_selectorELNS0_4arch9wavefront6targetE1EEEvT1_ ; -- Begin function _ZN7rocprim17ROCPRIM_400000_NS6detail17trampoline_kernelINS0_14default_configENS1_35adjacent_difference_config_selectorILb0EfEEZNS1_24adjacent_difference_implIS3_Lb0ELb0EPKfPfN6thrust23THRUST_200600_302600_NS4plusIfEEEE10hipError_tPvRmT2_T3_mT4_P12ihipStream_tbEUlT_E_NS1_11comp_targetILNS1_3genE2ELNS1_11target_archE906ELNS1_3gpuE6ELNS1_3repE0EEENS1_30default_config_static_selectorELNS0_4arch9wavefront6targetE1EEEvT1_
	.globl	_ZN7rocprim17ROCPRIM_400000_NS6detail17trampoline_kernelINS0_14default_configENS1_35adjacent_difference_config_selectorILb0EfEEZNS1_24adjacent_difference_implIS3_Lb0ELb0EPKfPfN6thrust23THRUST_200600_302600_NS4plusIfEEEE10hipError_tPvRmT2_T3_mT4_P12ihipStream_tbEUlT_E_NS1_11comp_targetILNS1_3genE2ELNS1_11target_archE906ELNS1_3gpuE6ELNS1_3repE0EEENS1_30default_config_static_selectorELNS0_4arch9wavefront6targetE1EEEvT1_
	.p2align	8
	.type	_ZN7rocprim17ROCPRIM_400000_NS6detail17trampoline_kernelINS0_14default_configENS1_35adjacent_difference_config_selectorILb0EfEEZNS1_24adjacent_difference_implIS3_Lb0ELb0EPKfPfN6thrust23THRUST_200600_302600_NS4plusIfEEEE10hipError_tPvRmT2_T3_mT4_P12ihipStream_tbEUlT_E_NS1_11comp_targetILNS1_3genE2ELNS1_11target_archE906ELNS1_3gpuE6ELNS1_3repE0EEENS1_30default_config_static_selectorELNS0_4arch9wavefront6targetE1EEEvT1_,@function
_ZN7rocprim17ROCPRIM_400000_NS6detail17trampoline_kernelINS0_14default_configENS1_35adjacent_difference_config_selectorILb0EfEEZNS1_24adjacent_difference_implIS3_Lb0ELb0EPKfPfN6thrust23THRUST_200600_302600_NS4plusIfEEEE10hipError_tPvRmT2_T3_mT4_P12ihipStream_tbEUlT_E_NS1_11comp_targetILNS1_3genE2ELNS1_11target_archE906ELNS1_3gpuE6ELNS1_3repE0EEENS1_30default_config_static_selectorELNS0_4arch9wavefront6targetE1EEEvT1_: ; @_ZN7rocprim17ROCPRIM_400000_NS6detail17trampoline_kernelINS0_14default_configENS1_35adjacent_difference_config_selectorILb0EfEEZNS1_24adjacent_difference_implIS3_Lb0ELb0EPKfPfN6thrust23THRUST_200600_302600_NS4plusIfEEEE10hipError_tPvRmT2_T3_mT4_P12ihipStream_tbEUlT_E_NS1_11comp_targetILNS1_3genE2ELNS1_11target_archE906ELNS1_3gpuE6ELNS1_3repE0EEENS1_30default_config_static_selectorELNS0_4arch9wavefront6targetE1EEEvT1_
; %bb.0:
	.section	.rodata,"a",@progbits
	.p2align	6, 0x0
	.amdhsa_kernel _ZN7rocprim17ROCPRIM_400000_NS6detail17trampoline_kernelINS0_14default_configENS1_35adjacent_difference_config_selectorILb0EfEEZNS1_24adjacent_difference_implIS3_Lb0ELb0EPKfPfN6thrust23THRUST_200600_302600_NS4plusIfEEEE10hipError_tPvRmT2_T3_mT4_P12ihipStream_tbEUlT_E_NS1_11comp_targetILNS1_3genE2ELNS1_11target_archE906ELNS1_3gpuE6ELNS1_3repE0EEENS1_30default_config_static_selectorELNS0_4arch9wavefront6targetE1EEEvT1_
		.amdhsa_group_segment_fixed_size 0
		.amdhsa_private_segment_fixed_size 0
		.amdhsa_kernarg_size 56
		.amdhsa_user_sgpr_count 6
		.amdhsa_user_sgpr_private_segment_buffer 1
		.amdhsa_user_sgpr_dispatch_ptr 0
		.amdhsa_user_sgpr_queue_ptr 0
		.amdhsa_user_sgpr_kernarg_segment_ptr 1
		.amdhsa_user_sgpr_dispatch_id 0
		.amdhsa_user_sgpr_flat_scratch_init 0
		.amdhsa_user_sgpr_kernarg_preload_length 0
		.amdhsa_user_sgpr_kernarg_preload_offset 0
		.amdhsa_user_sgpr_private_segment_size 0
		.amdhsa_uses_dynamic_stack 0
		.amdhsa_system_sgpr_private_segment_wavefront_offset 0
		.amdhsa_system_sgpr_workgroup_id_x 1
		.amdhsa_system_sgpr_workgroup_id_y 0
		.amdhsa_system_sgpr_workgroup_id_z 0
		.amdhsa_system_sgpr_workgroup_info 0
		.amdhsa_system_vgpr_workitem_id 0
		.amdhsa_next_free_vgpr 1
		.amdhsa_next_free_sgpr 0
		.amdhsa_accum_offset 4
		.amdhsa_reserve_vcc 0
		.amdhsa_reserve_flat_scratch 0
		.amdhsa_float_round_mode_32 0
		.amdhsa_float_round_mode_16_64 0
		.amdhsa_float_denorm_mode_32 3
		.amdhsa_float_denorm_mode_16_64 3
		.amdhsa_dx10_clamp 1
		.amdhsa_ieee_mode 1
		.amdhsa_fp16_overflow 0
		.amdhsa_tg_split 0
		.amdhsa_exception_fp_ieee_invalid_op 0
		.amdhsa_exception_fp_denorm_src 0
		.amdhsa_exception_fp_ieee_div_zero 0
		.amdhsa_exception_fp_ieee_overflow 0
		.amdhsa_exception_fp_ieee_underflow 0
		.amdhsa_exception_fp_ieee_inexact 0
		.amdhsa_exception_int_div_zero 0
	.end_amdhsa_kernel
	.section	.text._ZN7rocprim17ROCPRIM_400000_NS6detail17trampoline_kernelINS0_14default_configENS1_35adjacent_difference_config_selectorILb0EfEEZNS1_24adjacent_difference_implIS3_Lb0ELb0EPKfPfN6thrust23THRUST_200600_302600_NS4plusIfEEEE10hipError_tPvRmT2_T3_mT4_P12ihipStream_tbEUlT_E_NS1_11comp_targetILNS1_3genE2ELNS1_11target_archE906ELNS1_3gpuE6ELNS1_3repE0EEENS1_30default_config_static_selectorELNS0_4arch9wavefront6targetE1EEEvT1_,"axG",@progbits,_ZN7rocprim17ROCPRIM_400000_NS6detail17trampoline_kernelINS0_14default_configENS1_35adjacent_difference_config_selectorILb0EfEEZNS1_24adjacent_difference_implIS3_Lb0ELb0EPKfPfN6thrust23THRUST_200600_302600_NS4plusIfEEEE10hipError_tPvRmT2_T3_mT4_P12ihipStream_tbEUlT_E_NS1_11comp_targetILNS1_3genE2ELNS1_11target_archE906ELNS1_3gpuE6ELNS1_3repE0EEENS1_30default_config_static_selectorELNS0_4arch9wavefront6targetE1EEEvT1_,comdat
.Lfunc_end621:
	.size	_ZN7rocprim17ROCPRIM_400000_NS6detail17trampoline_kernelINS0_14default_configENS1_35adjacent_difference_config_selectorILb0EfEEZNS1_24adjacent_difference_implIS3_Lb0ELb0EPKfPfN6thrust23THRUST_200600_302600_NS4plusIfEEEE10hipError_tPvRmT2_T3_mT4_P12ihipStream_tbEUlT_E_NS1_11comp_targetILNS1_3genE2ELNS1_11target_archE906ELNS1_3gpuE6ELNS1_3repE0EEENS1_30default_config_static_selectorELNS0_4arch9wavefront6targetE1EEEvT1_, .Lfunc_end621-_ZN7rocprim17ROCPRIM_400000_NS6detail17trampoline_kernelINS0_14default_configENS1_35adjacent_difference_config_selectorILb0EfEEZNS1_24adjacent_difference_implIS3_Lb0ELb0EPKfPfN6thrust23THRUST_200600_302600_NS4plusIfEEEE10hipError_tPvRmT2_T3_mT4_P12ihipStream_tbEUlT_E_NS1_11comp_targetILNS1_3genE2ELNS1_11target_archE906ELNS1_3gpuE6ELNS1_3repE0EEENS1_30default_config_static_selectorELNS0_4arch9wavefront6targetE1EEEvT1_
                                        ; -- End function
	.section	.AMDGPU.csdata,"",@progbits
; Kernel info:
; codeLenInByte = 0
; NumSgprs: 4
; NumVgprs: 0
; NumAgprs: 0
; TotalNumVgprs: 0
; ScratchSize: 0
; MemoryBound: 0
; FloatMode: 240
; IeeeMode: 1
; LDSByteSize: 0 bytes/workgroup (compile time only)
; SGPRBlocks: 0
; VGPRBlocks: 0
; NumSGPRsForWavesPerEU: 4
; NumVGPRsForWavesPerEU: 1
; AccumOffset: 4
; Occupancy: 8
; WaveLimiterHint : 0
; COMPUTE_PGM_RSRC2:SCRATCH_EN: 0
; COMPUTE_PGM_RSRC2:USER_SGPR: 6
; COMPUTE_PGM_RSRC2:TRAP_HANDLER: 0
; COMPUTE_PGM_RSRC2:TGID_X_EN: 1
; COMPUTE_PGM_RSRC2:TGID_Y_EN: 0
; COMPUTE_PGM_RSRC2:TGID_Z_EN: 0
; COMPUTE_PGM_RSRC2:TIDIG_COMP_CNT: 0
; COMPUTE_PGM_RSRC3_GFX90A:ACCUM_OFFSET: 0
; COMPUTE_PGM_RSRC3_GFX90A:TG_SPLIT: 0
	.section	.text._ZN7rocprim17ROCPRIM_400000_NS6detail17trampoline_kernelINS0_14default_configENS1_35adjacent_difference_config_selectorILb0EfEEZNS1_24adjacent_difference_implIS3_Lb0ELb0EPKfPfN6thrust23THRUST_200600_302600_NS4plusIfEEEE10hipError_tPvRmT2_T3_mT4_P12ihipStream_tbEUlT_E_NS1_11comp_targetILNS1_3genE9ELNS1_11target_archE1100ELNS1_3gpuE3ELNS1_3repE0EEENS1_30default_config_static_selectorELNS0_4arch9wavefront6targetE1EEEvT1_,"axG",@progbits,_ZN7rocprim17ROCPRIM_400000_NS6detail17trampoline_kernelINS0_14default_configENS1_35adjacent_difference_config_selectorILb0EfEEZNS1_24adjacent_difference_implIS3_Lb0ELb0EPKfPfN6thrust23THRUST_200600_302600_NS4plusIfEEEE10hipError_tPvRmT2_T3_mT4_P12ihipStream_tbEUlT_E_NS1_11comp_targetILNS1_3genE9ELNS1_11target_archE1100ELNS1_3gpuE3ELNS1_3repE0EEENS1_30default_config_static_selectorELNS0_4arch9wavefront6targetE1EEEvT1_,comdat
	.protected	_ZN7rocprim17ROCPRIM_400000_NS6detail17trampoline_kernelINS0_14default_configENS1_35adjacent_difference_config_selectorILb0EfEEZNS1_24adjacent_difference_implIS3_Lb0ELb0EPKfPfN6thrust23THRUST_200600_302600_NS4plusIfEEEE10hipError_tPvRmT2_T3_mT4_P12ihipStream_tbEUlT_E_NS1_11comp_targetILNS1_3genE9ELNS1_11target_archE1100ELNS1_3gpuE3ELNS1_3repE0EEENS1_30default_config_static_selectorELNS0_4arch9wavefront6targetE1EEEvT1_ ; -- Begin function _ZN7rocprim17ROCPRIM_400000_NS6detail17trampoline_kernelINS0_14default_configENS1_35adjacent_difference_config_selectorILb0EfEEZNS1_24adjacent_difference_implIS3_Lb0ELb0EPKfPfN6thrust23THRUST_200600_302600_NS4plusIfEEEE10hipError_tPvRmT2_T3_mT4_P12ihipStream_tbEUlT_E_NS1_11comp_targetILNS1_3genE9ELNS1_11target_archE1100ELNS1_3gpuE3ELNS1_3repE0EEENS1_30default_config_static_selectorELNS0_4arch9wavefront6targetE1EEEvT1_
	.globl	_ZN7rocprim17ROCPRIM_400000_NS6detail17trampoline_kernelINS0_14default_configENS1_35adjacent_difference_config_selectorILb0EfEEZNS1_24adjacent_difference_implIS3_Lb0ELb0EPKfPfN6thrust23THRUST_200600_302600_NS4plusIfEEEE10hipError_tPvRmT2_T3_mT4_P12ihipStream_tbEUlT_E_NS1_11comp_targetILNS1_3genE9ELNS1_11target_archE1100ELNS1_3gpuE3ELNS1_3repE0EEENS1_30default_config_static_selectorELNS0_4arch9wavefront6targetE1EEEvT1_
	.p2align	8
	.type	_ZN7rocprim17ROCPRIM_400000_NS6detail17trampoline_kernelINS0_14default_configENS1_35adjacent_difference_config_selectorILb0EfEEZNS1_24adjacent_difference_implIS3_Lb0ELb0EPKfPfN6thrust23THRUST_200600_302600_NS4plusIfEEEE10hipError_tPvRmT2_T3_mT4_P12ihipStream_tbEUlT_E_NS1_11comp_targetILNS1_3genE9ELNS1_11target_archE1100ELNS1_3gpuE3ELNS1_3repE0EEENS1_30default_config_static_selectorELNS0_4arch9wavefront6targetE1EEEvT1_,@function
_ZN7rocprim17ROCPRIM_400000_NS6detail17trampoline_kernelINS0_14default_configENS1_35adjacent_difference_config_selectorILb0EfEEZNS1_24adjacent_difference_implIS3_Lb0ELb0EPKfPfN6thrust23THRUST_200600_302600_NS4plusIfEEEE10hipError_tPvRmT2_T3_mT4_P12ihipStream_tbEUlT_E_NS1_11comp_targetILNS1_3genE9ELNS1_11target_archE1100ELNS1_3gpuE3ELNS1_3repE0EEENS1_30default_config_static_selectorELNS0_4arch9wavefront6targetE1EEEvT1_: ; @_ZN7rocprim17ROCPRIM_400000_NS6detail17trampoline_kernelINS0_14default_configENS1_35adjacent_difference_config_selectorILb0EfEEZNS1_24adjacent_difference_implIS3_Lb0ELb0EPKfPfN6thrust23THRUST_200600_302600_NS4plusIfEEEE10hipError_tPvRmT2_T3_mT4_P12ihipStream_tbEUlT_E_NS1_11comp_targetILNS1_3genE9ELNS1_11target_archE1100ELNS1_3gpuE3ELNS1_3repE0EEENS1_30default_config_static_selectorELNS0_4arch9wavefront6targetE1EEEvT1_
; %bb.0:
	.section	.rodata,"a",@progbits
	.p2align	6, 0x0
	.amdhsa_kernel _ZN7rocprim17ROCPRIM_400000_NS6detail17trampoline_kernelINS0_14default_configENS1_35adjacent_difference_config_selectorILb0EfEEZNS1_24adjacent_difference_implIS3_Lb0ELb0EPKfPfN6thrust23THRUST_200600_302600_NS4plusIfEEEE10hipError_tPvRmT2_T3_mT4_P12ihipStream_tbEUlT_E_NS1_11comp_targetILNS1_3genE9ELNS1_11target_archE1100ELNS1_3gpuE3ELNS1_3repE0EEENS1_30default_config_static_selectorELNS0_4arch9wavefront6targetE1EEEvT1_
		.amdhsa_group_segment_fixed_size 0
		.amdhsa_private_segment_fixed_size 0
		.amdhsa_kernarg_size 56
		.amdhsa_user_sgpr_count 6
		.amdhsa_user_sgpr_private_segment_buffer 1
		.amdhsa_user_sgpr_dispatch_ptr 0
		.amdhsa_user_sgpr_queue_ptr 0
		.amdhsa_user_sgpr_kernarg_segment_ptr 1
		.amdhsa_user_sgpr_dispatch_id 0
		.amdhsa_user_sgpr_flat_scratch_init 0
		.amdhsa_user_sgpr_kernarg_preload_length 0
		.amdhsa_user_sgpr_kernarg_preload_offset 0
		.amdhsa_user_sgpr_private_segment_size 0
		.amdhsa_uses_dynamic_stack 0
		.amdhsa_system_sgpr_private_segment_wavefront_offset 0
		.amdhsa_system_sgpr_workgroup_id_x 1
		.amdhsa_system_sgpr_workgroup_id_y 0
		.amdhsa_system_sgpr_workgroup_id_z 0
		.amdhsa_system_sgpr_workgroup_info 0
		.amdhsa_system_vgpr_workitem_id 0
		.amdhsa_next_free_vgpr 1
		.amdhsa_next_free_sgpr 0
		.amdhsa_accum_offset 4
		.amdhsa_reserve_vcc 0
		.amdhsa_reserve_flat_scratch 0
		.amdhsa_float_round_mode_32 0
		.amdhsa_float_round_mode_16_64 0
		.amdhsa_float_denorm_mode_32 3
		.amdhsa_float_denorm_mode_16_64 3
		.amdhsa_dx10_clamp 1
		.amdhsa_ieee_mode 1
		.amdhsa_fp16_overflow 0
		.amdhsa_tg_split 0
		.amdhsa_exception_fp_ieee_invalid_op 0
		.amdhsa_exception_fp_denorm_src 0
		.amdhsa_exception_fp_ieee_div_zero 0
		.amdhsa_exception_fp_ieee_overflow 0
		.amdhsa_exception_fp_ieee_underflow 0
		.amdhsa_exception_fp_ieee_inexact 0
		.amdhsa_exception_int_div_zero 0
	.end_amdhsa_kernel
	.section	.text._ZN7rocprim17ROCPRIM_400000_NS6detail17trampoline_kernelINS0_14default_configENS1_35adjacent_difference_config_selectorILb0EfEEZNS1_24adjacent_difference_implIS3_Lb0ELb0EPKfPfN6thrust23THRUST_200600_302600_NS4plusIfEEEE10hipError_tPvRmT2_T3_mT4_P12ihipStream_tbEUlT_E_NS1_11comp_targetILNS1_3genE9ELNS1_11target_archE1100ELNS1_3gpuE3ELNS1_3repE0EEENS1_30default_config_static_selectorELNS0_4arch9wavefront6targetE1EEEvT1_,"axG",@progbits,_ZN7rocprim17ROCPRIM_400000_NS6detail17trampoline_kernelINS0_14default_configENS1_35adjacent_difference_config_selectorILb0EfEEZNS1_24adjacent_difference_implIS3_Lb0ELb0EPKfPfN6thrust23THRUST_200600_302600_NS4plusIfEEEE10hipError_tPvRmT2_T3_mT4_P12ihipStream_tbEUlT_E_NS1_11comp_targetILNS1_3genE9ELNS1_11target_archE1100ELNS1_3gpuE3ELNS1_3repE0EEENS1_30default_config_static_selectorELNS0_4arch9wavefront6targetE1EEEvT1_,comdat
.Lfunc_end622:
	.size	_ZN7rocprim17ROCPRIM_400000_NS6detail17trampoline_kernelINS0_14default_configENS1_35adjacent_difference_config_selectorILb0EfEEZNS1_24adjacent_difference_implIS3_Lb0ELb0EPKfPfN6thrust23THRUST_200600_302600_NS4plusIfEEEE10hipError_tPvRmT2_T3_mT4_P12ihipStream_tbEUlT_E_NS1_11comp_targetILNS1_3genE9ELNS1_11target_archE1100ELNS1_3gpuE3ELNS1_3repE0EEENS1_30default_config_static_selectorELNS0_4arch9wavefront6targetE1EEEvT1_, .Lfunc_end622-_ZN7rocprim17ROCPRIM_400000_NS6detail17trampoline_kernelINS0_14default_configENS1_35adjacent_difference_config_selectorILb0EfEEZNS1_24adjacent_difference_implIS3_Lb0ELb0EPKfPfN6thrust23THRUST_200600_302600_NS4plusIfEEEE10hipError_tPvRmT2_T3_mT4_P12ihipStream_tbEUlT_E_NS1_11comp_targetILNS1_3genE9ELNS1_11target_archE1100ELNS1_3gpuE3ELNS1_3repE0EEENS1_30default_config_static_selectorELNS0_4arch9wavefront6targetE1EEEvT1_
                                        ; -- End function
	.section	.AMDGPU.csdata,"",@progbits
; Kernel info:
; codeLenInByte = 0
; NumSgprs: 4
; NumVgprs: 0
; NumAgprs: 0
; TotalNumVgprs: 0
; ScratchSize: 0
; MemoryBound: 0
; FloatMode: 240
; IeeeMode: 1
; LDSByteSize: 0 bytes/workgroup (compile time only)
; SGPRBlocks: 0
; VGPRBlocks: 0
; NumSGPRsForWavesPerEU: 4
; NumVGPRsForWavesPerEU: 1
; AccumOffset: 4
; Occupancy: 8
; WaveLimiterHint : 0
; COMPUTE_PGM_RSRC2:SCRATCH_EN: 0
; COMPUTE_PGM_RSRC2:USER_SGPR: 6
; COMPUTE_PGM_RSRC2:TRAP_HANDLER: 0
; COMPUTE_PGM_RSRC2:TGID_X_EN: 1
; COMPUTE_PGM_RSRC2:TGID_Y_EN: 0
; COMPUTE_PGM_RSRC2:TGID_Z_EN: 0
; COMPUTE_PGM_RSRC2:TIDIG_COMP_CNT: 0
; COMPUTE_PGM_RSRC3_GFX90A:ACCUM_OFFSET: 0
; COMPUTE_PGM_RSRC3_GFX90A:TG_SPLIT: 0
	.section	.text._ZN7rocprim17ROCPRIM_400000_NS6detail17trampoline_kernelINS0_14default_configENS1_35adjacent_difference_config_selectorILb0EfEEZNS1_24adjacent_difference_implIS3_Lb0ELb0EPKfPfN6thrust23THRUST_200600_302600_NS4plusIfEEEE10hipError_tPvRmT2_T3_mT4_P12ihipStream_tbEUlT_E_NS1_11comp_targetILNS1_3genE8ELNS1_11target_archE1030ELNS1_3gpuE2ELNS1_3repE0EEENS1_30default_config_static_selectorELNS0_4arch9wavefront6targetE1EEEvT1_,"axG",@progbits,_ZN7rocprim17ROCPRIM_400000_NS6detail17trampoline_kernelINS0_14default_configENS1_35adjacent_difference_config_selectorILb0EfEEZNS1_24adjacent_difference_implIS3_Lb0ELb0EPKfPfN6thrust23THRUST_200600_302600_NS4plusIfEEEE10hipError_tPvRmT2_T3_mT4_P12ihipStream_tbEUlT_E_NS1_11comp_targetILNS1_3genE8ELNS1_11target_archE1030ELNS1_3gpuE2ELNS1_3repE0EEENS1_30default_config_static_selectorELNS0_4arch9wavefront6targetE1EEEvT1_,comdat
	.protected	_ZN7rocprim17ROCPRIM_400000_NS6detail17trampoline_kernelINS0_14default_configENS1_35adjacent_difference_config_selectorILb0EfEEZNS1_24adjacent_difference_implIS3_Lb0ELb0EPKfPfN6thrust23THRUST_200600_302600_NS4plusIfEEEE10hipError_tPvRmT2_T3_mT4_P12ihipStream_tbEUlT_E_NS1_11comp_targetILNS1_3genE8ELNS1_11target_archE1030ELNS1_3gpuE2ELNS1_3repE0EEENS1_30default_config_static_selectorELNS0_4arch9wavefront6targetE1EEEvT1_ ; -- Begin function _ZN7rocprim17ROCPRIM_400000_NS6detail17trampoline_kernelINS0_14default_configENS1_35adjacent_difference_config_selectorILb0EfEEZNS1_24adjacent_difference_implIS3_Lb0ELb0EPKfPfN6thrust23THRUST_200600_302600_NS4plusIfEEEE10hipError_tPvRmT2_T3_mT4_P12ihipStream_tbEUlT_E_NS1_11comp_targetILNS1_3genE8ELNS1_11target_archE1030ELNS1_3gpuE2ELNS1_3repE0EEENS1_30default_config_static_selectorELNS0_4arch9wavefront6targetE1EEEvT1_
	.globl	_ZN7rocprim17ROCPRIM_400000_NS6detail17trampoline_kernelINS0_14default_configENS1_35adjacent_difference_config_selectorILb0EfEEZNS1_24adjacent_difference_implIS3_Lb0ELb0EPKfPfN6thrust23THRUST_200600_302600_NS4plusIfEEEE10hipError_tPvRmT2_T3_mT4_P12ihipStream_tbEUlT_E_NS1_11comp_targetILNS1_3genE8ELNS1_11target_archE1030ELNS1_3gpuE2ELNS1_3repE0EEENS1_30default_config_static_selectorELNS0_4arch9wavefront6targetE1EEEvT1_
	.p2align	8
	.type	_ZN7rocprim17ROCPRIM_400000_NS6detail17trampoline_kernelINS0_14default_configENS1_35adjacent_difference_config_selectorILb0EfEEZNS1_24adjacent_difference_implIS3_Lb0ELb0EPKfPfN6thrust23THRUST_200600_302600_NS4plusIfEEEE10hipError_tPvRmT2_T3_mT4_P12ihipStream_tbEUlT_E_NS1_11comp_targetILNS1_3genE8ELNS1_11target_archE1030ELNS1_3gpuE2ELNS1_3repE0EEENS1_30default_config_static_selectorELNS0_4arch9wavefront6targetE1EEEvT1_,@function
_ZN7rocprim17ROCPRIM_400000_NS6detail17trampoline_kernelINS0_14default_configENS1_35adjacent_difference_config_selectorILb0EfEEZNS1_24adjacent_difference_implIS3_Lb0ELb0EPKfPfN6thrust23THRUST_200600_302600_NS4plusIfEEEE10hipError_tPvRmT2_T3_mT4_P12ihipStream_tbEUlT_E_NS1_11comp_targetILNS1_3genE8ELNS1_11target_archE1030ELNS1_3gpuE2ELNS1_3repE0EEENS1_30default_config_static_selectorELNS0_4arch9wavefront6targetE1EEEvT1_: ; @_ZN7rocprim17ROCPRIM_400000_NS6detail17trampoline_kernelINS0_14default_configENS1_35adjacent_difference_config_selectorILb0EfEEZNS1_24adjacent_difference_implIS3_Lb0ELb0EPKfPfN6thrust23THRUST_200600_302600_NS4plusIfEEEE10hipError_tPvRmT2_T3_mT4_P12ihipStream_tbEUlT_E_NS1_11comp_targetILNS1_3genE8ELNS1_11target_archE1030ELNS1_3gpuE2ELNS1_3repE0EEENS1_30default_config_static_selectorELNS0_4arch9wavefront6targetE1EEEvT1_
; %bb.0:
	.section	.rodata,"a",@progbits
	.p2align	6, 0x0
	.amdhsa_kernel _ZN7rocprim17ROCPRIM_400000_NS6detail17trampoline_kernelINS0_14default_configENS1_35adjacent_difference_config_selectorILb0EfEEZNS1_24adjacent_difference_implIS3_Lb0ELb0EPKfPfN6thrust23THRUST_200600_302600_NS4plusIfEEEE10hipError_tPvRmT2_T3_mT4_P12ihipStream_tbEUlT_E_NS1_11comp_targetILNS1_3genE8ELNS1_11target_archE1030ELNS1_3gpuE2ELNS1_3repE0EEENS1_30default_config_static_selectorELNS0_4arch9wavefront6targetE1EEEvT1_
		.amdhsa_group_segment_fixed_size 0
		.amdhsa_private_segment_fixed_size 0
		.amdhsa_kernarg_size 56
		.amdhsa_user_sgpr_count 6
		.amdhsa_user_sgpr_private_segment_buffer 1
		.amdhsa_user_sgpr_dispatch_ptr 0
		.amdhsa_user_sgpr_queue_ptr 0
		.amdhsa_user_sgpr_kernarg_segment_ptr 1
		.amdhsa_user_sgpr_dispatch_id 0
		.amdhsa_user_sgpr_flat_scratch_init 0
		.amdhsa_user_sgpr_kernarg_preload_length 0
		.amdhsa_user_sgpr_kernarg_preload_offset 0
		.amdhsa_user_sgpr_private_segment_size 0
		.amdhsa_uses_dynamic_stack 0
		.amdhsa_system_sgpr_private_segment_wavefront_offset 0
		.amdhsa_system_sgpr_workgroup_id_x 1
		.amdhsa_system_sgpr_workgroup_id_y 0
		.amdhsa_system_sgpr_workgroup_id_z 0
		.amdhsa_system_sgpr_workgroup_info 0
		.amdhsa_system_vgpr_workitem_id 0
		.amdhsa_next_free_vgpr 1
		.amdhsa_next_free_sgpr 0
		.amdhsa_accum_offset 4
		.amdhsa_reserve_vcc 0
		.amdhsa_reserve_flat_scratch 0
		.amdhsa_float_round_mode_32 0
		.amdhsa_float_round_mode_16_64 0
		.amdhsa_float_denorm_mode_32 3
		.amdhsa_float_denorm_mode_16_64 3
		.amdhsa_dx10_clamp 1
		.amdhsa_ieee_mode 1
		.amdhsa_fp16_overflow 0
		.amdhsa_tg_split 0
		.amdhsa_exception_fp_ieee_invalid_op 0
		.amdhsa_exception_fp_denorm_src 0
		.amdhsa_exception_fp_ieee_div_zero 0
		.amdhsa_exception_fp_ieee_overflow 0
		.amdhsa_exception_fp_ieee_underflow 0
		.amdhsa_exception_fp_ieee_inexact 0
		.amdhsa_exception_int_div_zero 0
	.end_amdhsa_kernel
	.section	.text._ZN7rocprim17ROCPRIM_400000_NS6detail17trampoline_kernelINS0_14default_configENS1_35adjacent_difference_config_selectorILb0EfEEZNS1_24adjacent_difference_implIS3_Lb0ELb0EPKfPfN6thrust23THRUST_200600_302600_NS4plusIfEEEE10hipError_tPvRmT2_T3_mT4_P12ihipStream_tbEUlT_E_NS1_11comp_targetILNS1_3genE8ELNS1_11target_archE1030ELNS1_3gpuE2ELNS1_3repE0EEENS1_30default_config_static_selectorELNS0_4arch9wavefront6targetE1EEEvT1_,"axG",@progbits,_ZN7rocprim17ROCPRIM_400000_NS6detail17trampoline_kernelINS0_14default_configENS1_35adjacent_difference_config_selectorILb0EfEEZNS1_24adjacent_difference_implIS3_Lb0ELb0EPKfPfN6thrust23THRUST_200600_302600_NS4plusIfEEEE10hipError_tPvRmT2_T3_mT4_P12ihipStream_tbEUlT_E_NS1_11comp_targetILNS1_3genE8ELNS1_11target_archE1030ELNS1_3gpuE2ELNS1_3repE0EEENS1_30default_config_static_selectorELNS0_4arch9wavefront6targetE1EEEvT1_,comdat
.Lfunc_end623:
	.size	_ZN7rocprim17ROCPRIM_400000_NS6detail17trampoline_kernelINS0_14default_configENS1_35adjacent_difference_config_selectorILb0EfEEZNS1_24adjacent_difference_implIS3_Lb0ELb0EPKfPfN6thrust23THRUST_200600_302600_NS4plusIfEEEE10hipError_tPvRmT2_T3_mT4_P12ihipStream_tbEUlT_E_NS1_11comp_targetILNS1_3genE8ELNS1_11target_archE1030ELNS1_3gpuE2ELNS1_3repE0EEENS1_30default_config_static_selectorELNS0_4arch9wavefront6targetE1EEEvT1_, .Lfunc_end623-_ZN7rocprim17ROCPRIM_400000_NS6detail17trampoline_kernelINS0_14default_configENS1_35adjacent_difference_config_selectorILb0EfEEZNS1_24adjacent_difference_implIS3_Lb0ELb0EPKfPfN6thrust23THRUST_200600_302600_NS4plusIfEEEE10hipError_tPvRmT2_T3_mT4_P12ihipStream_tbEUlT_E_NS1_11comp_targetILNS1_3genE8ELNS1_11target_archE1030ELNS1_3gpuE2ELNS1_3repE0EEENS1_30default_config_static_selectorELNS0_4arch9wavefront6targetE1EEEvT1_
                                        ; -- End function
	.section	.AMDGPU.csdata,"",@progbits
; Kernel info:
; codeLenInByte = 0
; NumSgprs: 4
; NumVgprs: 0
; NumAgprs: 0
; TotalNumVgprs: 0
; ScratchSize: 0
; MemoryBound: 0
; FloatMode: 240
; IeeeMode: 1
; LDSByteSize: 0 bytes/workgroup (compile time only)
; SGPRBlocks: 0
; VGPRBlocks: 0
; NumSGPRsForWavesPerEU: 4
; NumVGPRsForWavesPerEU: 1
; AccumOffset: 4
; Occupancy: 8
; WaveLimiterHint : 0
; COMPUTE_PGM_RSRC2:SCRATCH_EN: 0
; COMPUTE_PGM_RSRC2:USER_SGPR: 6
; COMPUTE_PGM_RSRC2:TRAP_HANDLER: 0
; COMPUTE_PGM_RSRC2:TGID_X_EN: 1
; COMPUTE_PGM_RSRC2:TGID_Y_EN: 0
; COMPUTE_PGM_RSRC2:TGID_Z_EN: 0
; COMPUTE_PGM_RSRC2:TIDIG_COMP_CNT: 0
; COMPUTE_PGM_RSRC3_GFX90A:ACCUM_OFFSET: 0
; COMPUTE_PGM_RSRC3_GFX90A:TG_SPLIT: 0
	.section	.text._ZN7rocprim17ROCPRIM_400000_NS6detail17trampoline_kernelINS0_14default_configENS1_25transform_config_selectorIfLb0EEEZNS1_14transform_implILb0ES3_S5_NS0_18transform_iteratorINS0_17counting_iteratorImlEEZNS1_24adjacent_difference_implIS3_Lb1ELb0EPKfPfN6thrust23THRUST_200600_302600_NS4plusIfEEEE10hipError_tPvRmT2_T3_mT4_P12ihipStream_tbEUlmE_fEESD_NS0_8identityIvEEEESI_SL_SM_mSN_SP_bEUlT_E_NS1_11comp_targetILNS1_3genE0ELNS1_11target_archE4294967295ELNS1_3gpuE0ELNS1_3repE0EEENS1_30default_config_static_selectorELNS0_4arch9wavefront6targetE1EEEvT1_,"axG",@progbits,_ZN7rocprim17ROCPRIM_400000_NS6detail17trampoline_kernelINS0_14default_configENS1_25transform_config_selectorIfLb0EEEZNS1_14transform_implILb0ES3_S5_NS0_18transform_iteratorINS0_17counting_iteratorImlEEZNS1_24adjacent_difference_implIS3_Lb1ELb0EPKfPfN6thrust23THRUST_200600_302600_NS4plusIfEEEE10hipError_tPvRmT2_T3_mT4_P12ihipStream_tbEUlmE_fEESD_NS0_8identityIvEEEESI_SL_SM_mSN_SP_bEUlT_E_NS1_11comp_targetILNS1_3genE0ELNS1_11target_archE4294967295ELNS1_3gpuE0ELNS1_3repE0EEENS1_30default_config_static_selectorELNS0_4arch9wavefront6targetE1EEEvT1_,comdat
	.protected	_ZN7rocprim17ROCPRIM_400000_NS6detail17trampoline_kernelINS0_14default_configENS1_25transform_config_selectorIfLb0EEEZNS1_14transform_implILb0ES3_S5_NS0_18transform_iteratorINS0_17counting_iteratorImlEEZNS1_24adjacent_difference_implIS3_Lb1ELb0EPKfPfN6thrust23THRUST_200600_302600_NS4plusIfEEEE10hipError_tPvRmT2_T3_mT4_P12ihipStream_tbEUlmE_fEESD_NS0_8identityIvEEEESI_SL_SM_mSN_SP_bEUlT_E_NS1_11comp_targetILNS1_3genE0ELNS1_11target_archE4294967295ELNS1_3gpuE0ELNS1_3repE0EEENS1_30default_config_static_selectorELNS0_4arch9wavefront6targetE1EEEvT1_ ; -- Begin function _ZN7rocprim17ROCPRIM_400000_NS6detail17trampoline_kernelINS0_14default_configENS1_25transform_config_selectorIfLb0EEEZNS1_14transform_implILb0ES3_S5_NS0_18transform_iteratorINS0_17counting_iteratorImlEEZNS1_24adjacent_difference_implIS3_Lb1ELb0EPKfPfN6thrust23THRUST_200600_302600_NS4plusIfEEEE10hipError_tPvRmT2_T3_mT4_P12ihipStream_tbEUlmE_fEESD_NS0_8identityIvEEEESI_SL_SM_mSN_SP_bEUlT_E_NS1_11comp_targetILNS1_3genE0ELNS1_11target_archE4294967295ELNS1_3gpuE0ELNS1_3repE0EEENS1_30default_config_static_selectorELNS0_4arch9wavefront6targetE1EEEvT1_
	.globl	_ZN7rocprim17ROCPRIM_400000_NS6detail17trampoline_kernelINS0_14default_configENS1_25transform_config_selectorIfLb0EEEZNS1_14transform_implILb0ES3_S5_NS0_18transform_iteratorINS0_17counting_iteratorImlEEZNS1_24adjacent_difference_implIS3_Lb1ELb0EPKfPfN6thrust23THRUST_200600_302600_NS4plusIfEEEE10hipError_tPvRmT2_T3_mT4_P12ihipStream_tbEUlmE_fEESD_NS0_8identityIvEEEESI_SL_SM_mSN_SP_bEUlT_E_NS1_11comp_targetILNS1_3genE0ELNS1_11target_archE4294967295ELNS1_3gpuE0ELNS1_3repE0EEENS1_30default_config_static_selectorELNS0_4arch9wavefront6targetE1EEEvT1_
	.p2align	8
	.type	_ZN7rocprim17ROCPRIM_400000_NS6detail17trampoline_kernelINS0_14default_configENS1_25transform_config_selectorIfLb0EEEZNS1_14transform_implILb0ES3_S5_NS0_18transform_iteratorINS0_17counting_iteratorImlEEZNS1_24adjacent_difference_implIS3_Lb1ELb0EPKfPfN6thrust23THRUST_200600_302600_NS4plusIfEEEE10hipError_tPvRmT2_T3_mT4_P12ihipStream_tbEUlmE_fEESD_NS0_8identityIvEEEESI_SL_SM_mSN_SP_bEUlT_E_NS1_11comp_targetILNS1_3genE0ELNS1_11target_archE4294967295ELNS1_3gpuE0ELNS1_3repE0EEENS1_30default_config_static_selectorELNS0_4arch9wavefront6targetE1EEEvT1_,@function
_ZN7rocprim17ROCPRIM_400000_NS6detail17trampoline_kernelINS0_14default_configENS1_25transform_config_selectorIfLb0EEEZNS1_14transform_implILb0ES3_S5_NS0_18transform_iteratorINS0_17counting_iteratorImlEEZNS1_24adjacent_difference_implIS3_Lb1ELb0EPKfPfN6thrust23THRUST_200600_302600_NS4plusIfEEEE10hipError_tPvRmT2_T3_mT4_P12ihipStream_tbEUlmE_fEESD_NS0_8identityIvEEEESI_SL_SM_mSN_SP_bEUlT_E_NS1_11comp_targetILNS1_3genE0ELNS1_11target_archE4294967295ELNS1_3gpuE0ELNS1_3repE0EEENS1_30default_config_static_selectorELNS0_4arch9wavefront6targetE1EEEvT1_: ; @_ZN7rocprim17ROCPRIM_400000_NS6detail17trampoline_kernelINS0_14default_configENS1_25transform_config_selectorIfLb0EEEZNS1_14transform_implILb0ES3_S5_NS0_18transform_iteratorINS0_17counting_iteratorImlEEZNS1_24adjacent_difference_implIS3_Lb1ELb0EPKfPfN6thrust23THRUST_200600_302600_NS4plusIfEEEE10hipError_tPvRmT2_T3_mT4_P12ihipStream_tbEUlmE_fEESD_NS0_8identityIvEEEESI_SL_SM_mSN_SP_bEUlT_E_NS1_11comp_targetILNS1_3genE0ELNS1_11target_archE4294967295ELNS1_3gpuE0ELNS1_3repE0EEENS1_30default_config_static_selectorELNS0_4arch9wavefront6targetE1EEEvT1_
; %bb.0:
	.section	.rodata,"a",@progbits
	.p2align	6, 0x0
	.amdhsa_kernel _ZN7rocprim17ROCPRIM_400000_NS6detail17trampoline_kernelINS0_14default_configENS1_25transform_config_selectorIfLb0EEEZNS1_14transform_implILb0ES3_S5_NS0_18transform_iteratorINS0_17counting_iteratorImlEEZNS1_24adjacent_difference_implIS3_Lb1ELb0EPKfPfN6thrust23THRUST_200600_302600_NS4plusIfEEEE10hipError_tPvRmT2_T3_mT4_P12ihipStream_tbEUlmE_fEESD_NS0_8identityIvEEEESI_SL_SM_mSN_SP_bEUlT_E_NS1_11comp_targetILNS1_3genE0ELNS1_11target_archE4294967295ELNS1_3gpuE0ELNS1_3repE0EEENS1_30default_config_static_selectorELNS0_4arch9wavefront6targetE1EEEvT1_
		.amdhsa_group_segment_fixed_size 0
		.amdhsa_private_segment_fixed_size 0
		.amdhsa_kernarg_size 56
		.amdhsa_user_sgpr_count 6
		.amdhsa_user_sgpr_private_segment_buffer 1
		.amdhsa_user_sgpr_dispatch_ptr 0
		.amdhsa_user_sgpr_queue_ptr 0
		.amdhsa_user_sgpr_kernarg_segment_ptr 1
		.amdhsa_user_sgpr_dispatch_id 0
		.amdhsa_user_sgpr_flat_scratch_init 0
		.amdhsa_user_sgpr_kernarg_preload_length 0
		.amdhsa_user_sgpr_kernarg_preload_offset 0
		.amdhsa_user_sgpr_private_segment_size 0
		.amdhsa_uses_dynamic_stack 0
		.amdhsa_system_sgpr_private_segment_wavefront_offset 0
		.amdhsa_system_sgpr_workgroup_id_x 1
		.amdhsa_system_sgpr_workgroup_id_y 0
		.amdhsa_system_sgpr_workgroup_id_z 0
		.amdhsa_system_sgpr_workgroup_info 0
		.amdhsa_system_vgpr_workitem_id 0
		.amdhsa_next_free_vgpr 1
		.amdhsa_next_free_sgpr 0
		.amdhsa_accum_offset 4
		.amdhsa_reserve_vcc 0
		.amdhsa_reserve_flat_scratch 0
		.amdhsa_float_round_mode_32 0
		.amdhsa_float_round_mode_16_64 0
		.amdhsa_float_denorm_mode_32 3
		.amdhsa_float_denorm_mode_16_64 3
		.amdhsa_dx10_clamp 1
		.amdhsa_ieee_mode 1
		.amdhsa_fp16_overflow 0
		.amdhsa_tg_split 0
		.amdhsa_exception_fp_ieee_invalid_op 0
		.amdhsa_exception_fp_denorm_src 0
		.amdhsa_exception_fp_ieee_div_zero 0
		.amdhsa_exception_fp_ieee_overflow 0
		.amdhsa_exception_fp_ieee_underflow 0
		.amdhsa_exception_fp_ieee_inexact 0
		.amdhsa_exception_int_div_zero 0
	.end_amdhsa_kernel
	.section	.text._ZN7rocprim17ROCPRIM_400000_NS6detail17trampoline_kernelINS0_14default_configENS1_25transform_config_selectorIfLb0EEEZNS1_14transform_implILb0ES3_S5_NS0_18transform_iteratorINS0_17counting_iteratorImlEEZNS1_24adjacent_difference_implIS3_Lb1ELb0EPKfPfN6thrust23THRUST_200600_302600_NS4plusIfEEEE10hipError_tPvRmT2_T3_mT4_P12ihipStream_tbEUlmE_fEESD_NS0_8identityIvEEEESI_SL_SM_mSN_SP_bEUlT_E_NS1_11comp_targetILNS1_3genE0ELNS1_11target_archE4294967295ELNS1_3gpuE0ELNS1_3repE0EEENS1_30default_config_static_selectorELNS0_4arch9wavefront6targetE1EEEvT1_,"axG",@progbits,_ZN7rocprim17ROCPRIM_400000_NS6detail17trampoline_kernelINS0_14default_configENS1_25transform_config_selectorIfLb0EEEZNS1_14transform_implILb0ES3_S5_NS0_18transform_iteratorINS0_17counting_iteratorImlEEZNS1_24adjacent_difference_implIS3_Lb1ELb0EPKfPfN6thrust23THRUST_200600_302600_NS4plusIfEEEE10hipError_tPvRmT2_T3_mT4_P12ihipStream_tbEUlmE_fEESD_NS0_8identityIvEEEESI_SL_SM_mSN_SP_bEUlT_E_NS1_11comp_targetILNS1_3genE0ELNS1_11target_archE4294967295ELNS1_3gpuE0ELNS1_3repE0EEENS1_30default_config_static_selectorELNS0_4arch9wavefront6targetE1EEEvT1_,comdat
.Lfunc_end624:
	.size	_ZN7rocprim17ROCPRIM_400000_NS6detail17trampoline_kernelINS0_14default_configENS1_25transform_config_selectorIfLb0EEEZNS1_14transform_implILb0ES3_S5_NS0_18transform_iteratorINS0_17counting_iteratorImlEEZNS1_24adjacent_difference_implIS3_Lb1ELb0EPKfPfN6thrust23THRUST_200600_302600_NS4plusIfEEEE10hipError_tPvRmT2_T3_mT4_P12ihipStream_tbEUlmE_fEESD_NS0_8identityIvEEEESI_SL_SM_mSN_SP_bEUlT_E_NS1_11comp_targetILNS1_3genE0ELNS1_11target_archE4294967295ELNS1_3gpuE0ELNS1_3repE0EEENS1_30default_config_static_selectorELNS0_4arch9wavefront6targetE1EEEvT1_, .Lfunc_end624-_ZN7rocprim17ROCPRIM_400000_NS6detail17trampoline_kernelINS0_14default_configENS1_25transform_config_selectorIfLb0EEEZNS1_14transform_implILb0ES3_S5_NS0_18transform_iteratorINS0_17counting_iteratorImlEEZNS1_24adjacent_difference_implIS3_Lb1ELb0EPKfPfN6thrust23THRUST_200600_302600_NS4plusIfEEEE10hipError_tPvRmT2_T3_mT4_P12ihipStream_tbEUlmE_fEESD_NS0_8identityIvEEEESI_SL_SM_mSN_SP_bEUlT_E_NS1_11comp_targetILNS1_3genE0ELNS1_11target_archE4294967295ELNS1_3gpuE0ELNS1_3repE0EEENS1_30default_config_static_selectorELNS0_4arch9wavefront6targetE1EEEvT1_
                                        ; -- End function
	.section	.AMDGPU.csdata,"",@progbits
; Kernel info:
; codeLenInByte = 0
; NumSgprs: 4
; NumVgprs: 0
; NumAgprs: 0
; TotalNumVgprs: 0
; ScratchSize: 0
; MemoryBound: 0
; FloatMode: 240
; IeeeMode: 1
; LDSByteSize: 0 bytes/workgroup (compile time only)
; SGPRBlocks: 0
; VGPRBlocks: 0
; NumSGPRsForWavesPerEU: 4
; NumVGPRsForWavesPerEU: 1
; AccumOffset: 4
; Occupancy: 8
; WaveLimiterHint : 0
; COMPUTE_PGM_RSRC2:SCRATCH_EN: 0
; COMPUTE_PGM_RSRC2:USER_SGPR: 6
; COMPUTE_PGM_RSRC2:TRAP_HANDLER: 0
; COMPUTE_PGM_RSRC2:TGID_X_EN: 1
; COMPUTE_PGM_RSRC2:TGID_Y_EN: 0
; COMPUTE_PGM_RSRC2:TGID_Z_EN: 0
; COMPUTE_PGM_RSRC2:TIDIG_COMP_CNT: 0
; COMPUTE_PGM_RSRC3_GFX90A:ACCUM_OFFSET: 0
; COMPUTE_PGM_RSRC3_GFX90A:TG_SPLIT: 0
	.section	.text._ZN7rocprim17ROCPRIM_400000_NS6detail17trampoline_kernelINS0_14default_configENS1_25transform_config_selectorIfLb0EEEZNS1_14transform_implILb0ES3_S5_NS0_18transform_iteratorINS0_17counting_iteratorImlEEZNS1_24adjacent_difference_implIS3_Lb1ELb0EPKfPfN6thrust23THRUST_200600_302600_NS4plusIfEEEE10hipError_tPvRmT2_T3_mT4_P12ihipStream_tbEUlmE_fEESD_NS0_8identityIvEEEESI_SL_SM_mSN_SP_bEUlT_E_NS1_11comp_targetILNS1_3genE5ELNS1_11target_archE942ELNS1_3gpuE9ELNS1_3repE0EEENS1_30default_config_static_selectorELNS0_4arch9wavefront6targetE1EEEvT1_,"axG",@progbits,_ZN7rocprim17ROCPRIM_400000_NS6detail17trampoline_kernelINS0_14default_configENS1_25transform_config_selectorIfLb0EEEZNS1_14transform_implILb0ES3_S5_NS0_18transform_iteratorINS0_17counting_iteratorImlEEZNS1_24adjacent_difference_implIS3_Lb1ELb0EPKfPfN6thrust23THRUST_200600_302600_NS4plusIfEEEE10hipError_tPvRmT2_T3_mT4_P12ihipStream_tbEUlmE_fEESD_NS0_8identityIvEEEESI_SL_SM_mSN_SP_bEUlT_E_NS1_11comp_targetILNS1_3genE5ELNS1_11target_archE942ELNS1_3gpuE9ELNS1_3repE0EEENS1_30default_config_static_selectorELNS0_4arch9wavefront6targetE1EEEvT1_,comdat
	.protected	_ZN7rocprim17ROCPRIM_400000_NS6detail17trampoline_kernelINS0_14default_configENS1_25transform_config_selectorIfLb0EEEZNS1_14transform_implILb0ES3_S5_NS0_18transform_iteratorINS0_17counting_iteratorImlEEZNS1_24adjacent_difference_implIS3_Lb1ELb0EPKfPfN6thrust23THRUST_200600_302600_NS4plusIfEEEE10hipError_tPvRmT2_T3_mT4_P12ihipStream_tbEUlmE_fEESD_NS0_8identityIvEEEESI_SL_SM_mSN_SP_bEUlT_E_NS1_11comp_targetILNS1_3genE5ELNS1_11target_archE942ELNS1_3gpuE9ELNS1_3repE0EEENS1_30default_config_static_selectorELNS0_4arch9wavefront6targetE1EEEvT1_ ; -- Begin function _ZN7rocprim17ROCPRIM_400000_NS6detail17trampoline_kernelINS0_14default_configENS1_25transform_config_selectorIfLb0EEEZNS1_14transform_implILb0ES3_S5_NS0_18transform_iteratorINS0_17counting_iteratorImlEEZNS1_24adjacent_difference_implIS3_Lb1ELb0EPKfPfN6thrust23THRUST_200600_302600_NS4plusIfEEEE10hipError_tPvRmT2_T3_mT4_P12ihipStream_tbEUlmE_fEESD_NS0_8identityIvEEEESI_SL_SM_mSN_SP_bEUlT_E_NS1_11comp_targetILNS1_3genE5ELNS1_11target_archE942ELNS1_3gpuE9ELNS1_3repE0EEENS1_30default_config_static_selectorELNS0_4arch9wavefront6targetE1EEEvT1_
	.globl	_ZN7rocprim17ROCPRIM_400000_NS6detail17trampoline_kernelINS0_14default_configENS1_25transform_config_selectorIfLb0EEEZNS1_14transform_implILb0ES3_S5_NS0_18transform_iteratorINS0_17counting_iteratorImlEEZNS1_24adjacent_difference_implIS3_Lb1ELb0EPKfPfN6thrust23THRUST_200600_302600_NS4plusIfEEEE10hipError_tPvRmT2_T3_mT4_P12ihipStream_tbEUlmE_fEESD_NS0_8identityIvEEEESI_SL_SM_mSN_SP_bEUlT_E_NS1_11comp_targetILNS1_3genE5ELNS1_11target_archE942ELNS1_3gpuE9ELNS1_3repE0EEENS1_30default_config_static_selectorELNS0_4arch9wavefront6targetE1EEEvT1_
	.p2align	8
	.type	_ZN7rocprim17ROCPRIM_400000_NS6detail17trampoline_kernelINS0_14default_configENS1_25transform_config_selectorIfLb0EEEZNS1_14transform_implILb0ES3_S5_NS0_18transform_iteratorINS0_17counting_iteratorImlEEZNS1_24adjacent_difference_implIS3_Lb1ELb0EPKfPfN6thrust23THRUST_200600_302600_NS4plusIfEEEE10hipError_tPvRmT2_T3_mT4_P12ihipStream_tbEUlmE_fEESD_NS0_8identityIvEEEESI_SL_SM_mSN_SP_bEUlT_E_NS1_11comp_targetILNS1_3genE5ELNS1_11target_archE942ELNS1_3gpuE9ELNS1_3repE0EEENS1_30default_config_static_selectorELNS0_4arch9wavefront6targetE1EEEvT1_,@function
_ZN7rocprim17ROCPRIM_400000_NS6detail17trampoline_kernelINS0_14default_configENS1_25transform_config_selectorIfLb0EEEZNS1_14transform_implILb0ES3_S5_NS0_18transform_iteratorINS0_17counting_iteratorImlEEZNS1_24adjacent_difference_implIS3_Lb1ELb0EPKfPfN6thrust23THRUST_200600_302600_NS4plusIfEEEE10hipError_tPvRmT2_T3_mT4_P12ihipStream_tbEUlmE_fEESD_NS0_8identityIvEEEESI_SL_SM_mSN_SP_bEUlT_E_NS1_11comp_targetILNS1_3genE5ELNS1_11target_archE942ELNS1_3gpuE9ELNS1_3repE0EEENS1_30default_config_static_selectorELNS0_4arch9wavefront6targetE1EEEvT1_: ; @_ZN7rocprim17ROCPRIM_400000_NS6detail17trampoline_kernelINS0_14default_configENS1_25transform_config_selectorIfLb0EEEZNS1_14transform_implILb0ES3_S5_NS0_18transform_iteratorINS0_17counting_iteratorImlEEZNS1_24adjacent_difference_implIS3_Lb1ELb0EPKfPfN6thrust23THRUST_200600_302600_NS4plusIfEEEE10hipError_tPvRmT2_T3_mT4_P12ihipStream_tbEUlmE_fEESD_NS0_8identityIvEEEESI_SL_SM_mSN_SP_bEUlT_E_NS1_11comp_targetILNS1_3genE5ELNS1_11target_archE942ELNS1_3gpuE9ELNS1_3repE0EEENS1_30default_config_static_selectorELNS0_4arch9wavefront6targetE1EEEvT1_
; %bb.0:
	.section	.rodata,"a",@progbits
	.p2align	6, 0x0
	.amdhsa_kernel _ZN7rocprim17ROCPRIM_400000_NS6detail17trampoline_kernelINS0_14default_configENS1_25transform_config_selectorIfLb0EEEZNS1_14transform_implILb0ES3_S5_NS0_18transform_iteratorINS0_17counting_iteratorImlEEZNS1_24adjacent_difference_implIS3_Lb1ELb0EPKfPfN6thrust23THRUST_200600_302600_NS4plusIfEEEE10hipError_tPvRmT2_T3_mT4_P12ihipStream_tbEUlmE_fEESD_NS0_8identityIvEEEESI_SL_SM_mSN_SP_bEUlT_E_NS1_11comp_targetILNS1_3genE5ELNS1_11target_archE942ELNS1_3gpuE9ELNS1_3repE0EEENS1_30default_config_static_selectorELNS0_4arch9wavefront6targetE1EEEvT1_
		.amdhsa_group_segment_fixed_size 0
		.amdhsa_private_segment_fixed_size 0
		.amdhsa_kernarg_size 56
		.amdhsa_user_sgpr_count 6
		.amdhsa_user_sgpr_private_segment_buffer 1
		.amdhsa_user_sgpr_dispatch_ptr 0
		.amdhsa_user_sgpr_queue_ptr 0
		.amdhsa_user_sgpr_kernarg_segment_ptr 1
		.amdhsa_user_sgpr_dispatch_id 0
		.amdhsa_user_sgpr_flat_scratch_init 0
		.amdhsa_user_sgpr_kernarg_preload_length 0
		.amdhsa_user_sgpr_kernarg_preload_offset 0
		.amdhsa_user_sgpr_private_segment_size 0
		.amdhsa_uses_dynamic_stack 0
		.amdhsa_system_sgpr_private_segment_wavefront_offset 0
		.amdhsa_system_sgpr_workgroup_id_x 1
		.amdhsa_system_sgpr_workgroup_id_y 0
		.amdhsa_system_sgpr_workgroup_id_z 0
		.amdhsa_system_sgpr_workgroup_info 0
		.amdhsa_system_vgpr_workitem_id 0
		.amdhsa_next_free_vgpr 1
		.amdhsa_next_free_sgpr 0
		.amdhsa_accum_offset 4
		.amdhsa_reserve_vcc 0
		.amdhsa_reserve_flat_scratch 0
		.amdhsa_float_round_mode_32 0
		.amdhsa_float_round_mode_16_64 0
		.amdhsa_float_denorm_mode_32 3
		.amdhsa_float_denorm_mode_16_64 3
		.amdhsa_dx10_clamp 1
		.amdhsa_ieee_mode 1
		.amdhsa_fp16_overflow 0
		.amdhsa_tg_split 0
		.amdhsa_exception_fp_ieee_invalid_op 0
		.amdhsa_exception_fp_denorm_src 0
		.amdhsa_exception_fp_ieee_div_zero 0
		.amdhsa_exception_fp_ieee_overflow 0
		.amdhsa_exception_fp_ieee_underflow 0
		.amdhsa_exception_fp_ieee_inexact 0
		.amdhsa_exception_int_div_zero 0
	.end_amdhsa_kernel
	.section	.text._ZN7rocprim17ROCPRIM_400000_NS6detail17trampoline_kernelINS0_14default_configENS1_25transform_config_selectorIfLb0EEEZNS1_14transform_implILb0ES3_S5_NS0_18transform_iteratorINS0_17counting_iteratorImlEEZNS1_24adjacent_difference_implIS3_Lb1ELb0EPKfPfN6thrust23THRUST_200600_302600_NS4plusIfEEEE10hipError_tPvRmT2_T3_mT4_P12ihipStream_tbEUlmE_fEESD_NS0_8identityIvEEEESI_SL_SM_mSN_SP_bEUlT_E_NS1_11comp_targetILNS1_3genE5ELNS1_11target_archE942ELNS1_3gpuE9ELNS1_3repE0EEENS1_30default_config_static_selectorELNS0_4arch9wavefront6targetE1EEEvT1_,"axG",@progbits,_ZN7rocprim17ROCPRIM_400000_NS6detail17trampoline_kernelINS0_14default_configENS1_25transform_config_selectorIfLb0EEEZNS1_14transform_implILb0ES3_S5_NS0_18transform_iteratorINS0_17counting_iteratorImlEEZNS1_24adjacent_difference_implIS3_Lb1ELb0EPKfPfN6thrust23THRUST_200600_302600_NS4plusIfEEEE10hipError_tPvRmT2_T3_mT4_P12ihipStream_tbEUlmE_fEESD_NS0_8identityIvEEEESI_SL_SM_mSN_SP_bEUlT_E_NS1_11comp_targetILNS1_3genE5ELNS1_11target_archE942ELNS1_3gpuE9ELNS1_3repE0EEENS1_30default_config_static_selectorELNS0_4arch9wavefront6targetE1EEEvT1_,comdat
.Lfunc_end625:
	.size	_ZN7rocprim17ROCPRIM_400000_NS6detail17trampoline_kernelINS0_14default_configENS1_25transform_config_selectorIfLb0EEEZNS1_14transform_implILb0ES3_S5_NS0_18transform_iteratorINS0_17counting_iteratorImlEEZNS1_24adjacent_difference_implIS3_Lb1ELb0EPKfPfN6thrust23THRUST_200600_302600_NS4plusIfEEEE10hipError_tPvRmT2_T3_mT4_P12ihipStream_tbEUlmE_fEESD_NS0_8identityIvEEEESI_SL_SM_mSN_SP_bEUlT_E_NS1_11comp_targetILNS1_3genE5ELNS1_11target_archE942ELNS1_3gpuE9ELNS1_3repE0EEENS1_30default_config_static_selectorELNS0_4arch9wavefront6targetE1EEEvT1_, .Lfunc_end625-_ZN7rocprim17ROCPRIM_400000_NS6detail17trampoline_kernelINS0_14default_configENS1_25transform_config_selectorIfLb0EEEZNS1_14transform_implILb0ES3_S5_NS0_18transform_iteratorINS0_17counting_iteratorImlEEZNS1_24adjacent_difference_implIS3_Lb1ELb0EPKfPfN6thrust23THRUST_200600_302600_NS4plusIfEEEE10hipError_tPvRmT2_T3_mT4_P12ihipStream_tbEUlmE_fEESD_NS0_8identityIvEEEESI_SL_SM_mSN_SP_bEUlT_E_NS1_11comp_targetILNS1_3genE5ELNS1_11target_archE942ELNS1_3gpuE9ELNS1_3repE0EEENS1_30default_config_static_selectorELNS0_4arch9wavefront6targetE1EEEvT1_
                                        ; -- End function
	.section	.AMDGPU.csdata,"",@progbits
; Kernel info:
; codeLenInByte = 0
; NumSgprs: 4
; NumVgprs: 0
; NumAgprs: 0
; TotalNumVgprs: 0
; ScratchSize: 0
; MemoryBound: 0
; FloatMode: 240
; IeeeMode: 1
; LDSByteSize: 0 bytes/workgroup (compile time only)
; SGPRBlocks: 0
; VGPRBlocks: 0
; NumSGPRsForWavesPerEU: 4
; NumVGPRsForWavesPerEU: 1
; AccumOffset: 4
; Occupancy: 8
; WaveLimiterHint : 0
; COMPUTE_PGM_RSRC2:SCRATCH_EN: 0
; COMPUTE_PGM_RSRC2:USER_SGPR: 6
; COMPUTE_PGM_RSRC2:TRAP_HANDLER: 0
; COMPUTE_PGM_RSRC2:TGID_X_EN: 1
; COMPUTE_PGM_RSRC2:TGID_Y_EN: 0
; COMPUTE_PGM_RSRC2:TGID_Z_EN: 0
; COMPUTE_PGM_RSRC2:TIDIG_COMP_CNT: 0
; COMPUTE_PGM_RSRC3_GFX90A:ACCUM_OFFSET: 0
; COMPUTE_PGM_RSRC3_GFX90A:TG_SPLIT: 0
	.section	.text._ZN7rocprim17ROCPRIM_400000_NS6detail17trampoline_kernelINS0_14default_configENS1_25transform_config_selectorIfLb0EEEZNS1_14transform_implILb0ES3_S5_NS0_18transform_iteratorINS0_17counting_iteratorImlEEZNS1_24adjacent_difference_implIS3_Lb1ELb0EPKfPfN6thrust23THRUST_200600_302600_NS4plusIfEEEE10hipError_tPvRmT2_T3_mT4_P12ihipStream_tbEUlmE_fEESD_NS0_8identityIvEEEESI_SL_SM_mSN_SP_bEUlT_E_NS1_11comp_targetILNS1_3genE4ELNS1_11target_archE910ELNS1_3gpuE8ELNS1_3repE0EEENS1_30default_config_static_selectorELNS0_4arch9wavefront6targetE1EEEvT1_,"axG",@progbits,_ZN7rocprim17ROCPRIM_400000_NS6detail17trampoline_kernelINS0_14default_configENS1_25transform_config_selectorIfLb0EEEZNS1_14transform_implILb0ES3_S5_NS0_18transform_iteratorINS0_17counting_iteratorImlEEZNS1_24adjacent_difference_implIS3_Lb1ELb0EPKfPfN6thrust23THRUST_200600_302600_NS4plusIfEEEE10hipError_tPvRmT2_T3_mT4_P12ihipStream_tbEUlmE_fEESD_NS0_8identityIvEEEESI_SL_SM_mSN_SP_bEUlT_E_NS1_11comp_targetILNS1_3genE4ELNS1_11target_archE910ELNS1_3gpuE8ELNS1_3repE0EEENS1_30default_config_static_selectorELNS0_4arch9wavefront6targetE1EEEvT1_,comdat
	.protected	_ZN7rocprim17ROCPRIM_400000_NS6detail17trampoline_kernelINS0_14default_configENS1_25transform_config_selectorIfLb0EEEZNS1_14transform_implILb0ES3_S5_NS0_18transform_iteratorINS0_17counting_iteratorImlEEZNS1_24adjacent_difference_implIS3_Lb1ELb0EPKfPfN6thrust23THRUST_200600_302600_NS4plusIfEEEE10hipError_tPvRmT2_T3_mT4_P12ihipStream_tbEUlmE_fEESD_NS0_8identityIvEEEESI_SL_SM_mSN_SP_bEUlT_E_NS1_11comp_targetILNS1_3genE4ELNS1_11target_archE910ELNS1_3gpuE8ELNS1_3repE0EEENS1_30default_config_static_selectorELNS0_4arch9wavefront6targetE1EEEvT1_ ; -- Begin function _ZN7rocprim17ROCPRIM_400000_NS6detail17trampoline_kernelINS0_14default_configENS1_25transform_config_selectorIfLb0EEEZNS1_14transform_implILb0ES3_S5_NS0_18transform_iteratorINS0_17counting_iteratorImlEEZNS1_24adjacent_difference_implIS3_Lb1ELb0EPKfPfN6thrust23THRUST_200600_302600_NS4plusIfEEEE10hipError_tPvRmT2_T3_mT4_P12ihipStream_tbEUlmE_fEESD_NS0_8identityIvEEEESI_SL_SM_mSN_SP_bEUlT_E_NS1_11comp_targetILNS1_3genE4ELNS1_11target_archE910ELNS1_3gpuE8ELNS1_3repE0EEENS1_30default_config_static_selectorELNS0_4arch9wavefront6targetE1EEEvT1_
	.globl	_ZN7rocprim17ROCPRIM_400000_NS6detail17trampoline_kernelINS0_14default_configENS1_25transform_config_selectorIfLb0EEEZNS1_14transform_implILb0ES3_S5_NS0_18transform_iteratorINS0_17counting_iteratorImlEEZNS1_24adjacent_difference_implIS3_Lb1ELb0EPKfPfN6thrust23THRUST_200600_302600_NS4plusIfEEEE10hipError_tPvRmT2_T3_mT4_P12ihipStream_tbEUlmE_fEESD_NS0_8identityIvEEEESI_SL_SM_mSN_SP_bEUlT_E_NS1_11comp_targetILNS1_3genE4ELNS1_11target_archE910ELNS1_3gpuE8ELNS1_3repE0EEENS1_30default_config_static_selectorELNS0_4arch9wavefront6targetE1EEEvT1_
	.p2align	8
	.type	_ZN7rocprim17ROCPRIM_400000_NS6detail17trampoline_kernelINS0_14default_configENS1_25transform_config_selectorIfLb0EEEZNS1_14transform_implILb0ES3_S5_NS0_18transform_iteratorINS0_17counting_iteratorImlEEZNS1_24adjacent_difference_implIS3_Lb1ELb0EPKfPfN6thrust23THRUST_200600_302600_NS4plusIfEEEE10hipError_tPvRmT2_T3_mT4_P12ihipStream_tbEUlmE_fEESD_NS0_8identityIvEEEESI_SL_SM_mSN_SP_bEUlT_E_NS1_11comp_targetILNS1_3genE4ELNS1_11target_archE910ELNS1_3gpuE8ELNS1_3repE0EEENS1_30default_config_static_selectorELNS0_4arch9wavefront6targetE1EEEvT1_,@function
_ZN7rocprim17ROCPRIM_400000_NS6detail17trampoline_kernelINS0_14default_configENS1_25transform_config_selectorIfLb0EEEZNS1_14transform_implILb0ES3_S5_NS0_18transform_iteratorINS0_17counting_iteratorImlEEZNS1_24adjacent_difference_implIS3_Lb1ELb0EPKfPfN6thrust23THRUST_200600_302600_NS4plusIfEEEE10hipError_tPvRmT2_T3_mT4_P12ihipStream_tbEUlmE_fEESD_NS0_8identityIvEEEESI_SL_SM_mSN_SP_bEUlT_E_NS1_11comp_targetILNS1_3genE4ELNS1_11target_archE910ELNS1_3gpuE8ELNS1_3repE0EEENS1_30default_config_static_selectorELNS0_4arch9wavefront6targetE1EEEvT1_: ; @_ZN7rocprim17ROCPRIM_400000_NS6detail17trampoline_kernelINS0_14default_configENS1_25transform_config_selectorIfLb0EEEZNS1_14transform_implILb0ES3_S5_NS0_18transform_iteratorINS0_17counting_iteratorImlEEZNS1_24adjacent_difference_implIS3_Lb1ELb0EPKfPfN6thrust23THRUST_200600_302600_NS4plusIfEEEE10hipError_tPvRmT2_T3_mT4_P12ihipStream_tbEUlmE_fEESD_NS0_8identityIvEEEESI_SL_SM_mSN_SP_bEUlT_E_NS1_11comp_targetILNS1_3genE4ELNS1_11target_archE910ELNS1_3gpuE8ELNS1_3repE0EEENS1_30default_config_static_selectorELNS0_4arch9wavefront6targetE1EEEvT1_
; %bb.0:
	s_load_dwordx4 s[0:3], s[4:5], 0x18
	s_load_dwordx2 s[14:15], s[4:5], 0x28
	s_load_dwordx4 s[8:11], s[4:5], 0x0
	s_load_dword s12, s[4:5], 0x10
	s_waitcnt lgkmcnt(0)
	s_load_dword s3, s[4:5], 0x38
                                        ; kill: killed $sgpr4_sgpr5
	s_lshl_b64 s[4:5], s[0:1], 2
	s_add_u32 s14, s14, s4
	s_addc_u32 s15, s15, s5
	s_lshl_b32 s4, s6, 11
	s_waitcnt lgkmcnt(0)
	s_add_i32 s3, s3, -1
	s_add_u32 s7, s8, s4
	s_addc_u32 s8, s9, 0
	s_add_u32 s16, s7, s0
	s_addc_u32 s17, s8, s1
	s_mov_b32 s5, 0
	s_cmp_lg_u32 s6, s3
	v_lshlrev_b32_e32 v1, 2, v0
	s_cbranch_scc0 .LBB626_2
; %bb.1:
	v_mov_b32_e32 v2, s17
	v_add_co_u32_e32 v3, vcc, s16, v0
	v_addc_co_u32_e32 v5, vcc, 0, v2, vcc
	v_mad_u64_u32 v[2:3], s[0:1], v3, s12, 0
	v_mov_b32_e32 v4, v3
	v_mad_u64_u32 v[4:5], s[0:1], v5, s12, v[4:5]
	v_mov_b32_e32 v3, v4
	v_lshlrev_b64 v[2:3], 2, v[2:3]
	s_mov_b32 s13, s5
	v_mov_b32_e32 v4, s11
	v_add_co_u32_e32 v2, vcc, s10, v2
	v_addc_co_u32_e32 v3, vcc, v4, v3, vcc
	s_lshl_b64 s[0:1], s[12:13], 12
	global_load_dword v6, v[2:3], off
	v_mov_b32_e32 v4, s1
	v_add_co_u32_e32 v2, vcc, s0, v2
	v_addc_co_u32_e32 v3, vcc, v3, v4, vcc
	global_load_dword v3, v[2:3], off
	s_lshl_b64 s[6:7], s[4:5], 2
	s_add_u32 s6, s14, s6
	s_addc_u32 s7, s15, s7
	v_mov_b32_e32 v2, s7
	v_add_co_u32_e32 v4, vcc, s6, v1
	v_addc_co_u32_e32 v5, vcc, 0, v2, vcc
	s_waitcnt vmcnt(1)
	global_store_dword v1, v6, s[6:7]
	s_mov_b64 s[6:7], -1
	s_cbranch_execz .LBB626_3
	s_branch .LBB626_12
.LBB626_2:
	s_mov_b64 s[6:7], 0
                                        ; implicit-def: $vgpr3
                                        ; implicit-def: $vgpr4_vgpr5
.LBB626_3:
	s_sub_i32 s8, s2, s4
	v_cmp_gt_u32_e32 vcc, s8, v0
                                        ; implicit-def: $vgpr2_vgpr3
	s_and_saveexec_b64 s[2:3], vcc
	s_cbranch_execz .LBB626_5
; %bb.4:
	v_mov_b32_e32 v2, s17
	s_waitcnt vmcnt(1)
	v_add_co_u32_e64 v3, s[0:1], s16, v0
	v_addc_co_u32_e64 v5, s[0:1], 0, v2, s[0:1]
	v_mad_u64_u32 v[2:3], s[0:1], v3, s12, 0
	v_mov_b32_e32 v4, v3
	v_mad_u64_u32 v[4:5], s[0:1], v5, s12, v[4:5]
	v_mov_b32_e32 v3, v4
	v_lshlrev_b64 v[2:3], 2, v[2:3]
	v_mov_b32_e32 v4, s11
	v_add_co_u32_e64 v2, s[0:1], s10, v2
	v_addc_co_u32_e64 v3, s[0:1], v4, v3, s[0:1]
	global_load_dword v2, v[2:3], off
.LBB626_5:
	s_or_b64 exec, exec, s[2:3]
	v_or_b32_e32 v0, 0x400, v0
	v_cmp_gt_u32_e64 s[0:1], s8, v0
	s_and_saveexec_b64 s[8:9], s[0:1]
	s_cbranch_execz .LBB626_7
; %bb.6:
	s_waitcnt vmcnt(1)
	v_mov_b32_e32 v3, s17
	v_add_co_u32_e64 v0, s[2:3], s16, v0
	v_addc_co_u32_e64 v3, s[2:3], 0, v3, s[2:3]
	v_mad_u64_u32 v[4:5], s[2:3], v0, s12, 0
	v_mov_b32_e32 v0, v5
	v_mad_u64_u32 v[6:7], s[2:3], v3, s12, v[0:1]
	v_mov_b32_e32 v5, v6
	v_lshlrev_b64 v[4:5], 2, v[4:5]
	v_mov_b32_e32 v0, s11
	v_add_co_u32_e64 v4, s[2:3], s10, v4
	v_addc_co_u32_e64 v5, s[2:3], v0, v5, s[2:3]
	global_load_dword v3, v[4:5], off
.LBB626_7:
	s_or_b64 exec, exec, s[8:9]
	s_lshl_b64 s[2:3], s[4:5], 2
	s_add_u32 s2, s14, s2
	s_addc_u32 s3, s15, s3
	v_mov_b32_e32 v0, s3
	v_add_co_u32_e64 v4, s[2:3], s2, v1
	v_addc_co_u32_e64 v5, s[2:3], 0, v0, s[2:3]
	s_and_saveexec_b64 s[2:3], vcc
	s_cbranch_execz .LBB626_9
; %bb.8:
	s_waitcnt vmcnt(0)
	global_store_dword v[4:5], v2, off
.LBB626_9:
	s_or_b64 exec, exec, s[2:3]
	s_and_saveexec_b64 s[2:3], s[0:1]
; %bb.10:
	s_or_b64 s[6:7], s[6:7], exec
; %bb.11:
	s_or_b64 exec, exec, s[2:3]
.LBB626_12:
	s_and_saveexec_b64 s[0:1], s[6:7]
	s_cbranch_execnz .LBB626_14
; %bb.13:
	s_endpgm
.LBB626_14:
	v_add_co_u32_e32 v0, vcc, 0x1000, v4
	v_addc_co_u32_e32 v1, vcc, 0, v5, vcc
	s_waitcnt vmcnt(0)
	global_store_dword v[0:1], v3, off
	s_endpgm
	.section	.rodata,"a",@progbits
	.p2align	6, 0x0
	.amdhsa_kernel _ZN7rocprim17ROCPRIM_400000_NS6detail17trampoline_kernelINS0_14default_configENS1_25transform_config_selectorIfLb0EEEZNS1_14transform_implILb0ES3_S5_NS0_18transform_iteratorINS0_17counting_iteratorImlEEZNS1_24adjacent_difference_implIS3_Lb1ELb0EPKfPfN6thrust23THRUST_200600_302600_NS4plusIfEEEE10hipError_tPvRmT2_T3_mT4_P12ihipStream_tbEUlmE_fEESD_NS0_8identityIvEEEESI_SL_SM_mSN_SP_bEUlT_E_NS1_11comp_targetILNS1_3genE4ELNS1_11target_archE910ELNS1_3gpuE8ELNS1_3repE0EEENS1_30default_config_static_selectorELNS0_4arch9wavefront6targetE1EEEvT1_
		.amdhsa_group_segment_fixed_size 0
		.amdhsa_private_segment_fixed_size 0
		.amdhsa_kernarg_size 312
		.amdhsa_user_sgpr_count 6
		.amdhsa_user_sgpr_private_segment_buffer 1
		.amdhsa_user_sgpr_dispatch_ptr 0
		.amdhsa_user_sgpr_queue_ptr 0
		.amdhsa_user_sgpr_kernarg_segment_ptr 1
		.amdhsa_user_sgpr_dispatch_id 0
		.amdhsa_user_sgpr_flat_scratch_init 0
		.amdhsa_user_sgpr_kernarg_preload_length 0
		.amdhsa_user_sgpr_kernarg_preload_offset 0
		.amdhsa_user_sgpr_private_segment_size 0
		.amdhsa_uses_dynamic_stack 0
		.amdhsa_system_sgpr_private_segment_wavefront_offset 0
		.amdhsa_system_sgpr_workgroup_id_x 1
		.amdhsa_system_sgpr_workgroup_id_y 0
		.amdhsa_system_sgpr_workgroup_id_z 0
		.amdhsa_system_sgpr_workgroup_info 0
		.amdhsa_system_vgpr_workitem_id 0
		.amdhsa_next_free_vgpr 8
		.amdhsa_next_free_sgpr 18
		.amdhsa_accum_offset 8
		.amdhsa_reserve_vcc 1
		.amdhsa_reserve_flat_scratch 0
		.amdhsa_float_round_mode_32 0
		.amdhsa_float_round_mode_16_64 0
		.amdhsa_float_denorm_mode_32 3
		.amdhsa_float_denorm_mode_16_64 3
		.amdhsa_dx10_clamp 1
		.amdhsa_ieee_mode 1
		.amdhsa_fp16_overflow 0
		.amdhsa_tg_split 0
		.amdhsa_exception_fp_ieee_invalid_op 0
		.amdhsa_exception_fp_denorm_src 0
		.amdhsa_exception_fp_ieee_div_zero 0
		.amdhsa_exception_fp_ieee_overflow 0
		.amdhsa_exception_fp_ieee_underflow 0
		.amdhsa_exception_fp_ieee_inexact 0
		.amdhsa_exception_int_div_zero 0
	.end_amdhsa_kernel
	.section	.text._ZN7rocprim17ROCPRIM_400000_NS6detail17trampoline_kernelINS0_14default_configENS1_25transform_config_selectorIfLb0EEEZNS1_14transform_implILb0ES3_S5_NS0_18transform_iteratorINS0_17counting_iteratorImlEEZNS1_24adjacent_difference_implIS3_Lb1ELb0EPKfPfN6thrust23THRUST_200600_302600_NS4plusIfEEEE10hipError_tPvRmT2_T3_mT4_P12ihipStream_tbEUlmE_fEESD_NS0_8identityIvEEEESI_SL_SM_mSN_SP_bEUlT_E_NS1_11comp_targetILNS1_3genE4ELNS1_11target_archE910ELNS1_3gpuE8ELNS1_3repE0EEENS1_30default_config_static_selectorELNS0_4arch9wavefront6targetE1EEEvT1_,"axG",@progbits,_ZN7rocprim17ROCPRIM_400000_NS6detail17trampoline_kernelINS0_14default_configENS1_25transform_config_selectorIfLb0EEEZNS1_14transform_implILb0ES3_S5_NS0_18transform_iteratorINS0_17counting_iteratorImlEEZNS1_24adjacent_difference_implIS3_Lb1ELb0EPKfPfN6thrust23THRUST_200600_302600_NS4plusIfEEEE10hipError_tPvRmT2_T3_mT4_P12ihipStream_tbEUlmE_fEESD_NS0_8identityIvEEEESI_SL_SM_mSN_SP_bEUlT_E_NS1_11comp_targetILNS1_3genE4ELNS1_11target_archE910ELNS1_3gpuE8ELNS1_3repE0EEENS1_30default_config_static_selectorELNS0_4arch9wavefront6targetE1EEEvT1_,comdat
.Lfunc_end626:
	.size	_ZN7rocprim17ROCPRIM_400000_NS6detail17trampoline_kernelINS0_14default_configENS1_25transform_config_selectorIfLb0EEEZNS1_14transform_implILb0ES3_S5_NS0_18transform_iteratorINS0_17counting_iteratorImlEEZNS1_24adjacent_difference_implIS3_Lb1ELb0EPKfPfN6thrust23THRUST_200600_302600_NS4plusIfEEEE10hipError_tPvRmT2_T3_mT4_P12ihipStream_tbEUlmE_fEESD_NS0_8identityIvEEEESI_SL_SM_mSN_SP_bEUlT_E_NS1_11comp_targetILNS1_3genE4ELNS1_11target_archE910ELNS1_3gpuE8ELNS1_3repE0EEENS1_30default_config_static_selectorELNS0_4arch9wavefront6targetE1EEEvT1_, .Lfunc_end626-_ZN7rocprim17ROCPRIM_400000_NS6detail17trampoline_kernelINS0_14default_configENS1_25transform_config_selectorIfLb0EEEZNS1_14transform_implILb0ES3_S5_NS0_18transform_iteratorINS0_17counting_iteratorImlEEZNS1_24adjacent_difference_implIS3_Lb1ELb0EPKfPfN6thrust23THRUST_200600_302600_NS4plusIfEEEE10hipError_tPvRmT2_T3_mT4_P12ihipStream_tbEUlmE_fEESD_NS0_8identityIvEEEESI_SL_SM_mSN_SP_bEUlT_E_NS1_11comp_targetILNS1_3genE4ELNS1_11target_archE910ELNS1_3gpuE8ELNS1_3repE0EEENS1_30default_config_static_selectorELNS0_4arch9wavefront6targetE1EEEvT1_
                                        ; -- End function
	.section	.AMDGPU.csdata,"",@progbits
; Kernel info:
; codeLenInByte = 568
; NumSgprs: 22
; NumVgprs: 8
; NumAgprs: 0
; TotalNumVgprs: 8
; ScratchSize: 0
; MemoryBound: 0
; FloatMode: 240
; IeeeMode: 1
; LDSByteSize: 0 bytes/workgroup (compile time only)
; SGPRBlocks: 2
; VGPRBlocks: 0
; NumSGPRsForWavesPerEU: 22
; NumVGPRsForWavesPerEU: 8
; AccumOffset: 8
; Occupancy: 8
; WaveLimiterHint : 0
; COMPUTE_PGM_RSRC2:SCRATCH_EN: 0
; COMPUTE_PGM_RSRC2:USER_SGPR: 6
; COMPUTE_PGM_RSRC2:TRAP_HANDLER: 0
; COMPUTE_PGM_RSRC2:TGID_X_EN: 1
; COMPUTE_PGM_RSRC2:TGID_Y_EN: 0
; COMPUTE_PGM_RSRC2:TGID_Z_EN: 0
; COMPUTE_PGM_RSRC2:TIDIG_COMP_CNT: 0
; COMPUTE_PGM_RSRC3_GFX90A:ACCUM_OFFSET: 1
; COMPUTE_PGM_RSRC3_GFX90A:TG_SPLIT: 0
	.section	.text._ZN7rocprim17ROCPRIM_400000_NS6detail17trampoline_kernelINS0_14default_configENS1_25transform_config_selectorIfLb0EEEZNS1_14transform_implILb0ES3_S5_NS0_18transform_iteratorINS0_17counting_iteratorImlEEZNS1_24adjacent_difference_implIS3_Lb1ELb0EPKfPfN6thrust23THRUST_200600_302600_NS4plusIfEEEE10hipError_tPvRmT2_T3_mT4_P12ihipStream_tbEUlmE_fEESD_NS0_8identityIvEEEESI_SL_SM_mSN_SP_bEUlT_E_NS1_11comp_targetILNS1_3genE3ELNS1_11target_archE908ELNS1_3gpuE7ELNS1_3repE0EEENS1_30default_config_static_selectorELNS0_4arch9wavefront6targetE1EEEvT1_,"axG",@progbits,_ZN7rocprim17ROCPRIM_400000_NS6detail17trampoline_kernelINS0_14default_configENS1_25transform_config_selectorIfLb0EEEZNS1_14transform_implILb0ES3_S5_NS0_18transform_iteratorINS0_17counting_iteratorImlEEZNS1_24adjacent_difference_implIS3_Lb1ELb0EPKfPfN6thrust23THRUST_200600_302600_NS4plusIfEEEE10hipError_tPvRmT2_T3_mT4_P12ihipStream_tbEUlmE_fEESD_NS0_8identityIvEEEESI_SL_SM_mSN_SP_bEUlT_E_NS1_11comp_targetILNS1_3genE3ELNS1_11target_archE908ELNS1_3gpuE7ELNS1_3repE0EEENS1_30default_config_static_selectorELNS0_4arch9wavefront6targetE1EEEvT1_,comdat
	.protected	_ZN7rocprim17ROCPRIM_400000_NS6detail17trampoline_kernelINS0_14default_configENS1_25transform_config_selectorIfLb0EEEZNS1_14transform_implILb0ES3_S5_NS0_18transform_iteratorINS0_17counting_iteratorImlEEZNS1_24adjacent_difference_implIS3_Lb1ELb0EPKfPfN6thrust23THRUST_200600_302600_NS4plusIfEEEE10hipError_tPvRmT2_T3_mT4_P12ihipStream_tbEUlmE_fEESD_NS0_8identityIvEEEESI_SL_SM_mSN_SP_bEUlT_E_NS1_11comp_targetILNS1_3genE3ELNS1_11target_archE908ELNS1_3gpuE7ELNS1_3repE0EEENS1_30default_config_static_selectorELNS0_4arch9wavefront6targetE1EEEvT1_ ; -- Begin function _ZN7rocprim17ROCPRIM_400000_NS6detail17trampoline_kernelINS0_14default_configENS1_25transform_config_selectorIfLb0EEEZNS1_14transform_implILb0ES3_S5_NS0_18transform_iteratorINS0_17counting_iteratorImlEEZNS1_24adjacent_difference_implIS3_Lb1ELb0EPKfPfN6thrust23THRUST_200600_302600_NS4plusIfEEEE10hipError_tPvRmT2_T3_mT4_P12ihipStream_tbEUlmE_fEESD_NS0_8identityIvEEEESI_SL_SM_mSN_SP_bEUlT_E_NS1_11comp_targetILNS1_3genE3ELNS1_11target_archE908ELNS1_3gpuE7ELNS1_3repE0EEENS1_30default_config_static_selectorELNS0_4arch9wavefront6targetE1EEEvT1_
	.globl	_ZN7rocprim17ROCPRIM_400000_NS6detail17trampoline_kernelINS0_14default_configENS1_25transform_config_selectorIfLb0EEEZNS1_14transform_implILb0ES3_S5_NS0_18transform_iteratorINS0_17counting_iteratorImlEEZNS1_24adjacent_difference_implIS3_Lb1ELb0EPKfPfN6thrust23THRUST_200600_302600_NS4plusIfEEEE10hipError_tPvRmT2_T3_mT4_P12ihipStream_tbEUlmE_fEESD_NS0_8identityIvEEEESI_SL_SM_mSN_SP_bEUlT_E_NS1_11comp_targetILNS1_3genE3ELNS1_11target_archE908ELNS1_3gpuE7ELNS1_3repE0EEENS1_30default_config_static_selectorELNS0_4arch9wavefront6targetE1EEEvT1_
	.p2align	8
	.type	_ZN7rocprim17ROCPRIM_400000_NS6detail17trampoline_kernelINS0_14default_configENS1_25transform_config_selectorIfLb0EEEZNS1_14transform_implILb0ES3_S5_NS0_18transform_iteratorINS0_17counting_iteratorImlEEZNS1_24adjacent_difference_implIS3_Lb1ELb0EPKfPfN6thrust23THRUST_200600_302600_NS4plusIfEEEE10hipError_tPvRmT2_T3_mT4_P12ihipStream_tbEUlmE_fEESD_NS0_8identityIvEEEESI_SL_SM_mSN_SP_bEUlT_E_NS1_11comp_targetILNS1_3genE3ELNS1_11target_archE908ELNS1_3gpuE7ELNS1_3repE0EEENS1_30default_config_static_selectorELNS0_4arch9wavefront6targetE1EEEvT1_,@function
_ZN7rocprim17ROCPRIM_400000_NS6detail17trampoline_kernelINS0_14default_configENS1_25transform_config_selectorIfLb0EEEZNS1_14transform_implILb0ES3_S5_NS0_18transform_iteratorINS0_17counting_iteratorImlEEZNS1_24adjacent_difference_implIS3_Lb1ELb0EPKfPfN6thrust23THRUST_200600_302600_NS4plusIfEEEE10hipError_tPvRmT2_T3_mT4_P12ihipStream_tbEUlmE_fEESD_NS0_8identityIvEEEESI_SL_SM_mSN_SP_bEUlT_E_NS1_11comp_targetILNS1_3genE3ELNS1_11target_archE908ELNS1_3gpuE7ELNS1_3repE0EEENS1_30default_config_static_selectorELNS0_4arch9wavefront6targetE1EEEvT1_: ; @_ZN7rocprim17ROCPRIM_400000_NS6detail17trampoline_kernelINS0_14default_configENS1_25transform_config_selectorIfLb0EEEZNS1_14transform_implILb0ES3_S5_NS0_18transform_iteratorINS0_17counting_iteratorImlEEZNS1_24adjacent_difference_implIS3_Lb1ELb0EPKfPfN6thrust23THRUST_200600_302600_NS4plusIfEEEE10hipError_tPvRmT2_T3_mT4_P12ihipStream_tbEUlmE_fEESD_NS0_8identityIvEEEESI_SL_SM_mSN_SP_bEUlT_E_NS1_11comp_targetILNS1_3genE3ELNS1_11target_archE908ELNS1_3gpuE7ELNS1_3repE0EEENS1_30default_config_static_selectorELNS0_4arch9wavefront6targetE1EEEvT1_
; %bb.0:
	.section	.rodata,"a",@progbits
	.p2align	6, 0x0
	.amdhsa_kernel _ZN7rocprim17ROCPRIM_400000_NS6detail17trampoline_kernelINS0_14default_configENS1_25transform_config_selectorIfLb0EEEZNS1_14transform_implILb0ES3_S5_NS0_18transform_iteratorINS0_17counting_iteratorImlEEZNS1_24adjacent_difference_implIS3_Lb1ELb0EPKfPfN6thrust23THRUST_200600_302600_NS4plusIfEEEE10hipError_tPvRmT2_T3_mT4_P12ihipStream_tbEUlmE_fEESD_NS0_8identityIvEEEESI_SL_SM_mSN_SP_bEUlT_E_NS1_11comp_targetILNS1_3genE3ELNS1_11target_archE908ELNS1_3gpuE7ELNS1_3repE0EEENS1_30default_config_static_selectorELNS0_4arch9wavefront6targetE1EEEvT1_
		.amdhsa_group_segment_fixed_size 0
		.amdhsa_private_segment_fixed_size 0
		.amdhsa_kernarg_size 56
		.amdhsa_user_sgpr_count 6
		.amdhsa_user_sgpr_private_segment_buffer 1
		.amdhsa_user_sgpr_dispatch_ptr 0
		.amdhsa_user_sgpr_queue_ptr 0
		.amdhsa_user_sgpr_kernarg_segment_ptr 1
		.amdhsa_user_sgpr_dispatch_id 0
		.amdhsa_user_sgpr_flat_scratch_init 0
		.amdhsa_user_sgpr_kernarg_preload_length 0
		.amdhsa_user_sgpr_kernarg_preload_offset 0
		.amdhsa_user_sgpr_private_segment_size 0
		.amdhsa_uses_dynamic_stack 0
		.amdhsa_system_sgpr_private_segment_wavefront_offset 0
		.amdhsa_system_sgpr_workgroup_id_x 1
		.amdhsa_system_sgpr_workgroup_id_y 0
		.amdhsa_system_sgpr_workgroup_id_z 0
		.amdhsa_system_sgpr_workgroup_info 0
		.amdhsa_system_vgpr_workitem_id 0
		.amdhsa_next_free_vgpr 1
		.amdhsa_next_free_sgpr 0
		.amdhsa_accum_offset 4
		.amdhsa_reserve_vcc 0
		.amdhsa_reserve_flat_scratch 0
		.amdhsa_float_round_mode_32 0
		.amdhsa_float_round_mode_16_64 0
		.amdhsa_float_denorm_mode_32 3
		.amdhsa_float_denorm_mode_16_64 3
		.amdhsa_dx10_clamp 1
		.amdhsa_ieee_mode 1
		.amdhsa_fp16_overflow 0
		.amdhsa_tg_split 0
		.amdhsa_exception_fp_ieee_invalid_op 0
		.amdhsa_exception_fp_denorm_src 0
		.amdhsa_exception_fp_ieee_div_zero 0
		.amdhsa_exception_fp_ieee_overflow 0
		.amdhsa_exception_fp_ieee_underflow 0
		.amdhsa_exception_fp_ieee_inexact 0
		.amdhsa_exception_int_div_zero 0
	.end_amdhsa_kernel
	.section	.text._ZN7rocprim17ROCPRIM_400000_NS6detail17trampoline_kernelINS0_14default_configENS1_25transform_config_selectorIfLb0EEEZNS1_14transform_implILb0ES3_S5_NS0_18transform_iteratorINS0_17counting_iteratorImlEEZNS1_24adjacent_difference_implIS3_Lb1ELb0EPKfPfN6thrust23THRUST_200600_302600_NS4plusIfEEEE10hipError_tPvRmT2_T3_mT4_P12ihipStream_tbEUlmE_fEESD_NS0_8identityIvEEEESI_SL_SM_mSN_SP_bEUlT_E_NS1_11comp_targetILNS1_3genE3ELNS1_11target_archE908ELNS1_3gpuE7ELNS1_3repE0EEENS1_30default_config_static_selectorELNS0_4arch9wavefront6targetE1EEEvT1_,"axG",@progbits,_ZN7rocprim17ROCPRIM_400000_NS6detail17trampoline_kernelINS0_14default_configENS1_25transform_config_selectorIfLb0EEEZNS1_14transform_implILb0ES3_S5_NS0_18transform_iteratorINS0_17counting_iteratorImlEEZNS1_24adjacent_difference_implIS3_Lb1ELb0EPKfPfN6thrust23THRUST_200600_302600_NS4plusIfEEEE10hipError_tPvRmT2_T3_mT4_P12ihipStream_tbEUlmE_fEESD_NS0_8identityIvEEEESI_SL_SM_mSN_SP_bEUlT_E_NS1_11comp_targetILNS1_3genE3ELNS1_11target_archE908ELNS1_3gpuE7ELNS1_3repE0EEENS1_30default_config_static_selectorELNS0_4arch9wavefront6targetE1EEEvT1_,comdat
.Lfunc_end627:
	.size	_ZN7rocprim17ROCPRIM_400000_NS6detail17trampoline_kernelINS0_14default_configENS1_25transform_config_selectorIfLb0EEEZNS1_14transform_implILb0ES3_S5_NS0_18transform_iteratorINS0_17counting_iteratorImlEEZNS1_24adjacent_difference_implIS3_Lb1ELb0EPKfPfN6thrust23THRUST_200600_302600_NS4plusIfEEEE10hipError_tPvRmT2_T3_mT4_P12ihipStream_tbEUlmE_fEESD_NS0_8identityIvEEEESI_SL_SM_mSN_SP_bEUlT_E_NS1_11comp_targetILNS1_3genE3ELNS1_11target_archE908ELNS1_3gpuE7ELNS1_3repE0EEENS1_30default_config_static_selectorELNS0_4arch9wavefront6targetE1EEEvT1_, .Lfunc_end627-_ZN7rocprim17ROCPRIM_400000_NS6detail17trampoline_kernelINS0_14default_configENS1_25transform_config_selectorIfLb0EEEZNS1_14transform_implILb0ES3_S5_NS0_18transform_iteratorINS0_17counting_iteratorImlEEZNS1_24adjacent_difference_implIS3_Lb1ELb0EPKfPfN6thrust23THRUST_200600_302600_NS4plusIfEEEE10hipError_tPvRmT2_T3_mT4_P12ihipStream_tbEUlmE_fEESD_NS0_8identityIvEEEESI_SL_SM_mSN_SP_bEUlT_E_NS1_11comp_targetILNS1_3genE3ELNS1_11target_archE908ELNS1_3gpuE7ELNS1_3repE0EEENS1_30default_config_static_selectorELNS0_4arch9wavefront6targetE1EEEvT1_
                                        ; -- End function
	.section	.AMDGPU.csdata,"",@progbits
; Kernel info:
; codeLenInByte = 0
; NumSgprs: 4
; NumVgprs: 0
; NumAgprs: 0
; TotalNumVgprs: 0
; ScratchSize: 0
; MemoryBound: 0
; FloatMode: 240
; IeeeMode: 1
; LDSByteSize: 0 bytes/workgroup (compile time only)
; SGPRBlocks: 0
; VGPRBlocks: 0
; NumSGPRsForWavesPerEU: 4
; NumVGPRsForWavesPerEU: 1
; AccumOffset: 4
; Occupancy: 8
; WaveLimiterHint : 0
; COMPUTE_PGM_RSRC2:SCRATCH_EN: 0
; COMPUTE_PGM_RSRC2:USER_SGPR: 6
; COMPUTE_PGM_RSRC2:TRAP_HANDLER: 0
; COMPUTE_PGM_RSRC2:TGID_X_EN: 1
; COMPUTE_PGM_RSRC2:TGID_Y_EN: 0
; COMPUTE_PGM_RSRC2:TGID_Z_EN: 0
; COMPUTE_PGM_RSRC2:TIDIG_COMP_CNT: 0
; COMPUTE_PGM_RSRC3_GFX90A:ACCUM_OFFSET: 0
; COMPUTE_PGM_RSRC3_GFX90A:TG_SPLIT: 0
	.section	.text._ZN7rocprim17ROCPRIM_400000_NS6detail17trampoline_kernelINS0_14default_configENS1_25transform_config_selectorIfLb0EEEZNS1_14transform_implILb0ES3_S5_NS0_18transform_iteratorINS0_17counting_iteratorImlEEZNS1_24adjacent_difference_implIS3_Lb1ELb0EPKfPfN6thrust23THRUST_200600_302600_NS4plusIfEEEE10hipError_tPvRmT2_T3_mT4_P12ihipStream_tbEUlmE_fEESD_NS0_8identityIvEEEESI_SL_SM_mSN_SP_bEUlT_E_NS1_11comp_targetILNS1_3genE2ELNS1_11target_archE906ELNS1_3gpuE6ELNS1_3repE0EEENS1_30default_config_static_selectorELNS0_4arch9wavefront6targetE1EEEvT1_,"axG",@progbits,_ZN7rocprim17ROCPRIM_400000_NS6detail17trampoline_kernelINS0_14default_configENS1_25transform_config_selectorIfLb0EEEZNS1_14transform_implILb0ES3_S5_NS0_18transform_iteratorINS0_17counting_iteratorImlEEZNS1_24adjacent_difference_implIS3_Lb1ELb0EPKfPfN6thrust23THRUST_200600_302600_NS4plusIfEEEE10hipError_tPvRmT2_T3_mT4_P12ihipStream_tbEUlmE_fEESD_NS0_8identityIvEEEESI_SL_SM_mSN_SP_bEUlT_E_NS1_11comp_targetILNS1_3genE2ELNS1_11target_archE906ELNS1_3gpuE6ELNS1_3repE0EEENS1_30default_config_static_selectorELNS0_4arch9wavefront6targetE1EEEvT1_,comdat
	.protected	_ZN7rocprim17ROCPRIM_400000_NS6detail17trampoline_kernelINS0_14default_configENS1_25transform_config_selectorIfLb0EEEZNS1_14transform_implILb0ES3_S5_NS0_18transform_iteratorINS0_17counting_iteratorImlEEZNS1_24adjacent_difference_implIS3_Lb1ELb0EPKfPfN6thrust23THRUST_200600_302600_NS4plusIfEEEE10hipError_tPvRmT2_T3_mT4_P12ihipStream_tbEUlmE_fEESD_NS0_8identityIvEEEESI_SL_SM_mSN_SP_bEUlT_E_NS1_11comp_targetILNS1_3genE2ELNS1_11target_archE906ELNS1_3gpuE6ELNS1_3repE0EEENS1_30default_config_static_selectorELNS0_4arch9wavefront6targetE1EEEvT1_ ; -- Begin function _ZN7rocprim17ROCPRIM_400000_NS6detail17trampoline_kernelINS0_14default_configENS1_25transform_config_selectorIfLb0EEEZNS1_14transform_implILb0ES3_S5_NS0_18transform_iteratorINS0_17counting_iteratorImlEEZNS1_24adjacent_difference_implIS3_Lb1ELb0EPKfPfN6thrust23THRUST_200600_302600_NS4plusIfEEEE10hipError_tPvRmT2_T3_mT4_P12ihipStream_tbEUlmE_fEESD_NS0_8identityIvEEEESI_SL_SM_mSN_SP_bEUlT_E_NS1_11comp_targetILNS1_3genE2ELNS1_11target_archE906ELNS1_3gpuE6ELNS1_3repE0EEENS1_30default_config_static_selectorELNS0_4arch9wavefront6targetE1EEEvT1_
	.globl	_ZN7rocprim17ROCPRIM_400000_NS6detail17trampoline_kernelINS0_14default_configENS1_25transform_config_selectorIfLb0EEEZNS1_14transform_implILb0ES3_S5_NS0_18transform_iteratorINS0_17counting_iteratorImlEEZNS1_24adjacent_difference_implIS3_Lb1ELb0EPKfPfN6thrust23THRUST_200600_302600_NS4plusIfEEEE10hipError_tPvRmT2_T3_mT4_P12ihipStream_tbEUlmE_fEESD_NS0_8identityIvEEEESI_SL_SM_mSN_SP_bEUlT_E_NS1_11comp_targetILNS1_3genE2ELNS1_11target_archE906ELNS1_3gpuE6ELNS1_3repE0EEENS1_30default_config_static_selectorELNS0_4arch9wavefront6targetE1EEEvT1_
	.p2align	8
	.type	_ZN7rocprim17ROCPRIM_400000_NS6detail17trampoline_kernelINS0_14default_configENS1_25transform_config_selectorIfLb0EEEZNS1_14transform_implILb0ES3_S5_NS0_18transform_iteratorINS0_17counting_iteratorImlEEZNS1_24adjacent_difference_implIS3_Lb1ELb0EPKfPfN6thrust23THRUST_200600_302600_NS4plusIfEEEE10hipError_tPvRmT2_T3_mT4_P12ihipStream_tbEUlmE_fEESD_NS0_8identityIvEEEESI_SL_SM_mSN_SP_bEUlT_E_NS1_11comp_targetILNS1_3genE2ELNS1_11target_archE906ELNS1_3gpuE6ELNS1_3repE0EEENS1_30default_config_static_selectorELNS0_4arch9wavefront6targetE1EEEvT1_,@function
_ZN7rocprim17ROCPRIM_400000_NS6detail17trampoline_kernelINS0_14default_configENS1_25transform_config_selectorIfLb0EEEZNS1_14transform_implILb0ES3_S5_NS0_18transform_iteratorINS0_17counting_iteratorImlEEZNS1_24adjacent_difference_implIS3_Lb1ELb0EPKfPfN6thrust23THRUST_200600_302600_NS4plusIfEEEE10hipError_tPvRmT2_T3_mT4_P12ihipStream_tbEUlmE_fEESD_NS0_8identityIvEEEESI_SL_SM_mSN_SP_bEUlT_E_NS1_11comp_targetILNS1_3genE2ELNS1_11target_archE906ELNS1_3gpuE6ELNS1_3repE0EEENS1_30default_config_static_selectorELNS0_4arch9wavefront6targetE1EEEvT1_: ; @_ZN7rocprim17ROCPRIM_400000_NS6detail17trampoline_kernelINS0_14default_configENS1_25transform_config_selectorIfLb0EEEZNS1_14transform_implILb0ES3_S5_NS0_18transform_iteratorINS0_17counting_iteratorImlEEZNS1_24adjacent_difference_implIS3_Lb1ELb0EPKfPfN6thrust23THRUST_200600_302600_NS4plusIfEEEE10hipError_tPvRmT2_T3_mT4_P12ihipStream_tbEUlmE_fEESD_NS0_8identityIvEEEESI_SL_SM_mSN_SP_bEUlT_E_NS1_11comp_targetILNS1_3genE2ELNS1_11target_archE906ELNS1_3gpuE6ELNS1_3repE0EEENS1_30default_config_static_selectorELNS0_4arch9wavefront6targetE1EEEvT1_
; %bb.0:
	.section	.rodata,"a",@progbits
	.p2align	6, 0x0
	.amdhsa_kernel _ZN7rocprim17ROCPRIM_400000_NS6detail17trampoline_kernelINS0_14default_configENS1_25transform_config_selectorIfLb0EEEZNS1_14transform_implILb0ES3_S5_NS0_18transform_iteratorINS0_17counting_iteratorImlEEZNS1_24adjacent_difference_implIS3_Lb1ELb0EPKfPfN6thrust23THRUST_200600_302600_NS4plusIfEEEE10hipError_tPvRmT2_T3_mT4_P12ihipStream_tbEUlmE_fEESD_NS0_8identityIvEEEESI_SL_SM_mSN_SP_bEUlT_E_NS1_11comp_targetILNS1_3genE2ELNS1_11target_archE906ELNS1_3gpuE6ELNS1_3repE0EEENS1_30default_config_static_selectorELNS0_4arch9wavefront6targetE1EEEvT1_
		.amdhsa_group_segment_fixed_size 0
		.amdhsa_private_segment_fixed_size 0
		.amdhsa_kernarg_size 56
		.amdhsa_user_sgpr_count 6
		.amdhsa_user_sgpr_private_segment_buffer 1
		.amdhsa_user_sgpr_dispatch_ptr 0
		.amdhsa_user_sgpr_queue_ptr 0
		.amdhsa_user_sgpr_kernarg_segment_ptr 1
		.amdhsa_user_sgpr_dispatch_id 0
		.amdhsa_user_sgpr_flat_scratch_init 0
		.amdhsa_user_sgpr_kernarg_preload_length 0
		.amdhsa_user_sgpr_kernarg_preload_offset 0
		.amdhsa_user_sgpr_private_segment_size 0
		.amdhsa_uses_dynamic_stack 0
		.amdhsa_system_sgpr_private_segment_wavefront_offset 0
		.amdhsa_system_sgpr_workgroup_id_x 1
		.amdhsa_system_sgpr_workgroup_id_y 0
		.amdhsa_system_sgpr_workgroup_id_z 0
		.amdhsa_system_sgpr_workgroup_info 0
		.amdhsa_system_vgpr_workitem_id 0
		.amdhsa_next_free_vgpr 1
		.amdhsa_next_free_sgpr 0
		.amdhsa_accum_offset 4
		.amdhsa_reserve_vcc 0
		.amdhsa_reserve_flat_scratch 0
		.amdhsa_float_round_mode_32 0
		.amdhsa_float_round_mode_16_64 0
		.amdhsa_float_denorm_mode_32 3
		.amdhsa_float_denorm_mode_16_64 3
		.amdhsa_dx10_clamp 1
		.amdhsa_ieee_mode 1
		.amdhsa_fp16_overflow 0
		.amdhsa_tg_split 0
		.amdhsa_exception_fp_ieee_invalid_op 0
		.amdhsa_exception_fp_denorm_src 0
		.amdhsa_exception_fp_ieee_div_zero 0
		.amdhsa_exception_fp_ieee_overflow 0
		.amdhsa_exception_fp_ieee_underflow 0
		.amdhsa_exception_fp_ieee_inexact 0
		.amdhsa_exception_int_div_zero 0
	.end_amdhsa_kernel
	.section	.text._ZN7rocprim17ROCPRIM_400000_NS6detail17trampoline_kernelINS0_14default_configENS1_25transform_config_selectorIfLb0EEEZNS1_14transform_implILb0ES3_S5_NS0_18transform_iteratorINS0_17counting_iteratorImlEEZNS1_24adjacent_difference_implIS3_Lb1ELb0EPKfPfN6thrust23THRUST_200600_302600_NS4plusIfEEEE10hipError_tPvRmT2_T3_mT4_P12ihipStream_tbEUlmE_fEESD_NS0_8identityIvEEEESI_SL_SM_mSN_SP_bEUlT_E_NS1_11comp_targetILNS1_3genE2ELNS1_11target_archE906ELNS1_3gpuE6ELNS1_3repE0EEENS1_30default_config_static_selectorELNS0_4arch9wavefront6targetE1EEEvT1_,"axG",@progbits,_ZN7rocprim17ROCPRIM_400000_NS6detail17trampoline_kernelINS0_14default_configENS1_25transform_config_selectorIfLb0EEEZNS1_14transform_implILb0ES3_S5_NS0_18transform_iteratorINS0_17counting_iteratorImlEEZNS1_24adjacent_difference_implIS3_Lb1ELb0EPKfPfN6thrust23THRUST_200600_302600_NS4plusIfEEEE10hipError_tPvRmT2_T3_mT4_P12ihipStream_tbEUlmE_fEESD_NS0_8identityIvEEEESI_SL_SM_mSN_SP_bEUlT_E_NS1_11comp_targetILNS1_3genE2ELNS1_11target_archE906ELNS1_3gpuE6ELNS1_3repE0EEENS1_30default_config_static_selectorELNS0_4arch9wavefront6targetE1EEEvT1_,comdat
.Lfunc_end628:
	.size	_ZN7rocprim17ROCPRIM_400000_NS6detail17trampoline_kernelINS0_14default_configENS1_25transform_config_selectorIfLb0EEEZNS1_14transform_implILb0ES3_S5_NS0_18transform_iteratorINS0_17counting_iteratorImlEEZNS1_24adjacent_difference_implIS3_Lb1ELb0EPKfPfN6thrust23THRUST_200600_302600_NS4plusIfEEEE10hipError_tPvRmT2_T3_mT4_P12ihipStream_tbEUlmE_fEESD_NS0_8identityIvEEEESI_SL_SM_mSN_SP_bEUlT_E_NS1_11comp_targetILNS1_3genE2ELNS1_11target_archE906ELNS1_3gpuE6ELNS1_3repE0EEENS1_30default_config_static_selectorELNS0_4arch9wavefront6targetE1EEEvT1_, .Lfunc_end628-_ZN7rocprim17ROCPRIM_400000_NS6detail17trampoline_kernelINS0_14default_configENS1_25transform_config_selectorIfLb0EEEZNS1_14transform_implILb0ES3_S5_NS0_18transform_iteratorINS0_17counting_iteratorImlEEZNS1_24adjacent_difference_implIS3_Lb1ELb0EPKfPfN6thrust23THRUST_200600_302600_NS4plusIfEEEE10hipError_tPvRmT2_T3_mT4_P12ihipStream_tbEUlmE_fEESD_NS0_8identityIvEEEESI_SL_SM_mSN_SP_bEUlT_E_NS1_11comp_targetILNS1_3genE2ELNS1_11target_archE906ELNS1_3gpuE6ELNS1_3repE0EEENS1_30default_config_static_selectorELNS0_4arch9wavefront6targetE1EEEvT1_
                                        ; -- End function
	.section	.AMDGPU.csdata,"",@progbits
; Kernel info:
; codeLenInByte = 0
; NumSgprs: 4
; NumVgprs: 0
; NumAgprs: 0
; TotalNumVgprs: 0
; ScratchSize: 0
; MemoryBound: 0
; FloatMode: 240
; IeeeMode: 1
; LDSByteSize: 0 bytes/workgroup (compile time only)
; SGPRBlocks: 0
; VGPRBlocks: 0
; NumSGPRsForWavesPerEU: 4
; NumVGPRsForWavesPerEU: 1
; AccumOffset: 4
; Occupancy: 8
; WaveLimiterHint : 0
; COMPUTE_PGM_RSRC2:SCRATCH_EN: 0
; COMPUTE_PGM_RSRC2:USER_SGPR: 6
; COMPUTE_PGM_RSRC2:TRAP_HANDLER: 0
; COMPUTE_PGM_RSRC2:TGID_X_EN: 1
; COMPUTE_PGM_RSRC2:TGID_Y_EN: 0
; COMPUTE_PGM_RSRC2:TGID_Z_EN: 0
; COMPUTE_PGM_RSRC2:TIDIG_COMP_CNT: 0
; COMPUTE_PGM_RSRC3_GFX90A:ACCUM_OFFSET: 0
; COMPUTE_PGM_RSRC3_GFX90A:TG_SPLIT: 0
	.section	.text._ZN7rocprim17ROCPRIM_400000_NS6detail17trampoline_kernelINS0_14default_configENS1_25transform_config_selectorIfLb0EEEZNS1_14transform_implILb0ES3_S5_NS0_18transform_iteratorINS0_17counting_iteratorImlEEZNS1_24adjacent_difference_implIS3_Lb1ELb0EPKfPfN6thrust23THRUST_200600_302600_NS4plusIfEEEE10hipError_tPvRmT2_T3_mT4_P12ihipStream_tbEUlmE_fEESD_NS0_8identityIvEEEESI_SL_SM_mSN_SP_bEUlT_E_NS1_11comp_targetILNS1_3genE10ELNS1_11target_archE1201ELNS1_3gpuE5ELNS1_3repE0EEENS1_30default_config_static_selectorELNS0_4arch9wavefront6targetE1EEEvT1_,"axG",@progbits,_ZN7rocprim17ROCPRIM_400000_NS6detail17trampoline_kernelINS0_14default_configENS1_25transform_config_selectorIfLb0EEEZNS1_14transform_implILb0ES3_S5_NS0_18transform_iteratorINS0_17counting_iteratorImlEEZNS1_24adjacent_difference_implIS3_Lb1ELb0EPKfPfN6thrust23THRUST_200600_302600_NS4plusIfEEEE10hipError_tPvRmT2_T3_mT4_P12ihipStream_tbEUlmE_fEESD_NS0_8identityIvEEEESI_SL_SM_mSN_SP_bEUlT_E_NS1_11comp_targetILNS1_3genE10ELNS1_11target_archE1201ELNS1_3gpuE5ELNS1_3repE0EEENS1_30default_config_static_selectorELNS0_4arch9wavefront6targetE1EEEvT1_,comdat
	.protected	_ZN7rocprim17ROCPRIM_400000_NS6detail17trampoline_kernelINS0_14default_configENS1_25transform_config_selectorIfLb0EEEZNS1_14transform_implILb0ES3_S5_NS0_18transform_iteratorINS0_17counting_iteratorImlEEZNS1_24adjacent_difference_implIS3_Lb1ELb0EPKfPfN6thrust23THRUST_200600_302600_NS4plusIfEEEE10hipError_tPvRmT2_T3_mT4_P12ihipStream_tbEUlmE_fEESD_NS0_8identityIvEEEESI_SL_SM_mSN_SP_bEUlT_E_NS1_11comp_targetILNS1_3genE10ELNS1_11target_archE1201ELNS1_3gpuE5ELNS1_3repE0EEENS1_30default_config_static_selectorELNS0_4arch9wavefront6targetE1EEEvT1_ ; -- Begin function _ZN7rocprim17ROCPRIM_400000_NS6detail17trampoline_kernelINS0_14default_configENS1_25transform_config_selectorIfLb0EEEZNS1_14transform_implILb0ES3_S5_NS0_18transform_iteratorINS0_17counting_iteratorImlEEZNS1_24adjacent_difference_implIS3_Lb1ELb0EPKfPfN6thrust23THRUST_200600_302600_NS4plusIfEEEE10hipError_tPvRmT2_T3_mT4_P12ihipStream_tbEUlmE_fEESD_NS0_8identityIvEEEESI_SL_SM_mSN_SP_bEUlT_E_NS1_11comp_targetILNS1_3genE10ELNS1_11target_archE1201ELNS1_3gpuE5ELNS1_3repE0EEENS1_30default_config_static_selectorELNS0_4arch9wavefront6targetE1EEEvT1_
	.globl	_ZN7rocprim17ROCPRIM_400000_NS6detail17trampoline_kernelINS0_14default_configENS1_25transform_config_selectorIfLb0EEEZNS1_14transform_implILb0ES3_S5_NS0_18transform_iteratorINS0_17counting_iteratorImlEEZNS1_24adjacent_difference_implIS3_Lb1ELb0EPKfPfN6thrust23THRUST_200600_302600_NS4plusIfEEEE10hipError_tPvRmT2_T3_mT4_P12ihipStream_tbEUlmE_fEESD_NS0_8identityIvEEEESI_SL_SM_mSN_SP_bEUlT_E_NS1_11comp_targetILNS1_3genE10ELNS1_11target_archE1201ELNS1_3gpuE5ELNS1_3repE0EEENS1_30default_config_static_selectorELNS0_4arch9wavefront6targetE1EEEvT1_
	.p2align	8
	.type	_ZN7rocprim17ROCPRIM_400000_NS6detail17trampoline_kernelINS0_14default_configENS1_25transform_config_selectorIfLb0EEEZNS1_14transform_implILb0ES3_S5_NS0_18transform_iteratorINS0_17counting_iteratorImlEEZNS1_24adjacent_difference_implIS3_Lb1ELb0EPKfPfN6thrust23THRUST_200600_302600_NS4plusIfEEEE10hipError_tPvRmT2_T3_mT4_P12ihipStream_tbEUlmE_fEESD_NS0_8identityIvEEEESI_SL_SM_mSN_SP_bEUlT_E_NS1_11comp_targetILNS1_3genE10ELNS1_11target_archE1201ELNS1_3gpuE5ELNS1_3repE0EEENS1_30default_config_static_selectorELNS0_4arch9wavefront6targetE1EEEvT1_,@function
_ZN7rocprim17ROCPRIM_400000_NS6detail17trampoline_kernelINS0_14default_configENS1_25transform_config_selectorIfLb0EEEZNS1_14transform_implILb0ES3_S5_NS0_18transform_iteratorINS0_17counting_iteratorImlEEZNS1_24adjacent_difference_implIS3_Lb1ELb0EPKfPfN6thrust23THRUST_200600_302600_NS4plusIfEEEE10hipError_tPvRmT2_T3_mT4_P12ihipStream_tbEUlmE_fEESD_NS0_8identityIvEEEESI_SL_SM_mSN_SP_bEUlT_E_NS1_11comp_targetILNS1_3genE10ELNS1_11target_archE1201ELNS1_3gpuE5ELNS1_3repE0EEENS1_30default_config_static_selectorELNS0_4arch9wavefront6targetE1EEEvT1_: ; @_ZN7rocprim17ROCPRIM_400000_NS6detail17trampoline_kernelINS0_14default_configENS1_25transform_config_selectorIfLb0EEEZNS1_14transform_implILb0ES3_S5_NS0_18transform_iteratorINS0_17counting_iteratorImlEEZNS1_24adjacent_difference_implIS3_Lb1ELb0EPKfPfN6thrust23THRUST_200600_302600_NS4plusIfEEEE10hipError_tPvRmT2_T3_mT4_P12ihipStream_tbEUlmE_fEESD_NS0_8identityIvEEEESI_SL_SM_mSN_SP_bEUlT_E_NS1_11comp_targetILNS1_3genE10ELNS1_11target_archE1201ELNS1_3gpuE5ELNS1_3repE0EEENS1_30default_config_static_selectorELNS0_4arch9wavefront6targetE1EEEvT1_
; %bb.0:
	.section	.rodata,"a",@progbits
	.p2align	6, 0x0
	.amdhsa_kernel _ZN7rocprim17ROCPRIM_400000_NS6detail17trampoline_kernelINS0_14default_configENS1_25transform_config_selectorIfLb0EEEZNS1_14transform_implILb0ES3_S5_NS0_18transform_iteratorINS0_17counting_iteratorImlEEZNS1_24adjacent_difference_implIS3_Lb1ELb0EPKfPfN6thrust23THRUST_200600_302600_NS4plusIfEEEE10hipError_tPvRmT2_T3_mT4_P12ihipStream_tbEUlmE_fEESD_NS0_8identityIvEEEESI_SL_SM_mSN_SP_bEUlT_E_NS1_11comp_targetILNS1_3genE10ELNS1_11target_archE1201ELNS1_3gpuE5ELNS1_3repE0EEENS1_30default_config_static_selectorELNS0_4arch9wavefront6targetE1EEEvT1_
		.amdhsa_group_segment_fixed_size 0
		.amdhsa_private_segment_fixed_size 0
		.amdhsa_kernarg_size 56
		.amdhsa_user_sgpr_count 6
		.amdhsa_user_sgpr_private_segment_buffer 1
		.amdhsa_user_sgpr_dispatch_ptr 0
		.amdhsa_user_sgpr_queue_ptr 0
		.amdhsa_user_sgpr_kernarg_segment_ptr 1
		.amdhsa_user_sgpr_dispatch_id 0
		.amdhsa_user_sgpr_flat_scratch_init 0
		.amdhsa_user_sgpr_kernarg_preload_length 0
		.amdhsa_user_sgpr_kernarg_preload_offset 0
		.amdhsa_user_sgpr_private_segment_size 0
		.amdhsa_uses_dynamic_stack 0
		.amdhsa_system_sgpr_private_segment_wavefront_offset 0
		.amdhsa_system_sgpr_workgroup_id_x 1
		.amdhsa_system_sgpr_workgroup_id_y 0
		.amdhsa_system_sgpr_workgroup_id_z 0
		.amdhsa_system_sgpr_workgroup_info 0
		.amdhsa_system_vgpr_workitem_id 0
		.amdhsa_next_free_vgpr 1
		.amdhsa_next_free_sgpr 0
		.amdhsa_accum_offset 4
		.amdhsa_reserve_vcc 0
		.amdhsa_reserve_flat_scratch 0
		.amdhsa_float_round_mode_32 0
		.amdhsa_float_round_mode_16_64 0
		.amdhsa_float_denorm_mode_32 3
		.amdhsa_float_denorm_mode_16_64 3
		.amdhsa_dx10_clamp 1
		.amdhsa_ieee_mode 1
		.amdhsa_fp16_overflow 0
		.amdhsa_tg_split 0
		.amdhsa_exception_fp_ieee_invalid_op 0
		.amdhsa_exception_fp_denorm_src 0
		.amdhsa_exception_fp_ieee_div_zero 0
		.amdhsa_exception_fp_ieee_overflow 0
		.amdhsa_exception_fp_ieee_underflow 0
		.amdhsa_exception_fp_ieee_inexact 0
		.amdhsa_exception_int_div_zero 0
	.end_amdhsa_kernel
	.section	.text._ZN7rocprim17ROCPRIM_400000_NS6detail17trampoline_kernelINS0_14default_configENS1_25transform_config_selectorIfLb0EEEZNS1_14transform_implILb0ES3_S5_NS0_18transform_iteratorINS0_17counting_iteratorImlEEZNS1_24adjacent_difference_implIS3_Lb1ELb0EPKfPfN6thrust23THRUST_200600_302600_NS4plusIfEEEE10hipError_tPvRmT2_T3_mT4_P12ihipStream_tbEUlmE_fEESD_NS0_8identityIvEEEESI_SL_SM_mSN_SP_bEUlT_E_NS1_11comp_targetILNS1_3genE10ELNS1_11target_archE1201ELNS1_3gpuE5ELNS1_3repE0EEENS1_30default_config_static_selectorELNS0_4arch9wavefront6targetE1EEEvT1_,"axG",@progbits,_ZN7rocprim17ROCPRIM_400000_NS6detail17trampoline_kernelINS0_14default_configENS1_25transform_config_selectorIfLb0EEEZNS1_14transform_implILb0ES3_S5_NS0_18transform_iteratorINS0_17counting_iteratorImlEEZNS1_24adjacent_difference_implIS3_Lb1ELb0EPKfPfN6thrust23THRUST_200600_302600_NS4plusIfEEEE10hipError_tPvRmT2_T3_mT4_P12ihipStream_tbEUlmE_fEESD_NS0_8identityIvEEEESI_SL_SM_mSN_SP_bEUlT_E_NS1_11comp_targetILNS1_3genE10ELNS1_11target_archE1201ELNS1_3gpuE5ELNS1_3repE0EEENS1_30default_config_static_selectorELNS0_4arch9wavefront6targetE1EEEvT1_,comdat
.Lfunc_end629:
	.size	_ZN7rocprim17ROCPRIM_400000_NS6detail17trampoline_kernelINS0_14default_configENS1_25transform_config_selectorIfLb0EEEZNS1_14transform_implILb0ES3_S5_NS0_18transform_iteratorINS0_17counting_iteratorImlEEZNS1_24adjacent_difference_implIS3_Lb1ELb0EPKfPfN6thrust23THRUST_200600_302600_NS4plusIfEEEE10hipError_tPvRmT2_T3_mT4_P12ihipStream_tbEUlmE_fEESD_NS0_8identityIvEEEESI_SL_SM_mSN_SP_bEUlT_E_NS1_11comp_targetILNS1_3genE10ELNS1_11target_archE1201ELNS1_3gpuE5ELNS1_3repE0EEENS1_30default_config_static_selectorELNS0_4arch9wavefront6targetE1EEEvT1_, .Lfunc_end629-_ZN7rocprim17ROCPRIM_400000_NS6detail17trampoline_kernelINS0_14default_configENS1_25transform_config_selectorIfLb0EEEZNS1_14transform_implILb0ES3_S5_NS0_18transform_iteratorINS0_17counting_iteratorImlEEZNS1_24adjacent_difference_implIS3_Lb1ELb0EPKfPfN6thrust23THRUST_200600_302600_NS4plusIfEEEE10hipError_tPvRmT2_T3_mT4_P12ihipStream_tbEUlmE_fEESD_NS0_8identityIvEEEESI_SL_SM_mSN_SP_bEUlT_E_NS1_11comp_targetILNS1_3genE10ELNS1_11target_archE1201ELNS1_3gpuE5ELNS1_3repE0EEENS1_30default_config_static_selectorELNS0_4arch9wavefront6targetE1EEEvT1_
                                        ; -- End function
	.section	.AMDGPU.csdata,"",@progbits
; Kernel info:
; codeLenInByte = 0
; NumSgprs: 4
; NumVgprs: 0
; NumAgprs: 0
; TotalNumVgprs: 0
; ScratchSize: 0
; MemoryBound: 0
; FloatMode: 240
; IeeeMode: 1
; LDSByteSize: 0 bytes/workgroup (compile time only)
; SGPRBlocks: 0
; VGPRBlocks: 0
; NumSGPRsForWavesPerEU: 4
; NumVGPRsForWavesPerEU: 1
; AccumOffset: 4
; Occupancy: 8
; WaveLimiterHint : 0
; COMPUTE_PGM_RSRC2:SCRATCH_EN: 0
; COMPUTE_PGM_RSRC2:USER_SGPR: 6
; COMPUTE_PGM_RSRC2:TRAP_HANDLER: 0
; COMPUTE_PGM_RSRC2:TGID_X_EN: 1
; COMPUTE_PGM_RSRC2:TGID_Y_EN: 0
; COMPUTE_PGM_RSRC2:TGID_Z_EN: 0
; COMPUTE_PGM_RSRC2:TIDIG_COMP_CNT: 0
; COMPUTE_PGM_RSRC3_GFX90A:ACCUM_OFFSET: 0
; COMPUTE_PGM_RSRC3_GFX90A:TG_SPLIT: 0
	.section	.text._ZN7rocprim17ROCPRIM_400000_NS6detail17trampoline_kernelINS0_14default_configENS1_25transform_config_selectorIfLb0EEEZNS1_14transform_implILb0ES3_S5_NS0_18transform_iteratorINS0_17counting_iteratorImlEEZNS1_24adjacent_difference_implIS3_Lb1ELb0EPKfPfN6thrust23THRUST_200600_302600_NS4plusIfEEEE10hipError_tPvRmT2_T3_mT4_P12ihipStream_tbEUlmE_fEESD_NS0_8identityIvEEEESI_SL_SM_mSN_SP_bEUlT_E_NS1_11comp_targetILNS1_3genE10ELNS1_11target_archE1200ELNS1_3gpuE4ELNS1_3repE0EEENS1_30default_config_static_selectorELNS0_4arch9wavefront6targetE1EEEvT1_,"axG",@progbits,_ZN7rocprim17ROCPRIM_400000_NS6detail17trampoline_kernelINS0_14default_configENS1_25transform_config_selectorIfLb0EEEZNS1_14transform_implILb0ES3_S5_NS0_18transform_iteratorINS0_17counting_iteratorImlEEZNS1_24adjacent_difference_implIS3_Lb1ELb0EPKfPfN6thrust23THRUST_200600_302600_NS4plusIfEEEE10hipError_tPvRmT2_T3_mT4_P12ihipStream_tbEUlmE_fEESD_NS0_8identityIvEEEESI_SL_SM_mSN_SP_bEUlT_E_NS1_11comp_targetILNS1_3genE10ELNS1_11target_archE1200ELNS1_3gpuE4ELNS1_3repE0EEENS1_30default_config_static_selectorELNS0_4arch9wavefront6targetE1EEEvT1_,comdat
	.protected	_ZN7rocprim17ROCPRIM_400000_NS6detail17trampoline_kernelINS0_14default_configENS1_25transform_config_selectorIfLb0EEEZNS1_14transform_implILb0ES3_S5_NS0_18transform_iteratorINS0_17counting_iteratorImlEEZNS1_24adjacent_difference_implIS3_Lb1ELb0EPKfPfN6thrust23THRUST_200600_302600_NS4plusIfEEEE10hipError_tPvRmT2_T3_mT4_P12ihipStream_tbEUlmE_fEESD_NS0_8identityIvEEEESI_SL_SM_mSN_SP_bEUlT_E_NS1_11comp_targetILNS1_3genE10ELNS1_11target_archE1200ELNS1_3gpuE4ELNS1_3repE0EEENS1_30default_config_static_selectorELNS0_4arch9wavefront6targetE1EEEvT1_ ; -- Begin function _ZN7rocprim17ROCPRIM_400000_NS6detail17trampoline_kernelINS0_14default_configENS1_25transform_config_selectorIfLb0EEEZNS1_14transform_implILb0ES3_S5_NS0_18transform_iteratorINS0_17counting_iteratorImlEEZNS1_24adjacent_difference_implIS3_Lb1ELb0EPKfPfN6thrust23THRUST_200600_302600_NS4plusIfEEEE10hipError_tPvRmT2_T3_mT4_P12ihipStream_tbEUlmE_fEESD_NS0_8identityIvEEEESI_SL_SM_mSN_SP_bEUlT_E_NS1_11comp_targetILNS1_3genE10ELNS1_11target_archE1200ELNS1_3gpuE4ELNS1_3repE0EEENS1_30default_config_static_selectorELNS0_4arch9wavefront6targetE1EEEvT1_
	.globl	_ZN7rocprim17ROCPRIM_400000_NS6detail17trampoline_kernelINS0_14default_configENS1_25transform_config_selectorIfLb0EEEZNS1_14transform_implILb0ES3_S5_NS0_18transform_iteratorINS0_17counting_iteratorImlEEZNS1_24adjacent_difference_implIS3_Lb1ELb0EPKfPfN6thrust23THRUST_200600_302600_NS4plusIfEEEE10hipError_tPvRmT2_T3_mT4_P12ihipStream_tbEUlmE_fEESD_NS0_8identityIvEEEESI_SL_SM_mSN_SP_bEUlT_E_NS1_11comp_targetILNS1_3genE10ELNS1_11target_archE1200ELNS1_3gpuE4ELNS1_3repE0EEENS1_30default_config_static_selectorELNS0_4arch9wavefront6targetE1EEEvT1_
	.p2align	8
	.type	_ZN7rocprim17ROCPRIM_400000_NS6detail17trampoline_kernelINS0_14default_configENS1_25transform_config_selectorIfLb0EEEZNS1_14transform_implILb0ES3_S5_NS0_18transform_iteratorINS0_17counting_iteratorImlEEZNS1_24adjacent_difference_implIS3_Lb1ELb0EPKfPfN6thrust23THRUST_200600_302600_NS4plusIfEEEE10hipError_tPvRmT2_T3_mT4_P12ihipStream_tbEUlmE_fEESD_NS0_8identityIvEEEESI_SL_SM_mSN_SP_bEUlT_E_NS1_11comp_targetILNS1_3genE10ELNS1_11target_archE1200ELNS1_3gpuE4ELNS1_3repE0EEENS1_30default_config_static_selectorELNS0_4arch9wavefront6targetE1EEEvT1_,@function
_ZN7rocprim17ROCPRIM_400000_NS6detail17trampoline_kernelINS0_14default_configENS1_25transform_config_selectorIfLb0EEEZNS1_14transform_implILb0ES3_S5_NS0_18transform_iteratorINS0_17counting_iteratorImlEEZNS1_24adjacent_difference_implIS3_Lb1ELb0EPKfPfN6thrust23THRUST_200600_302600_NS4plusIfEEEE10hipError_tPvRmT2_T3_mT4_P12ihipStream_tbEUlmE_fEESD_NS0_8identityIvEEEESI_SL_SM_mSN_SP_bEUlT_E_NS1_11comp_targetILNS1_3genE10ELNS1_11target_archE1200ELNS1_3gpuE4ELNS1_3repE0EEENS1_30default_config_static_selectorELNS0_4arch9wavefront6targetE1EEEvT1_: ; @_ZN7rocprim17ROCPRIM_400000_NS6detail17trampoline_kernelINS0_14default_configENS1_25transform_config_selectorIfLb0EEEZNS1_14transform_implILb0ES3_S5_NS0_18transform_iteratorINS0_17counting_iteratorImlEEZNS1_24adjacent_difference_implIS3_Lb1ELb0EPKfPfN6thrust23THRUST_200600_302600_NS4plusIfEEEE10hipError_tPvRmT2_T3_mT4_P12ihipStream_tbEUlmE_fEESD_NS0_8identityIvEEEESI_SL_SM_mSN_SP_bEUlT_E_NS1_11comp_targetILNS1_3genE10ELNS1_11target_archE1200ELNS1_3gpuE4ELNS1_3repE0EEENS1_30default_config_static_selectorELNS0_4arch9wavefront6targetE1EEEvT1_
; %bb.0:
	.section	.rodata,"a",@progbits
	.p2align	6, 0x0
	.amdhsa_kernel _ZN7rocprim17ROCPRIM_400000_NS6detail17trampoline_kernelINS0_14default_configENS1_25transform_config_selectorIfLb0EEEZNS1_14transform_implILb0ES3_S5_NS0_18transform_iteratorINS0_17counting_iteratorImlEEZNS1_24adjacent_difference_implIS3_Lb1ELb0EPKfPfN6thrust23THRUST_200600_302600_NS4plusIfEEEE10hipError_tPvRmT2_T3_mT4_P12ihipStream_tbEUlmE_fEESD_NS0_8identityIvEEEESI_SL_SM_mSN_SP_bEUlT_E_NS1_11comp_targetILNS1_3genE10ELNS1_11target_archE1200ELNS1_3gpuE4ELNS1_3repE0EEENS1_30default_config_static_selectorELNS0_4arch9wavefront6targetE1EEEvT1_
		.amdhsa_group_segment_fixed_size 0
		.amdhsa_private_segment_fixed_size 0
		.amdhsa_kernarg_size 56
		.amdhsa_user_sgpr_count 6
		.amdhsa_user_sgpr_private_segment_buffer 1
		.amdhsa_user_sgpr_dispatch_ptr 0
		.amdhsa_user_sgpr_queue_ptr 0
		.amdhsa_user_sgpr_kernarg_segment_ptr 1
		.amdhsa_user_sgpr_dispatch_id 0
		.amdhsa_user_sgpr_flat_scratch_init 0
		.amdhsa_user_sgpr_kernarg_preload_length 0
		.amdhsa_user_sgpr_kernarg_preload_offset 0
		.amdhsa_user_sgpr_private_segment_size 0
		.amdhsa_uses_dynamic_stack 0
		.amdhsa_system_sgpr_private_segment_wavefront_offset 0
		.amdhsa_system_sgpr_workgroup_id_x 1
		.amdhsa_system_sgpr_workgroup_id_y 0
		.amdhsa_system_sgpr_workgroup_id_z 0
		.amdhsa_system_sgpr_workgroup_info 0
		.amdhsa_system_vgpr_workitem_id 0
		.amdhsa_next_free_vgpr 1
		.amdhsa_next_free_sgpr 0
		.amdhsa_accum_offset 4
		.amdhsa_reserve_vcc 0
		.amdhsa_reserve_flat_scratch 0
		.amdhsa_float_round_mode_32 0
		.amdhsa_float_round_mode_16_64 0
		.amdhsa_float_denorm_mode_32 3
		.amdhsa_float_denorm_mode_16_64 3
		.amdhsa_dx10_clamp 1
		.amdhsa_ieee_mode 1
		.amdhsa_fp16_overflow 0
		.amdhsa_tg_split 0
		.amdhsa_exception_fp_ieee_invalid_op 0
		.amdhsa_exception_fp_denorm_src 0
		.amdhsa_exception_fp_ieee_div_zero 0
		.amdhsa_exception_fp_ieee_overflow 0
		.amdhsa_exception_fp_ieee_underflow 0
		.amdhsa_exception_fp_ieee_inexact 0
		.amdhsa_exception_int_div_zero 0
	.end_amdhsa_kernel
	.section	.text._ZN7rocprim17ROCPRIM_400000_NS6detail17trampoline_kernelINS0_14default_configENS1_25transform_config_selectorIfLb0EEEZNS1_14transform_implILb0ES3_S5_NS0_18transform_iteratorINS0_17counting_iteratorImlEEZNS1_24adjacent_difference_implIS3_Lb1ELb0EPKfPfN6thrust23THRUST_200600_302600_NS4plusIfEEEE10hipError_tPvRmT2_T3_mT4_P12ihipStream_tbEUlmE_fEESD_NS0_8identityIvEEEESI_SL_SM_mSN_SP_bEUlT_E_NS1_11comp_targetILNS1_3genE10ELNS1_11target_archE1200ELNS1_3gpuE4ELNS1_3repE0EEENS1_30default_config_static_selectorELNS0_4arch9wavefront6targetE1EEEvT1_,"axG",@progbits,_ZN7rocprim17ROCPRIM_400000_NS6detail17trampoline_kernelINS0_14default_configENS1_25transform_config_selectorIfLb0EEEZNS1_14transform_implILb0ES3_S5_NS0_18transform_iteratorINS0_17counting_iteratorImlEEZNS1_24adjacent_difference_implIS3_Lb1ELb0EPKfPfN6thrust23THRUST_200600_302600_NS4plusIfEEEE10hipError_tPvRmT2_T3_mT4_P12ihipStream_tbEUlmE_fEESD_NS0_8identityIvEEEESI_SL_SM_mSN_SP_bEUlT_E_NS1_11comp_targetILNS1_3genE10ELNS1_11target_archE1200ELNS1_3gpuE4ELNS1_3repE0EEENS1_30default_config_static_selectorELNS0_4arch9wavefront6targetE1EEEvT1_,comdat
.Lfunc_end630:
	.size	_ZN7rocprim17ROCPRIM_400000_NS6detail17trampoline_kernelINS0_14default_configENS1_25transform_config_selectorIfLb0EEEZNS1_14transform_implILb0ES3_S5_NS0_18transform_iteratorINS0_17counting_iteratorImlEEZNS1_24adjacent_difference_implIS3_Lb1ELb0EPKfPfN6thrust23THRUST_200600_302600_NS4plusIfEEEE10hipError_tPvRmT2_T3_mT4_P12ihipStream_tbEUlmE_fEESD_NS0_8identityIvEEEESI_SL_SM_mSN_SP_bEUlT_E_NS1_11comp_targetILNS1_3genE10ELNS1_11target_archE1200ELNS1_3gpuE4ELNS1_3repE0EEENS1_30default_config_static_selectorELNS0_4arch9wavefront6targetE1EEEvT1_, .Lfunc_end630-_ZN7rocprim17ROCPRIM_400000_NS6detail17trampoline_kernelINS0_14default_configENS1_25transform_config_selectorIfLb0EEEZNS1_14transform_implILb0ES3_S5_NS0_18transform_iteratorINS0_17counting_iteratorImlEEZNS1_24adjacent_difference_implIS3_Lb1ELb0EPKfPfN6thrust23THRUST_200600_302600_NS4plusIfEEEE10hipError_tPvRmT2_T3_mT4_P12ihipStream_tbEUlmE_fEESD_NS0_8identityIvEEEESI_SL_SM_mSN_SP_bEUlT_E_NS1_11comp_targetILNS1_3genE10ELNS1_11target_archE1200ELNS1_3gpuE4ELNS1_3repE0EEENS1_30default_config_static_selectorELNS0_4arch9wavefront6targetE1EEEvT1_
                                        ; -- End function
	.section	.AMDGPU.csdata,"",@progbits
; Kernel info:
; codeLenInByte = 0
; NumSgprs: 4
; NumVgprs: 0
; NumAgprs: 0
; TotalNumVgprs: 0
; ScratchSize: 0
; MemoryBound: 0
; FloatMode: 240
; IeeeMode: 1
; LDSByteSize: 0 bytes/workgroup (compile time only)
; SGPRBlocks: 0
; VGPRBlocks: 0
; NumSGPRsForWavesPerEU: 4
; NumVGPRsForWavesPerEU: 1
; AccumOffset: 4
; Occupancy: 8
; WaveLimiterHint : 0
; COMPUTE_PGM_RSRC2:SCRATCH_EN: 0
; COMPUTE_PGM_RSRC2:USER_SGPR: 6
; COMPUTE_PGM_RSRC2:TRAP_HANDLER: 0
; COMPUTE_PGM_RSRC2:TGID_X_EN: 1
; COMPUTE_PGM_RSRC2:TGID_Y_EN: 0
; COMPUTE_PGM_RSRC2:TGID_Z_EN: 0
; COMPUTE_PGM_RSRC2:TIDIG_COMP_CNT: 0
; COMPUTE_PGM_RSRC3_GFX90A:ACCUM_OFFSET: 0
; COMPUTE_PGM_RSRC3_GFX90A:TG_SPLIT: 0
	.section	.text._ZN7rocprim17ROCPRIM_400000_NS6detail17trampoline_kernelINS0_14default_configENS1_25transform_config_selectorIfLb0EEEZNS1_14transform_implILb0ES3_S5_NS0_18transform_iteratorINS0_17counting_iteratorImlEEZNS1_24adjacent_difference_implIS3_Lb1ELb0EPKfPfN6thrust23THRUST_200600_302600_NS4plusIfEEEE10hipError_tPvRmT2_T3_mT4_P12ihipStream_tbEUlmE_fEESD_NS0_8identityIvEEEESI_SL_SM_mSN_SP_bEUlT_E_NS1_11comp_targetILNS1_3genE9ELNS1_11target_archE1100ELNS1_3gpuE3ELNS1_3repE0EEENS1_30default_config_static_selectorELNS0_4arch9wavefront6targetE1EEEvT1_,"axG",@progbits,_ZN7rocprim17ROCPRIM_400000_NS6detail17trampoline_kernelINS0_14default_configENS1_25transform_config_selectorIfLb0EEEZNS1_14transform_implILb0ES3_S5_NS0_18transform_iteratorINS0_17counting_iteratorImlEEZNS1_24adjacent_difference_implIS3_Lb1ELb0EPKfPfN6thrust23THRUST_200600_302600_NS4plusIfEEEE10hipError_tPvRmT2_T3_mT4_P12ihipStream_tbEUlmE_fEESD_NS0_8identityIvEEEESI_SL_SM_mSN_SP_bEUlT_E_NS1_11comp_targetILNS1_3genE9ELNS1_11target_archE1100ELNS1_3gpuE3ELNS1_3repE0EEENS1_30default_config_static_selectorELNS0_4arch9wavefront6targetE1EEEvT1_,comdat
	.protected	_ZN7rocprim17ROCPRIM_400000_NS6detail17trampoline_kernelINS0_14default_configENS1_25transform_config_selectorIfLb0EEEZNS1_14transform_implILb0ES3_S5_NS0_18transform_iteratorINS0_17counting_iteratorImlEEZNS1_24adjacent_difference_implIS3_Lb1ELb0EPKfPfN6thrust23THRUST_200600_302600_NS4plusIfEEEE10hipError_tPvRmT2_T3_mT4_P12ihipStream_tbEUlmE_fEESD_NS0_8identityIvEEEESI_SL_SM_mSN_SP_bEUlT_E_NS1_11comp_targetILNS1_3genE9ELNS1_11target_archE1100ELNS1_3gpuE3ELNS1_3repE0EEENS1_30default_config_static_selectorELNS0_4arch9wavefront6targetE1EEEvT1_ ; -- Begin function _ZN7rocprim17ROCPRIM_400000_NS6detail17trampoline_kernelINS0_14default_configENS1_25transform_config_selectorIfLb0EEEZNS1_14transform_implILb0ES3_S5_NS0_18transform_iteratorINS0_17counting_iteratorImlEEZNS1_24adjacent_difference_implIS3_Lb1ELb0EPKfPfN6thrust23THRUST_200600_302600_NS4plusIfEEEE10hipError_tPvRmT2_T3_mT4_P12ihipStream_tbEUlmE_fEESD_NS0_8identityIvEEEESI_SL_SM_mSN_SP_bEUlT_E_NS1_11comp_targetILNS1_3genE9ELNS1_11target_archE1100ELNS1_3gpuE3ELNS1_3repE0EEENS1_30default_config_static_selectorELNS0_4arch9wavefront6targetE1EEEvT1_
	.globl	_ZN7rocprim17ROCPRIM_400000_NS6detail17trampoline_kernelINS0_14default_configENS1_25transform_config_selectorIfLb0EEEZNS1_14transform_implILb0ES3_S5_NS0_18transform_iteratorINS0_17counting_iteratorImlEEZNS1_24adjacent_difference_implIS3_Lb1ELb0EPKfPfN6thrust23THRUST_200600_302600_NS4plusIfEEEE10hipError_tPvRmT2_T3_mT4_P12ihipStream_tbEUlmE_fEESD_NS0_8identityIvEEEESI_SL_SM_mSN_SP_bEUlT_E_NS1_11comp_targetILNS1_3genE9ELNS1_11target_archE1100ELNS1_3gpuE3ELNS1_3repE0EEENS1_30default_config_static_selectorELNS0_4arch9wavefront6targetE1EEEvT1_
	.p2align	8
	.type	_ZN7rocprim17ROCPRIM_400000_NS6detail17trampoline_kernelINS0_14default_configENS1_25transform_config_selectorIfLb0EEEZNS1_14transform_implILb0ES3_S5_NS0_18transform_iteratorINS0_17counting_iteratorImlEEZNS1_24adjacent_difference_implIS3_Lb1ELb0EPKfPfN6thrust23THRUST_200600_302600_NS4plusIfEEEE10hipError_tPvRmT2_T3_mT4_P12ihipStream_tbEUlmE_fEESD_NS0_8identityIvEEEESI_SL_SM_mSN_SP_bEUlT_E_NS1_11comp_targetILNS1_3genE9ELNS1_11target_archE1100ELNS1_3gpuE3ELNS1_3repE0EEENS1_30default_config_static_selectorELNS0_4arch9wavefront6targetE1EEEvT1_,@function
_ZN7rocprim17ROCPRIM_400000_NS6detail17trampoline_kernelINS0_14default_configENS1_25transform_config_selectorIfLb0EEEZNS1_14transform_implILb0ES3_S5_NS0_18transform_iteratorINS0_17counting_iteratorImlEEZNS1_24adjacent_difference_implIS3_Lb1ELb0EPKfPfN6thrust23THRUST_200600_302600_NS4plusIfEEEE10hipError_tPvRmT2_T3_mT4_P12ihipStream_tbEUlmE_fEESD_NS0_8identityIvEEEESI_SL_SM_mSN_SP_bEUlT_E_NS1_11comp_targetILNS1_3genE9ELNS1_11target_archE1100ELNS1_3gpuE3ELNS1_3repE0EEENS1_30default_config_static_selectorELNS0_4arch9wavefront6targetE1EEEvT1_: ; @_ZN7rocprim17ROCPRIM_400000_NS6detail17trampoline_kernelINS0_14default_configENS1_25transform_config_selectorIfLb0EEEZNS1_14transform_implILb0ES3_S5_NS0_18transform_iteratorINS0_17counting_iteratorImlEEZNS1_24adjacent_difference_implIS3_Lb1ELb0EPKfPfN6thrust23THRUST_200600_302600_NS4plusIfEEEE10hipError_tPvRmT2_T3_mT4_P12ihipStream_tbEUlmE_fEESD_NS0_8identityIvEEEESI_SL_SM_mSN_SP_bEUlT_E_NS1_11comp_targetILNS1_3genE9ELNS1_11target_archE1100ELNS1_3gpuE3ELNS1_3repE0EEENS1_30default_config_static_selectorELNS0_4arch9wavefront6targetE1EEEvT1_
; %bb.0:
	.section	.rodata,"a",@progbits
	.p2align	6, 0x0
	.amdhsa_kernel _ZN7rocprim17ROCPRIM_400000_NS6detail17trampoline_kernelINS0_14default_configENS1_25transform_config_selectorIfLb0EEEZNS1_14transform_implILb0ES3_S5_NS0_18transform_iteratorINS0_17counting_iteratorImlEEZNS1_24adjacent_difference_implIS3_Lb1ELb0EPKfPfN6thrust23THRUST_200600_302600_NS4plusIfEEEE10hipError_tPvRmT2_T3_mT4_P12ihipStream_tbEUlmE_fEESD_NS0_8identityIvEEEESI_SL_SM_mSN_SP_bEUlT_E_NS1_11comp_targetILNS1_3genE9ELNS1_11target_archE1100ELNS1_3gpuE3ELNS1_3repE0EEENS1_30default_config_static_selectorELNS0_4arch9wavefront6targetE1EEEvT1_
		.amdhsa_group_segment_fixed_size 0
		.amdhsa_private_segment_fixed_size 0
		.amdhsa_kernarg_size 56
		.amdhsa_user_sgpr_count 6
		.amdhsa_user_sgpr_private_segment_buffer 1
		.amdhsa_user_sgpr_dispatch_ptr 0
		.amdhsa_user_sgpr_queue_ptr 0
		.amdhsa_user_sgpr_kernarg_segment_ptr 1
		.amdhsa_user_sgpr_dispatch_id 0
		.amdhsa_user_sgpr_flat_scratch_init 0
		.amdhsa_user_sgpr_kernarg_preload_length 0
		.amdhsa_user_sgpr_kernarg_preload_offset 0
		.amdhsa_user_sgpr_private_segment_size 0
		.amdhsa_uses_dynamic_stack 0
		.amdhsa_system_sgpr_private_segment_wavefront_offset 0
		.amdhsa_system_sgpr_workgroup_id_x 1
		.amdhsa_system_sgpr_workgroup_id_y 0
		.amdhsa_system_sgpr_workgroup_id_z 0
		.amdhsa_system_sgpr_workgroup_info 0
		.amdhsa_system_vgpr_workitem_id 0
		.amdhsa_next_free_vgpr 1
		.amdhsa_next_free_sgpr 0
		.amdhsa_accum_offset 4
		.amdhsa_reserve_vcc 0
		.amdhsa_reserve_flat_scratch 0
		.amdhsa_float_round_mode_32 0
		.amdhsa_float_round_mode_16_64 0
		.amdhsa_float_denorm_mode_32 3
		.amdhsa_float_denorm_mode_16_64 3
		.amdhsa_dx10_clamp 1
		.amdhsa_ieee_mode 1
		.amdhsa_fp16_overflow 0
		.amdhsa_tg_split 0
		.amdhsa_exception_fp_ieee_invalid_op 0
		.amdhsa_exception_fp_denorm_src 0
		.amdhsa_exception_fp_ieee_div_zero 0
		.amdhsa_exception_fp_ieee_overflow 0
		.amdhsa_exception_fp_ieee_underflow 0
		.amdhsa_exception_fp_ieee_inexact 0
		.amdhsa_exception_int_div_zero 0
	.end_amdhsa_kernel
	.section	.text._ZN7rocprim17ROCPRIM_400000_NS6detail17trampoline_kernelINS0_14default_configENS1_25transform_config_selectorIfLb0EEEZNS1_14transform_implILb0ES3_S5_NS0_18transform_iteratorINS0_17counting_iteratorImlEEZNS1_24adjacent_difference_implIS3_Lb1ELb0EPKfPfN6thrust23THRUST_200600_302600_NS4plusIfEEEE10hipError_tPvRmT2_T3_mT4_P12ihipStream_tbEUlmE_fEESD_NS0_8identityIvEEEESI_SL_SM_mSN_SP_bEUlT_E_NS1_11comp_targetILNS1_3genE9ELNS1_11target_archE1100ELNS1_3gpuE3ELNS1_3repE0EEENS1_30default_config_static_selectorELNS0_4arch9wavefront6targetE1EEEvT1_,"axG",@progbits,_ZN7rocprim17ROCPRIM_400000_NS6detail17trampoline_kernelINS0_14default_configENS1_25transform_config_selectorIfLb0EEEZNS1_14transform_implILb0ES3_S5_NS0_18transform_iteratorINS0_17counting_iteratorImlEEZNS1_24adjacent_difference_implIS3_Lb1ELb0EPKfPfN6thrust23THRUST_200600_302600_NS4plusIfEEEE10hipError_tPvRmT2_T3_mT4_P12ihipStream_tbEUlmE_fEESD_NS0_8identityIvEEEESI_SL_SM_mSN_SP_bEUlT_E_NS1_11comp_targetILNS1_3genE9ELNS1_11target_archE1100ELNS1_3gpuE3ELNS1_3repE0EEENS1_30default_config_static_selectorELNS0_4arch9wavefront6targetE1EEEvT1_,comdat
.Lfunc_end631:
	.size	_ZN7rocprim17ROCPRIM_400000_NS6detail17trampoline_kernelINS0_14default_configENS1_25transform_config_selectorIfLb0EEEZNS1_14transform_implILb0ES3_S5_NS0_18transform_iteratorINS0_17counting_iteratorImlEEZNS1_24adjacent_difference_implIS3_Lb1ELb0EPKfPfN6thrust23THRUST_200600_302600_NS4plusIfEEEE10hipError_tPvRmT2_T3_mT4_P12ihipStream_tbEUlmE_fEESD_NS0_8identityIvEEEESI_SL_SM_mSN_SP_bEUlT_E_NS1_11comp_targetILNS1_3genE9ELNS1_11target_archE1100ELNS1_3gpuE3ELNS1_3repE0EEENS1_30default_config_static_selectorELNS0_4arch9wavefront6targetE1EEEvT1_, .Lfunc_end631-_ZN7rocprim17ROCPRIM_400000_NS6detail17trampoline_kernelINS0_14default_configENS1_25transform_config_selectorIfLb0EEEZNS1_14transform_implILb0ES3_S5_NS0_18transform_iteratorINS0_17counting_iteratorImlEEZNS1_24adjacent_difference_implIS3_Lb1ELb0EPKfPfN6thrust23THRUST_200600_302600_NS4plusIfEEEE10hipError_tPvRmT2_T3_mT4_P12ihipStream_tbEUlmE_fEESD_NS0_8identityIvEEEESI_SL_SM_mSN_SP_bEUlT_E_NS1_11comp_targetILNS1_3genE9ELNS1_11target_archE1100ELNS1_3gpuE3ELNS1_3repE0EEENS1_30default_config_static_selectorELNS0_4arch9wavefront6targetE1EEEvT1_
                                        ; -- End function
	.section	.AMDGPU.csdata,"",@progbits
; Kernel info:
; codeLenInByte = 0
; NumSgprs: 4
; NumVgprs: 0
; NumAgprs: 0
; TotalNumVgprs: 0
; ScratchSize: 0
; MemoryBound: 0
; FloatMode: 240
; IeeeMode: 1
; LDSByteSize: 0 bytes/workgroup (compile time only)
; SGPRBlocks: 0
; VGPRBlocks: 0
; NumSGPRsForWavesPerEU: 4
; NumVGPRsForWavesPerEU: 1
; AccumOffset: 4
; Occupancy: 8
; WaveLimiterHint : 0
; COMPUTE_PGM_RSRC2:SCRATCH_EN: 0
; COMPUTE_PGM_RSRC2:USER_SGPR: 6
; COMPUTE_PGM_RSRC2:TRAP_HANDLER: 0
; COMPUTE_PGM_RSRC2:TGID_X_EN: 1
; COMPUTE_PGM_RSRC2:TGID_Y_EN: 0
; COMPUTE_PGM_RSRC2:TGID_Z_EN: 0
; COMPUTE_PGM_RSRC2:TIDIG_COMP_CNT: 0
; COMPUTE_PGM_RSRC3_GFX90A:ACCUM_OFFSET: 0
; COMPUTE_PGM_RSRC3_GFX90A:TG_SPLIT: 0
	.section	.text._ZN7rocprim17ROCPRIM_400000_NS6detail17trampoline_kernelINS0_14default_configENS1_25transform_config_selectorIfLb0EEEZNS1_14transform_implILb0ES3_S5_NS0_18transform_iteratorINS0_17counting_iteratorImlEEZNS1_24adjacent_difference_implIS3_Lb1ELb0EPKfPfN6thrust23THRUST_200600_302600_NS4plusIfEEEE10hipError_tPvRmT2_T3_mT4_P12ihipStream_tbEUlmE_fEESD_NS0_8identityIvEEEESI_SL_SM_mSN_SP_bEUlT_E_NS1_11comp_targetILNS1_3genE8ELNS1_11target_archE1030ELNS1_3gpuE2ELNS1_3repE0EEENS1_30default_config_static_selectorELNS0_4arch9wavefront6targetE1EEEvT1_,"axG",@progbits,_ZN7rocprim17ROCPRIM_400000_NS6detail17trampoline_kernelINS0_14default_configENS1_25transform_config_selectorIfLb0EEEZNS1_14transform_implILb0ES3_S5_NS0_18transform_iteratorINS0_17counting_iteratorImlEEZNS1_24adjacent_difference_implIS3_Lb1ELb0EPKfPfN6thrust23THRUST_200600_302600_NS4plusIfEEEE10hipError_tPvRmT2_T3_mT4_P12ihipStream_tbEUlmE_fEESD_NS0_8identityIvEEEESI_SL_SM_mSN_SP_bEUlT_E_NS1_11comp_targetILNS1_3genE8ELNS1_11target_archE1030ELNS1_3gpuE2ELNS1_3repE0EEENS1_30default_config_static_selectorELNS0_4arch9wavefront6targetE1EEEvT1_,comdat
	.protected	_ZN7rocprim17ROCPRIM_400000_NS6detail17trampoline_kernelINS0_14default_configENS1_25transform_config_selectorIfLb0EEEZNS1_14transform_implILb0ES3_S5_NS0_18transform_iteratorINS0_17counting_iteratorImlEEZNS1_24adjacent_difference_implIS3_Lb1ELb0EPKfPfN6thrust23THRUST_200600_302600_NS4plusIfEEEE10hipError_tPvRmT2_T3_mT4_P12ihipStream_tbEUlmE_fEESD_NS0_8identityIvEEEESI_SL_SM_mSN_SP_bEUlT_E_NS1_11comp_targetILNS1_3genE8ELNS1_11target_archE1030ELNS1_3gpuE2ELNS1_3repE0EEENS1_30default_config_static_selectorELNS0_4arch9wavefront6targetE1EEEvT1_ ; -- Begin function _ZN7rocprim17ROCPRIM_400000_NS6detail17trampoline_kernelINS0_14default_configENS1_25transform_config_selectorIfLb0EEEZNS1_14transform_implILb0ES3_S5_NS0_18transform_iteratorINS0_17counting_iteratorImlEEZNS1_24adjacent_difference_implIS3_Lb1ELb0EPKfPfN6thrust23THRUST_200600_302600_NS4plusIfEEEE10hipError_tPvRmT2_T3_mT4_P12ihipStream_tbEUlmE_fEESD_NS0_8identityIvEEEESI_SL_SM_mSN_SP_bEUlT_E_NS1_11comp_targetILNS1_3genE8ELNS1_11target_archE1030ELNS1_3gpuE2ELNS1_3repE0EEENS1_30default_config_static_selectorELNS0_4arch9wavefront6targetE1EEEvT1_
	.globl	_ZN7rocprim17ROCPRIM_400000_NS6detail17trampoline_kernelINS0_14default_configENS1_25transform_config_selectorIfLb0EEEZNS1_14transform_implILb0ES3_S5_NS0_18transform_iteratorINS0_17counting_iteratorImlEEZNS1_24adjacent_difference_implIS3_Lb1ELb0EPKfPfN6thrust23THRUST_200600_302600_NS4plusIfEEEE10hipError_tPvRmT2_T3_mT4_P12ihipStream_tbEUlmE_fEESD_NS0_8identityIvEEEESI_SL_SM_mSN_SP_bEUlT_E_NS1_11comp_targetILNS1_3genE8ELNS1_11target_archE1030ELNS1_3gpuE2ELNS1_3repE0EEENS1_30default_config_static_selectorELNS0_4arch9wavefront6targetE1EEEvT1_
	.p2align	8
	.type	_ZN7rocprim17ROCPRIM_400000_NS6detail17trampoline_kernelINS0_14default_configENS1_25transform_config_selectorIfLb0EEEZNS1_14transform_implILb0ES3_S5_NS0_18transform_iteratorINS0_17counting_iteratorImlEEZNS1_24adjacent_difference_implIS3_Lb1ELb0EPKfPfN6thrust23THRUST_200600_302600_NS4plusIfEEEE10hipError_tPvRmT2_T3_mT4_P12ihipStream_tbEUlmE_fEESD_NS0_8identityIvEEEESI_SL_SM_mSN_SP_bEUlT_E_NS1_11comp_targetILNS1_3genE8ELNS1_11target_archE1030ELNS1_3gpuE2ELNS1_3repE0EEENS1_30default_config_static_selectorELNS0_4arch9wavefront6targetE1EEEvT1_,@function
_ZN7rocprim17ROCPRIM_400000_NS6detail17trampoline_kernelINS0_14default_configENS1_25transform_config_selectorIfLb0EEEZNS1_14transform_implILb0ES3_S5_NS0_18transform_iteratorINS0_17counting_iteratorImlEEZNS1_24adjacent_difference_implIS3_Lb1ELb0EPKfPfN6thrust23THRUST_200600_302600_NS4plusIfEEEE10hipError_tPvRmT2_T3_mT4_P12ihipStream_tbEUlmE_fEESD_NS0_8identityIvEEEESI_SL_SM_mSN_SP_bEUlT_E_NS1_11comp_targetILNS1_3genE8ELNS1_11target_archE1030ELNS1_3gpuE2ELNS1_3repE0EEENS1_30default_config_static_selectorELNS0_4arch9wavefront6targetE1EEEvT1_: ; @_ZN7rocprim17ROCPRIM_400000_NS6detail17trampoline_kernelINS0_14default_configENS1_25transform_config_selectorIfLb0EEEZNS1_14transform_implILb0ES3_S5_NS0_18transform_iteratorINS0_17counting_iteratorImlEEZNS1_24adjacent_difference_implIS3_Lb1ELb0EPKfPfN6thrust23THRUST_200600_302600_NS4plusIfEEEE10hipError_tPvRmT2_T3_mT4_P12ihipStream_tbEUlmE_fEESD_NS0_8identityIvEEEESI_SL_SM_mSN_SP_bEUlT_E_NS1_11comp_targetILNS1_3genE8ELNS1_11target_archE1030ELNS1_3gpuE2ELNS1_3repE0EEENS1_30default_config_static_selectorELNS0_4arch9wavefront6targetE1EEEvT1_
; %bb.0:
	.section	.rodata,"a",@progbits
	.p2align	6, 0x0
	.amdhsa_kernel _ZN7rocprim17ROCPRIM_400000_NS6detail17trampoline_kernelINS0_14default_configENS1_25transform_config_selectorIfLb0EEEZNS1_14transform_implILb0ES3_S5_NS0_18transform_iteratorINS0_17counting_iteratorImlEEZNS1_24adjacent_difference_implIS3_Lb1ELb0EPKfPfN6thrust23THRUST_200600_302600_NS4plusIfEEEE10hipError_tPvRmT2_T3_mT4_P12ihipStream_tbEUlmE_fEESD_NS0_8identityIvEEEESI_SL_SM_mSN_SP_bEUlT_E_NS1_11comp_targetILNS1_3genE8ELNS1_11target_archE1030ELNS1_3gpuE2ELNS1_3repE0EEENS1_30default_config_static_selectorELNS0_4arch9wavefront6targetE1EEEvT1_
		.amdhsa_group_segment_fixed_size 0
		.amdhsa_private_segment_fixed_size 0
		.amdhsa_kernarg_size 56
		.amdhsa_user_sgpr_count 6
		.amdhsa_user_sgpr_private_segment_buffer 1
		.amdhsa_user_sgpr_dispatch_ptr 0
		.amdhsa_user_sgpr_queue_ptr 0
		.amdhsa_user_sgpr_kernarg_segment_ptr 1
		.amdhsa_user_sgpr_dispatch_id 0
		.amdhsa_user_sgpr_flat_scratch_init 0
		.amdhsa_user_sgpr_kernarg_preload_length 0
		.amdhsa_user_sgpr_kernarg_preload_offset 0
		.amdhsa_user_sgpr_private_segment_size 0
		.amdhsa_uses_dynamic_stack 0
		.amdhsa_system_sgpr_private_segment_wavefront_offset 0
		.amdhsa_system_sgpr_workgroup_id_x 1
		.amdhsa_system_sgpr_workgroup_id_y 0
		.amdhsa_system_sgpr_workgroup_id_z 0
		.amdhsa_system_sgpr_workgroup_info 0
		.amdhsa_system_vgpr_workitem_id 0
		.amdhsa_next_free_vgpr 1
		.amdhsa_next_free_sgpr 0
		.amdhsa_accum_offset 4
		.amdhsa_reserve_vcc 0
		.amdhsa_reserve_flat_scratch 0
		.amdhsa_float_round_mode_32 0
		.amdhsa_float_round_mode_16_64 0
		.amdhsa_float_denorm_mode_32 3
		.amdhsa_float_denorm_mode_16_64 3
		.amdhsa_dx10_clamp 1
		.amdhsa_ieee_mode 1
		.amdhsa_fp16_overflow 0
		.amdhsa_tg_split 0
		.amdhsa_exception_fp_ieee_invalid_op 0
		.amdhsa_exception_fp_denorm_src 0
		.amdhsa_exception_fp_ieee_div_zero 0
		.amdhsa_exception_fp_ieee_overflow 0
		.amdhsa_exception_fp_ieee_underflow 0
		.amdhsa_exception_fp_ieee_inexact 0
		.amdhsa_exception_int_div_zero 0
	.end_amdhsa_kernel
	.section	.text._ZN7rocprim17ROCPRIM_400000_NS6detail17trampoline_kernelINS0_14default_configENS1_25transform_config_selectorIfLb0EEEZNS1_14transform_implILb0ES3_S5_NS0_18transform_iteratorINS0_17counting_iteratorImlEEZNS1_24adjacent_difference_implIS3_Lb1ELb0EPKfPfN6thrust23THRUST_200600_302600_NS4plusIfEEEE10hipError_tPvRmT2_T3_mT4_P12ihipStream_tbEUlmE_fEESD_NS0_8identityIvEEEESI_SL_SM_mSN_SP_bEUlT_E_NS1_11comp_targetILNS1_3genE8ELNS1_11target_archE1030ELNS1_3gpuE2ELNS1_3repE0EEENS1_30default_config_static_selectorELNS0_4arch9wavefront6targetE1EEEvT1_,"axG",@progbits,_ZN7rocprim17ROCPRIM_400000_NS6detail17trampoline_kernelINS0_14default_configENS1_25transform_config_selectorIfLb0EEEZNS1_14transform_implILb0ES3_S5_NS0_18transform_iteratorINS0_17counting_iteratorImlEEZNS1_24adjacent_difference_implIS3_Lb1ELb0EPKfPfN6thrust23THRUST_200600_302600_NS4plusIfEEEE10hipError_tPvRmT2_T3_mT4_P12ihipStream_tbEUlmE_fEESD_NS0_8identityIvEEEESI_SL_SM_mSN_SP_bEUlT_E_NS1_11comp_targetILNS1_3genE8ELNS1_11target_archE1030ELNS1_3gpuE2ELNS1_3repE0EEENS1_30default_config_static_selectorELNS0_4arch9wavefront6targetE1EEEvT1_,comdat
.Lfunc_end632:
	.size	_ZN7rocprim17ROCPRIM_400000_NS6detail17trampoline_kernelINS0_14default_configENS1_25transform_config_selectorIfLb0EEEZNS1_14transform_implILb0ES3_S5_NS0_18transform_iteratorINS0_17counting_iteratorImlEEZNS1_24adjacent_difference_implIS3_Lb1ELb0EPKfPfN6thrust23THRUST_200600_302600_NS4plusIfEEEE10hipError_tPvRmT2_T3_mT4_P12ihipStream_tbEUlmE_fEESD_NS0_8identityIvEEEESI_SL_SM_mSN_SP_bEUlT_E_NS1_11comp_targetILNS1_3genE8ELNS1_11target_archE1030ELNS1_3gpuE2ELNS1_3repE0EEENS1_30default_config_static_selectorELNS0_4arch9wavefront6targetE1EEEvT1_, .Lfunc_end632-_ZN7rocprim17ROCPRIM_400000_NS6detail17trampoline_kernelINS0_14default_configENS1_25transform_config_selectorIfLb0EEEZNS1_14transform_implILb0ES3_S5_NS0_18transform_iteratorINS0_17counting_iteratorImlEEZNS1_24adjacent_difference_implIS3_Lb1ELb0EPKfPfN6thrust23THRUST_200600_302600_NS4plusIfEEEE10hipError_tPvRmT2_T3_mT4_P12ihipStream_tbEUlmE_fEESD_NS0_8identityIvEEEESI_SL_SM_mSN_SP_bEUlT_E_NS1_11comp_targetILNS1_3genE8ELNS1_11target_archE1030ELNS1_3gpuE2ELNS1_3repE0EEENS1_30default_config_static_selectorELNS0_4arch9wavefront6targetE1EEEvT1_
                                        ; -- End function
	.section	.AMDGPU.csdata,"",@progbits
; Kernel info:
; codeLenInByte = 0
; NumSgprs: 4
; NumVgprs: 0
; NumAgprs: 0
; TotalNumVgprs: 0
; ScratchSize: 0
; MemoryBound: 0
; FloatMode: 240
; IeeeMode: 1
; LDSByteSize: 0 bytes/workgroup (compile time only)
; SGPRBlocks: 0
; VGPRBlocks: 0
; NumSGPRsForWavesPerEU: 4
; NumVGPRsForWavesPerEU: 1
; AccumOffset: 4
; Occupancy: 8
; WaveLimiterHint : 0
; COMPUTE_PGM_RSRC2:SCRATCH_EN: 0
; COMPUTE_PGM_RSRC2:USER_SGPR: 6
; COMPUTE_PGM_RSRC2:TRAP_HANDLER: 0
; COMPUTE_PGM_RSRC2:TGID_X_EN: 1
; COMPUTE_PGM_RSRC2:TGID_Y_EN: 0
; COMPUTE_PGM_RSRC2:TGID_Z_EN: 0
; COMPUTE_PGM_RSRC2:TIDIG_COMP_CNT: 0
; COMPUTE_PGM_RSRC3_GFX90A:ACCUM_OFFSET: 0
; COMPUTE_PGM_RSRC3_GFX90A:TG_SPLIT: 0
	.section	.text._ZN7rocprim17ROCPRIM_400000_NS6detail17trampoline_kernelINS0_14default_configENS1_35adjacent_difference_config_selectorILb1EfEEZNS1_24adjacent_difference_implIS3_Lb1ELb0EPKfPfN6thrust23THRUST_200600_302600_NS4plusIfEEEE10hipError_tPvRmT2_T3_mT4_P12ihipStream_tbEUlT_E_NS1_11comp_targetILNS1_3genE0ELNS1_11target_archE4294967295ELNS1_3gpuE0ELNS1_3repE0EEENS1_30default_config_static_selectorELNS0_4arch9wavefront6targetE1EEEvT1_,"axG",@progbits,_ZN7rocprim17ROCPRIM_400000_NS6detail17trampoline_kernelINS0_14default_configENS1_35adjacent_difference_config_selectorILb1EfEEZNS1_24adjacent_difference_implIS3_Lb1ELb0EPKfPfN6thrust23THRUST_200600_302600_NS4plusIfEEEE10hipError_tPvRmT2_T3_mT4_P12ihipStream_tbEUlT_E_NS1_11comp_targetILNS1_3genE0ELNS1_11target_archE4294967295ELNS1_3gpuE0ELNS1_3repE0EEENS1_30default_config_static_selectorELNS0_4arch9wavefront6targetE1EEEvT1_,comdat
	.protected	_ZN7rocprim17ROCPRIM_400000_NS6detail17trampoline_kernelINS0_14default_configENS1_35adjacent_difference_config_selectorILb1EfEEZNS1_24adjacent_difference_implIS3_Lb1ELb0EPKfPfN6thrust23THRUST_200600_302600_NS4plusIfEEEE10hipError_tPvRmT2_T3_mT4_P12ihipStream_tbEUlT_E_NS1_11comp_targetILNS1_3genE0ELNS1_11target_archE4294967295ELNS1_3gpuE0ELNS1_3repE0EEENS1_30default_config_static_selectorELNS0_4arch9wavefront6targetE1EEEvT1_ ; -- Begin function _ZN7rocprim17ROCPRIM_400000_NS6detail17trampoline_kernelINS0_14default_configENS1_35adjacent_difference_config_selectorILb1EfEEZNS1_24adjacent_difference_implIS3_Lb1ELb0EPKfPfN6thrust23THRUST_200600_302600_NS4plusIfEEEE10hipError_tPvRmT2_T3_mT4_P12ihipStream_tbEUlT_E_NS1_11comp_targetILNS1_3genE0ELNS1_11target_archE4294967295ELNS1_3gpuE0ELNS1_3repE0EEENS1_30default_config_static_selectorELNS0_4arch9wavefront6targetE1EEEvT1_
	.globl	_ZN7rocprim17ROCPRIM_400000_NS6detail17trampoline_kernelINS0_14default_configENS1_35adjacent_difference_config_selectorILb1EfEEZNS1_24adjacent_difference_implIS3_Lb1ELb0EPKfPfN6thrust23THRUST_200600_302600_NS4plusIfEEEE10hipError_tPvRmT2_T3_mT4_P12ihipStream_tbEUlT_E_NS1_11comp_targetILNS1_3genE0ELNS1_11target_archE4294967295ELNS1_3gpuE0ELNS1_3repE0EEENS1_30default_config_static_selectorELNS0_4arch9wavefront6targetE1EEEvT1_
	.p2align	8
	.type	_ZN7rocprim17ROCPRIM_400000_NS6detail17trampoline_kernelINS0_14default_configENS1_35adjacent_difference_config_selectorILb1EfEEZNS1_24adjacent_difference_implIS3_Lb1ELb0EPKfPfN6thrust23THRUST_200600_302600_NS4plusIfEEEE10hipError_tPvRmT2_T3_mT4_P12ihipStream_tbEUlT_E_NS1_11comp_targetILNS1_3genE0ELNS1_11target_archE4294967295ELNS1_3gpuE0ELNS1_3repE0EEENS1_30default_config_static_selectorELNS0_4arch9wavefront6targetE1EEEvT1_,@function
_ZN7rocprim17ROCPRIM_400000_NS6detail17trampoline_kernelINS0_14default_configENS1_35adjacent_difference_config_selectorILb1EfEEZNS1_24adjacent_difference_implIS3_Lb1ELb0EPKfPfN6thrust23THRUST_200600_302600_NS4plusIfEEEE10hipError_tPvRmT2_T3_mT4_P12ihipStream_tbEUlT_E_NS1_11comp_targetILNS1_3genE0ELNS1_11target_archE4294967295ELNS1_3gpuE0ELNS1_3repE0EEENS1_30default_config_static_selectorELNS0_4arch9wavefront6targetE1EEEvT1_: ; @_ZN7rocprim17ROCPRIM_400000_NS6detail17trampoline_kernelINS0_14default_configENS1_35adjacent_difference_config_selectorILb1EfEEZNS1_24adjacent_difference_implIS3_Lb1ELb0EPKfPfN6thrust23THRUST_200600_302600_NS4plusIfEEEE10hipError_tPvRmT2_T3_mT4_P12ihipStream_tbEUlT_E_NS1_11comp_targetILNS1_3genE0ELNS1_11target_archE4294967295ELNS1_3gpuE0ELNS1_3repE0EEENS1_30default_config_static_selectorELNS0_4arch9wavefront6targetE1EEEvT1_
; %bb.0:
	.section	.rodata,"a",@progbits
	.p2align	6, 0x0
	.amdhsa_kernel _ZN7rocprim17ROCPRIM_400000_NS6detail17trampoline_kernelINS0_14default_configENS1_35adjacent_difference_config_selectorILb1EfEEZNS1_24adjacent_difference_implIS3_Lb1ELb0EPKfPfN6thrust23THRUST_200600_302600_NS4plusIfEEEE10hipError_tPvRmT2_T3_mT4_P12ihipStream_tbEUlT_E_NS1_11comp_targetILNS1_3genE0ELNS1_11target_archE4294967295ELNS1_3gpuE0ELNS1_3repE0EEENS1_30default_config_static_selectorELNS0_4arch9wavefront6targetE1EEEvT1_
		.amdhsa_group_segment_fixed_size 0
		.amdhsa_private_segment_fixed_size 0
		.amdhsa_kernarg_size 56
		.amdhsa_user_sgpr_count 6
		.amdhsa_user_sgpr_private_segment_buffer 1
		.amdhsa_user_sgpr_dispatch_ptr 0
		.amdhsa_user_sgpr_queue_ptr 0
		.amdhsa_user_sgpr_kernarg_segment_ptr 1
		.amdhsa_user_sgpr_dispatch_id 0
		.amdhsa_user_sgpr_flat_scratch_init 0
		.amdhsa_user_sgpr_kernarg_preload_length 0
		.amdhsa_user_sgpr_kernarg_preload_offset 0
		.amdhsa_user_sgpr_private_segment_size 0
		.amdhsa_uses_dynamic_stack 0
		.amdhsa_system_sgpr_private_segment_wavefront_offset 0
		.amdhsa_system_sgpr_workgroup_id_x 1
		.amdhsa_system_sgpr_workgroup_id_y 0
		.amdhsa_system_sgpr_workgroup_id_z 0
		.amdhsa_system_sgpr_workgroup_info 0
		.amdhsa_system_vgpr_workitem_id 0
		.amdhsa_next_free_vgpr 1
		.amdhsa_next_free_sgpr 0
		.amdhsa_accum_offset 4
		.amdhsa_reserve_vcc 0
		.amdhsa_reserve_flat_scratch 0
		.amdhsa_float_round_mode_32 0
		.amdhsa_float_round_mode_16_64 0
		.amdhsa_float_denorm_mode_32 3
		.amdhsa_float_denorm_mode_16_64 3
		.amdhsa_dx10_clamp 1
		.amdhsa_ieee_mode 1
		.amdhsa_fp16_overflow 0
		.amdhsa_tg_split 0
		.amdhsa_exception_fp_ieee_invalid_op 0
		.amdhsa_exception_fp_denorm_src 0
		.amdhsa_exception_fp_ieee_div_zero 0
		.amdhsa_exception_fp_ieee_overflow 0
		.amdhsa_exception_fp_ieee_underflow 0
		.amdhsa_exception_fp_ieee_inexact 0
		.amdhsa_exception_int_div_zero 0
	.end_amdhsa_kernel
	.section	.text._ZN7rocprim17ROCPRIM_400000_NS6detail17trampoline_kernelINS0_14default_configENS1_35adjacent_difference_config_selectorILb1EfEEZNS1_24adjacent_difference_implIS3_Lb1ELb0EPKfPfN6thrust23THRUST_200600_302600_NS4plusIfEEEE10hipError_tPvRmT2_T3_mT4_P12ihipStream_tbEUlT_E_NS1_11comp_targetILNS1_3genE0ELNS1_11target_archE4294967295ELNS1_3gpuE0ELNS1_3repE0EEENS1_30default_config_static_selectorELNS0_4arch9wavefront6targetE1EEEvT1_,"axG",@progbits,_ZN7rocprim17ROCPRIM_400000_NS6detail17trampoline_kernelINS0_14default_configENS1_35adjacent_difference_config_selectorILb1EfEEZNS1_24adjacent_difference_implIS3_Lb1ELb0EPKfPfN6thrust23THRUST_200600_302600_NS4plusIfEEEE10hipError_tPvRmT2_T3_mT4_P12ihipStream_tbEUlT_E_NS1_11comp_targetILNS1_3genE0ELNS1_11target_archE4294967295ELNS1_3gpuE0ELNS1_3repE0EEENS1_30default_config_static_selectorELNS0_4arch9wavefront6targetE1EEEvT1_,comdat
.Lfunc_end633:
	.size	_ZN7rocprim17ROCPRIM_400000_NS6detail17trampoline_kernelINS0_14default_configENS1_35adjacent_difference_config_selectorILb1EfEEZNS1_24adjacent_difference_implIS3_Lb1ELb0EPKfPfN6thrust23THRUST_200600_302600_NS4plusIfEEEE10hipError_tPvRmT2_T3_mT4_P12ihipStream_tbEUlT_E_NS1_11comp_targetILNS1_3genE0ELNS1_11target_archE4294967295ELNS1_3gpuE0ELNS1_3repE0EEENS1_30default_config_static_selectorELNS0_4arch9wavefront6targetE1EEEvT1_, .Lfunc_end633-_ZN7rocprim17ROCPRIM_400000_NS6detail17trampoline_kernelINS0_14default_configENS1_35adjacent_difference_config_selectorILb1EfEEZNS1_24adjacent_difference_implIS3_Lb1ELb0EPKfPfN6thrust23THRUST_200600_302600_NS4plusIfEEEE10hipError_tPvRmT2_T3_mT4_P12ihipStream_tbEUlT_E_NS1_11comp_targetILNS1_3genE0ELNS1_11target_archE4294967295ELNS1_3gpuE0ELNS1_3repE0EEENS1_30default_config_static_selectorELNS0_4arch9wavefront6targetE1EEEvT1_
                                        ; -- End function
	.section	.AMDGPU.csdata,"",@progbits
; Kernel info:
; codeLenInByte = 0
; NumSgprs: 4
; NumVgprs: 0
; NumAgprs: 0
; TotalNumVgprs: 0
; ScratchSize: 0
; MemoryBound: 0
; FloatMode: 240
; IeeeMode: 1
; LDSByteSize: 0 bytes/workgroup (compile time only)
; SGPRBlocks: 0
; VGPRBlocks: 0
; NumSGPRsForWavesPerEU: 4
; NumVGPRsForWavesPerEU: 1
; AccumOffset: 4
; Occupancy: 8
; WaveLimiterHint : 0
; COMPUTE_PGM_RSRC2:SCRATCH_EN: 0
; COMPUTE_PGM_RSRC2:USER_SGPR: 6
; COMPUTE_PGM_RSRC2:TRAP_HANDLER: 0
; COMPUTE_PGM_RSRC2:TGID_X_EN: 1
; COMPUTE_PGM_RSRC2:TGID_Y_EN: 0
; COMPUTE_PGM_RSRC2:TGID_Z_EN: 0
; COMPUTE_PGM_RSRC2:TIDIG_COMP_CNT: 0
; COMPUTE_PGM_RSRC3_GFX90A:ACCUM_OFFSET: 0
; COMPUTE_PGM_RSRC3_GFX90A:TG_SPLIT: 0
	.section	.text._ZN7rocprim17ROCPRIM_400000_NS6detail17trampoline_kernelINS0_14default_configENS1_35adjacent_difference_config_selectorILb1EfEEZNS1_24adjacent_difference_implIS3_Lb1ELb0EPKfPfN6thrust23THRUST_200600_302600_NS4plusIfEEEE10hipError_tPvRmT2_T3_mT4_P12ihipStream_tbEUlT_E_NS1_11comp_targetILNS1_3genE10ELNS1_11target_archE1201ELNS1_3gpuE5ELNS1_3repE0EEENS1_30default_config_static_selectorELNS0_4arch9wavefront6targetE1EEEvT1_,"axG",@progbits,_ZN7rocprim17ROCPRIM_400000_NS6detail17trampoline_kernelINS0_14default_configENS1_35adjacent_difference_config_selectorILb1EfEEZNS1_24adjacent_difference_implIS3_Lb1ELb0EPKfPfN6thrust23THRUST_200600_302600_NS4plusIfEEEE10hipError_tPvRmT2_T3_mT4_P12ihipStream_tbEUlT_E_NS1_11comp_targetILNS1_3genE10ELNS1_11target_archE1201ELNS1_3gpuE5ELNS1_3repE0EEENS1_30default_config_static_selectorELNS0_4arch9wavefront6targetE1EEEvT1_,comdat
	.protected	_ZN7rocprim17ROCPRIM_400000_NS6detail17trampoline_kernelINS0_14default_configENS1_35adjacent_difference_config_selectorILb1EfEEZNS1_24adjacent_difference_implIS3_Lb1ELb0EPKfPfN6thrust23THRUST_200600_302600_NS4plusIfEEEE10hipError_tPvRmT2_T3_mT4_P12ihipStream_tbEUlT_E_NS1_11comp_targetILNS1_3genE10ELNS1_11target_archE1201ELNS1_3gpuE5ELNS1_3repE0EEENS1_30default_config_static_selectorELNS0_4arch9wavefront6targetE1EEEvT1_ ; -- Begin function _ZN7rocprim17ROCPRIM_400000_NS6detail17trampoline_kernelINS0_14default_configENS1_35adjacent_difference_config_selectorILb1EfEEZNS1_24adjacent_difference_implIS3_Lb1ELb0EPKfPfN6thrust23THRUST_200600_302600_NS4plusIfEEEE10hipError_tPvRmT2_T3_mT4_P12ihipStream_tbEUlT_E_NS1_11comp_targetILNS1_3genE10ELNS1_11target_archE1201ELNS1_3gpuE5ELNS1_3repE0EEENS1_30default_config_static_selectorELNS0_4arch9wavefront6targetE1EEEvT1_
	.globl	_ZN7rocprim17ROCPRIM_400000_NS6detail17trampoline_kernelINS0_14default_configENS1_35adjacent_difference_config_selectorILb1EfEEZNS1_24adjacent_difference_implIS3_Lb1ELb0EPKfPfN6thrust23THRUST_200600_302600_NS4plusIfEEEE10hipError_tPvRmT2_T3_mT4_P12ihipStream_tbEUlT_E_NS1_11comp_targetILNS1_3genE10ELNS1_11target_archE1201ELNS1_3gpuE5ELNS1_3repE0EEENS1_30default_config_static_selectorELNS0_4arch9wavefront6targetE1EEEvT1_
	.p2align	8
	.type	_ZN7rocprim17ROCPRIM_400000_NS6detail17trampoline_kernelINS0_14default_configENS1_35adjacent_difference_config_selectorILb1EfEEZNS1_24adjacent_difference_implIS3_Lb1ELb0EPKfPfN6thrust23THRUST_200600_302600_NS4plusIfEEEE10hipError_tPvRmT2_T3_mT4_P12ihipStream_tbEUlT_E_NS1_11comp_targetILNS1_3genE10ELNS1_11target_archE1201ELNS1_3gpuE5ELNS1_3repE0EEENS1_30default_config_static_selectorELNS0_4arch9wavefront6targetE1EEEvT1_,@function
_ZN7rocprim17ROCPRIM_400000_NS6detail17trampoline_kernelINS0_14default_configENS1_35adjacent_difference_config_selectorILb1EfEEZNS1_24adjacent_difference_implIS3_Lb1ELb0EPKfPfN6thrust23THRUST_200600_302600_NS4plusIfEEEE10hipError_tPvRmT2_T3_mT4_P12ihipStream_tbEUlT_E_NS1_11comp_targetILNS1_3genE10ELNS1_11target_archE1201ELNS1_3gpuE5ELNS1_3repE0EEENS1_30default_config_static_selectorELNS0_4arch9wavefront6targetE1EEEvT1_: ; @_ZN7rocprim17ROCPRIM_400000_NS6detail17trampoline_kernelINS0_14default_configENS1_35adjacent_difference_config_selectorILb1EfEEZNS1_24adjacent_difference_implIS3_Lb1ELb0EPKfPfN6thrust23THRUST_200600_302600_NS4plusIfEEEE10hipError_tPvRmT2_T3_mT4_P12ihipStream_tbEUlT_E_NS1_11comp_targetILNS1_3genE10ELNS1_11target_archE1201ELNS1_3gpuE5ELNS1_3repE0EEENS1_30default_config_static_selectorELNS0_4arch9wavefront6targetE1EEEvT1_
; %bb.0:
	.section	.rodata,"a",@progbits
	.p2align	6, 0x0
	.amdhsa_kernel _ZN7rocprim17ROCPRIM_400000_NS6detail17trampoline_kernelINS0_14default_configENS1_35adjacent_difference_config_selectorILb1EfEEZNS1_24adjacent_difference_implIS3_Lb1ELb0EPKfPfN6thrust23THRUST_200600_302600_NS4plusIfEEEE10hipError_tPvRmT2_T3_mT4_P12ihipStream_tbEUlT_E_NS1_11comp_targetILNS1_3genE10ELNS1_11target_archE1201ELNS1_3gpuE5ELNS1_3repE0EEENS1_30default_config_static_selectorELNS0_4arch9wavefront6targetE1EEEvT1_
		.amdhsa_group_segment_fixed_size 0
		.amdhsa_private_segment_fixed_size 0
		.amdhsa_kernarg_size 56
		.amdhsa_user_sgpr_count 6
		.amdhsa_user_sgpr_private_segment_buffer 1
		.amdhsa_user_sgpr_dispatch_ptr 0
		.amdhsa_user_sgpr_queue_ptr 0
		.amdhsa_user_sgpr_kernarg_segment_ptr 1
		.amdhsa_user_sgpr_dispatch_id 0
		.amdhsa_user_sgpr_flat_scratch_init 0
		.amdhsa_user_sgpr_kernarg_preload_length 0
		.amdhsa_user_sgpr_kernarg_preload_offset 0
		.amdhsa_user_sgpr_private_segment_size 0
		.amdhsa_uses_dynamic_stack 0
		.amdhsa_system_sgpr_private_segment_wavefront_offset 0
		.amdhsa_system_sgpr_workgroup_id_x 1
		.amdhsa_system_sgpr_workgroup_id_y 0
		.amdhsa_system_sgpr_workgroup_id_z 0
		.amdhsa_system_sgpr_workgroup_info 0
		.amdhsa_system_vgpr_workitem_id 0
		.amdhsa_next_free_vgpr 1
		.amdhsa_next_free_sgpr 0
		.amdhsa_accum_offset 4
		.amdhsa_reserve_vcc 0
		.amdhsa_reserve_flat_scratch 0
		.amdhsa_float_round_mode_32 0
		.amdhsa_float_round_mode_16_64 0
		.amdhsa_float_denorm_mode_32 3
		.amdhsa_float_denorm_mode_16_64 3
		.amdhsa_dx10_clamp 1
		.amdhsa_ieee_mode 1
		.amdhsa_fp16_overflow 0
		.amdhsa_tg_split 0
		.amdhsa_exception_fp_ieee_invalid_op 0
		.amdhsa_exception_fp_denorm_src 0
		.amdhsa_exception_fp_ieee_div_zero 0
		.amdhsa_exception_fp_ieee_overflow 0
		.amdhsa_exception_fp_ieee_underflow 0
		.amdhsa_exception_fp_ieee_inexact 0
		.amdhsa_exception_int_div_zero 0
	.end_amdhsa_kernel
	.section	.text._ZN7rocprim17ROCPRIM_400000_NS6detail17trampoline_kernelINS0_14default_configENS1_35adjacent_difference_config_selectorILb1EfEEZNS1_24adjacent_difference_implIS3_Lb1ELb0EPKfPfN6thrust23THRUST_200600_302600_NS4plusIfEEEE10hipError_tPvRmT2_T3_mT4_P12ihipStream_tbEUlT_E_NS1_11comp_targetILNS1_3genE10ELNS1_11target_archE1201ELNS1_3gpuE5ELNS1_3repE0EEENS1_30default_config_static_selectorELNS0_4arch9wavefront6targetE1EEEvT1_,"axG",@progbits,_ZN7rocprim17ROCPRIM_400000_NS6detail17trampoline_kernelINS0_14default_configENS1_35adjacent_difference_config_selectorILb1EfEEZNS1_24adjacent_difference_implIS3_Lb1ELb0EPKfPfN6thrust23THRUST_200600_302600_NS4plusIfEEEE10hipError_tPvRmT2_T3_mT4_P12ihipStream_tbEUlT_E_NS1_11comp_targetILNS1_3genE10ELNS1_11target_archE1201ELNS1_3gpuE5ELNS1_3repE0EEENS1_30default_config_static_selectorELNS0_4arch9wavefront6targetE1EEEvT1_,comdat
.Lfunc_end634:
	.size	_ZN7rocprim17ROCPRIM_400000_NS6detail17trampoline_kernelINS0_14default_configENS1_35adjacent_difference_config_selectorILb1EfEEZNS1_24adjacent_difference_implIS3_Lb1ELb0EPKfPfN6thrust23THRUST_200600_302600_NS4plusIfEEEE10hipError_tPvRmT2_T3_mT4_P12ihipStream_tbEUlT_E_NS1_11comp_targetILNS1_3genE10ELNS1_11target_archE1201ELNS1_3gpuE5ELNS1_3repE0EEENS1_30default_config_static_selectorELNS0_4arch9wavefront6targetE1EEEvT1_, .Lfunc_end634-_ZN7rocprim17ROCPRIM_400000_NS6detail17trampoline_kernelINS0_14default_configENS1_35adjacent_difference_config_selectorILb1EfEEZNS1_24adjacent_difference_implIS3_Lb1ELb0EPKfPfN6thrust23THRUST_200600_302600_NS4plusIfEEEE10hipError_tPvRmT2_T3_mT4_P12ihipStream_tbEUlT_E_NS1_11comp_targetILNS1_3genE10ELNS1_11target_archE1201ELNS1_3gpuE5ELNS1_3repE0EEENS1_30default_config_static_selectorELNS0_4arch9wavefront6targetE1EEEvT1_
                                        ; -- End function
	.section	.AMDGPU.csdata,"",@progbits
; Kernel info:
; codeLenInByte = 0
; NumSgprs: 4
; NumVgprs: 0
; NumAgprs: 0
; TotalNumVgprs: 0
; ScratchSize: 0
; MemoryBound: 0
; FloatMode: 240
; IeeeMode: 1
; LDSByteSize: 0 bytes/workgroup (compile time only)
; SGPRBlocks: 0
; VGPRBlocks: 0
; NumSGPRsForWavesPerEU: 4
; NumVGPRsForWavesPerEU: 1
; AccumOffset: 4
; Occupancy: 8
; WaveLimiterHint : 0
; COMPUTE_PGM_RSRC2:SCRATCH_EN: 0
; COMPUTE_PGM_RSRC2:USER_SGPR: 6
; COMPUTE_PGM_RSRC2:TRAP_HANDLER: 0
; COMPUTE_PGM_RSRC2:TGID_X_EN: 1
; COMPUTE_PGM_RSRC2:TGID_Y_EN: 0
; COMPUTE_PGM_RSRC2:TGID_Z_EN: 0
; COMPUTE_PGM_RSRC2:TIDIG_COMP_CNT: 0
; COMPUTE_PGM_RSRC3_GFX90A:ACCUM_OFFSET: 0
; COMPUTE_PGM_RSRC3_GFX90A:TG_SPLIT: 0
	.section	.text._ZN7rocprim17ROCPRIM_400000_NS6detail17trampoline_kernelINS0_14default_configENS1_35adjacent_difference_config_selectorILb1EfEEZNS1_24adjacent_difference_implIS3_Lb1ELb0EPKfPfN6thrust23THRUST_200600_302600_NS4plusIfEEEE10hipError_tPvRmT2_T3_mT4_P12ihipStream_tbEUlT_E_NS1_11comp_targetILNS1_3genE5ELNS1_11target_archE942ELNS1_3gpuE9ELNS1_3repE0EEENS1_30default_config_static_selectorELNS0_4arch9wavefront6targetE1EEEvT1_,"axG",@progbits,_ZN7rocprim17ROCPRIM_400000_NS6detail17trampoline_kernelINS0_14default_configENS1_35adjacent_difference_config_selectorILb1EfEEZNS1_24adjacent_difference_implIS3_Lb1ELb0EPKfPfN6thrust23THRUST_200600_302600_NS4plusIfEEEE10hipError_tPvRmT2_T3_mT4_P12ihipStream_tbEUlT_E_NS1_11comp_targetILNS1_3genE5ELNS1_11target_archE942ELNS1_3gpuE9ELNS1_3repE0EEENS1_30default_config_static_selectorELNS0_4arch9wavefront6targetE1EEEvT1_,comdat
	.protected	_ZN7rocprim17ROCPRIM_400000_NS6detail17trampoline_kernelINS0_14default_configENS1_35adjacent_difference_config_selectorILb1EfEEZNS1_24adjacent_difference_implIS3_Lb1ELb0EPKfPfN6thrust23THRUST_200600_302600_NS4plusIfEEEE10hipError_tPvRmT2_T3_mT4_P12ihipStream_tbEUlT_E_NS1_11comp_targetILNS1_3genE5ELNS1_11target_archE942ELNS1_3gpuE9ELNS1_3repE0EEENS1_30default_config_static_selectorELNS0_4arch9wavefront6targetE1EEEvT1_ ; -- Begin function _ZN7rocprim17ROCPRIM_400000_NS6detail17trampoline_kernelINS0_14default_configENS1_35adjacent_difference_config_selectorILb1EfEEZNS1_24adjacent_difference_implIS3_Lb1ELb0EPKfPfN6thrust23THRUST_200600_302600_NS4plusIfEEEE10hipError_tPvRmT2_T3_mT4_P12ihipStream_tbEUlT_E_NS1_11comp_targetILNS1_3genE5ELNS1_11target_archE942ELNS1_3gpuE9ELNS1_3repE0EEENS1_30default_config_static_selectorELNS0_4arch9wavefront6targetE1EEEvT1_
	.globl	_ZN7rocprim17ROCPRIM_400000_NS6detail17trampoline_kernelINS0_14default_configENS1_35adjacent_difference_config_selectorILb1EfEEZNS1_24adjacent_difference_implIS3_Lb1ELb0EPKfPfN6thrust23THRUST_200600_302600_NS4plusIfEEEE10hipError_tPvRmT2_T3_mT4_P12ihipStream_tbEUlT_E_NS1_11comp_targetILNS1_3genE5ELNS1_11target_archE942ELNS1_3gpuE9ELNS1_3repE0EEENS1_30default_config_static_selectorELNS0_4arch9wavefront6targetE1EEEvT1_
	.p2align	8
	.type	_ZN7rocprim17ROCPRIM_400000_NS6detail17trampoline_kernelINS0_14default_configENS1_35adjacent_difference_config_selectorILb1EfEEZNS1_24adjacent_difference_implIS3_Lb1ELb0EPKfPfN6thrust23THRUST_200600_302600_NS4plusIfEEEE10hipError_tPvRmT2_T3_mT4_P12ihipStream_tbEUlT_E_NS1_11comp_targetILNS1_3genE5ELNS1_11target_archE942ELNS1_3gpuE9ELNS1_3repE0EEENS1_30default_config_static_selectorELNS0_4arch9wavefront6targetE1EEEvT1_,@function
_ZN7rocprim17ROCPRIM_400000_NS6detail17trampoline_kernelINS0_14default_configENS1_35adjacent_difference_config_selectorILb1EfEEZNS1_24adjacent_difference_implIS3_Lb1ELb0EPKfPfN6thrust23THRUST_200600_302600_NS4plusIfEEEE10hipError_tPvRmT2_T3_mT4_P12ihipStream_tbEUlT_E_NS1_11comp_targetILNS1_3genE5ELNS1_11target_archE942ELNS1_3gpuE9ELNS1_3repE0EEENS1_30default_config_static_selectorELNS0_4arch9wavefront6targetE1EEEvT1_: ; @_ZN7rocprim17ROCPRIM_400000_NS6detail17trampoline_kernelINS0_14default_configENS1_35adjacent_difference_config_selectorILb1EfEEZNS1_24adjacent_difference_implIS3_Lb1ELb0EPKfPfN6thrust23THRUST_200600_302600_NS4plusIfEEEE10hipError_tPvRmT2_T3_mT4_P12ihipStream_tbEUlT_E_NS1_11comp_targetILNS1_3genE5ELNS1_11target_archE942ELNS1_3gpuE9ELNS1_3repE0EEENS1_30default_config_static_selectorELNS0_4arch9wavefront6targetE1EEEvT1_
; %bb.0:
	.section	.rodata,"a",@progbits
	.p2align	6, 0x0
	.amdhsa_kernel _ZN7rocprim17ROCPRIM_400000_NS6detail17trampoline_kernelINS0_14default_configENS1_35adjacent_difference_config_selectorILb1EfEEZNS1_24adjacent_difference_implIS3_Lb1ELb0EPKfPfN6thrust23THRUST_200600_302600_NS4plusIfEEEE10hipError_tPvRmT2_T3_mT4_P12ihipStream_tbEUlT_E_NS1_11comp_targetILNS1_3genE5ELNS1_11target_archE942ELNS1_3gpuE9ELNS1_3repE0EEENS1_30default_config_static_selectorELNS0_4arch9wavefront6targetE1EEEvT1_
		.amdhsa_group_segment_fixed_size 0
		.amdhsa_private_segment_fixed_size 0
		.amdhsa_kernarg_size 56
		.amdhsa_user_sgpr_count 6
		.amdhsa_user_sgpr_private_segment_buffer 1
		.amdhsa_user_sgpr_dispatch_ptr 0
		.amdhsa_user_sgpr_queue_ptr 0
		.amdhsa_user_sgpr_kernarg_segment_ptr 1
		.amdhsa_user_sgpr_dispatch_id 0
		.amdhsa_user_sgpr_flat_scratch_init 0
		.amdhsa_user_sgpr_kernarg_preload_length 0
		.amdhsa_user_sgpr_kernarg_preload_offset 0
		.amdhsa_user_sgpr_private_segment_size 0
		.amdhsa_uses_dynamic_stack 0
		.amdhsa_system_sgpr_private_segment_wavefront_offset 0
		.amdhsa_system_sgpr_workgroup_id_x 1
		.amdhsa_system_sgpr_workgroup_id_y 0
		.amdhsa_system_sgpr_workgroup_id_z 0
		.amdhsa_system_sgpr_workgroup_info 0
		.amdhsa_system_vgpr_workitem_id 0
		.amdhsa_next_free_vgpr 1
		.amdhsa_next_free_sgpr 0
		.amdhsa_accum_offset 4
		.amdhsa_reserve_vcc 0
		.amdhsa_reserve_flat_scratch 0
		.amdhsa_float_round_mode_32 0
		.amdhsa_float_round_mode_16_64 0
		.amdhsa_float_denorm_mode_32 3
		.amdhsa_float_denorm_mode_16_64 3
		.amdhsa_dx10_clamp 1
		.amdhsa_ieee_mode 1
		.amdhsa_fp16_overflow 0
		.amdhsa_tg_split 0
		.amdhsa_exception_fp_ieee_invalid_op 0
		.amdhsa_exception_fp_denorm_src 0
		.amdhsa_exception_fp_ieee_div_zero 0
		.amdhsa_exception_fp_ieee_overflow 0
		.amdhsa_exception_fp_ieee_underflow 0
		.amdhsa_exception_fp_ieee_inexact 0
		.amdhsa_exception_int_div_zero 0
	.end_amdhsa_kernel
	.section	.text._ZN7rocprim17ROCPRIM_400000_NS6detail17trampoline_kernelINS0_14default_configENS1_35adjacent_difference_config_selectorILb1EfEEZNS1_24adjacent_difference_implIS3_Lb1ELb0EPKfPfN6thrust23THRUST_200600_302600_NS4plusIfEEEE10hipError_tPvRmT2_T3_mT4_P12ihipStream_tbEUlT_E_NS1_11comp_targetILNS1_3genE5ELNS1_11target_archE942ELNS1_3gpuE9ELNS1_3repE0EEENS1_30default_config_static_selectorELNS0_4arch9wavefront6targetE1EEEvT1_,"axG",@progbits,_ZN7rocprim17ROCPRIM_400000_NS6detail17trampoline_kernelINS0_14default_configENS1_35adjacent_difference_config_selectorILb1EfEEZNS1_24adjacent_difference_implIS3_Lb1ELb0EPKfPfN6thrust23THRUST_200600_302600_NS4plusIfEEEE10hipError_tPvRmT2_T3_mT4_P12ihipStream_tbEUlT_E_NS1_11comp_targetILNS1_3genE5ELNS1_11target_archE942ELNS1_3gpuE9ELNS1_3repE0EEENS1_30default_config_static_selectorELNS0_4arch9wavefront6targetE1EEEvT1_,comdat
.Lfunc_end635:
	.size	_ZN7rocprim17ROCPRIM_400000_NS6detail17trampoline_kernelINS0_14default_configENS1_35adjacent_difference_config_selectorILb1EfEEZNS1_24adjacent_difference_implIS3_Lb1ELb0EPKfPfN6thrust23THRUST_200600_302600_NS4plusIfEEEE10hipError_tPvRmT2_T3_mT4_P12ihipStream_tbEUlT_E_NS1_11comp_targetILNS1_3genE5ELNS1_11target_archE942ELNS1_3gpuE9ELNS1_3repE0EEENS1_30default_config_static_selectorELNS0_4arch9wavefront6targetE1EEEvT1_, .Lfunc_end635-_ZN7rocprim17ROCPRIM_400000_NS6detail17trampoline_kernelINS0_14default_configENS1_35adjacent_difference_config_selectorILb1EfEEZNS1_24adjacent_difference_implIS3_Lb1ELb0EPKfPfN6thrust23THRUST_200600_302600_NS4plusIfEEEE10hipError_tPvRmT2_T3_mT4_P12ihipStream_tbEUlT_E_NS1_11comp_targetILNS1_3genE5ELNS1_11target_archE942ELNS1_3gpuE9ELNS1_3repE0EEENS1_30default_config_static_selectorELNS0_4arch9wavefront6targetE1EEEvT1_
                                        ; -- End function
	.section	.AMDGPU.csdata,"",@progbits
; Kernel info:
; codeLenInByte = 0
; NumSgprs: 4
; NumVgprs: 0
; NumAgprs: 0
; TotalNumVgprs: 0
; ScratchSize: 0
; MemoryBound: 0
; FloatMode: 240
; IeeeMode: 1
; LDSByteSize: 0 bytes/workgroup (compile time only)
; SGPRBlocks: 0
; VGPRBlocks: 0
; NumSGPRsForWavesPerEU: 4
; NumVGPRsForWavesPerEU: 1
; AccumOffset: 4
; Occupancy: 8
; WaveLimiterHint : 0
; COMPUTE_PGM_RSRC2:SCRATCH_EN: 0
; COMPUTE_PGM_RSRC2:USER_SGPR: 6
; COMPUTE_PGM_RSRC2:TRAP_HANDLER: 0
; COMPUTE_PGM_RSRC2:TGID_X_EN: 1
; COMPUTE_PGM_RSRC2:TGID_Y_EN: 0
; COMPUTE_PGM_RSRC2:TGID_Z_EN: 0
; COMPUTE_PGM_RSRC2:TIDIG_COMP_CNT: 0
; COMPUTE_PGM_RSRC3_GFX90A:ACCUM_OFFSET: 0
; COMPUTE_PGM_RSRC3_GFX90A:TG_SPLIT: 0
	.section	.text._ZN7rocprim17ROCPRIM_400000_NS6detail17trampoline_kernelINS0_14default_configENS1_35adjacent_difference_config_selectorILb1EfEEZNS1_24adjacent_difference_implIS3_Lb1ELb0EPKfPfN6thrust23THRUST_200600_302600_NS4plusIfEEEE10hipError_tPvRmT2_T3_mT4_P12ihipStream_tbEUlT_E_NS1_11comp_targetILNS1_3genE4ELNS1_11target_archE910ELNS1_3gpuE8ELNS1_3repE0EEENS1_30default_config_static_selectorELNS0_4arch9wavefront6targetE1EEEvT1_,"axG",@progbits,_ZN7rocprim17ROCPRIM_400000_NS6detail17trampoline_kernelINS0_14default_configENS1_35adjacent_difference_config_selectorILb1EfEEZNS1_24adjacent_difference_implIS3_Lb1ELb0EPKfPfN6thrust23THRUST_200600_302600_NS4plusIfEEEE10hipError_tPvRmT2_T3_mT4_P12ihipStream_tbEUlT_E_NS1_11comp_targetILNS1_3genE4ELNS1_11target_archE910ELNS1_3gpuE8ELNS1_3repE0EEENS1_30default_config_static_selectorELNS0_4arch9wavefront6targetE1EEEvT1_,comdat
	.protected	_ZN7rocprim17ROCPRIM_400000_NS6detail17trampoline_kernelINS0_14default_configENS1_35adjacent_difference_config_selectorILb1EfEEZNS1_24adjacent_difference_implIS3_Lb1ELb0EPKfPfN6thrust23THRUST_200600_302600_NS4plusIfEEEE10hipError_tPvRmT2_T3_mT4_P12ihipStream_tbEUlT_E_NS1_11comp_targetILNS1_3genE4ELNS1_11target_archE910ELNS1_3gpuE8ELNS1_3repE0EEENS1_30default_config_static_selectorELNS0_4arch9wavefront6targetE1EEEvT1_ ; -- Begin function _ZN7rocprim17ROCPRIM_400000_NS6detail17trampoline_kernelINS0_14default_configENS1_35adjacent_difference_config_selectorILb1EfEEZNS1_24adjacent_difference_implIS3_Lb1ELb0EPKfPfN6thrust23THRUST_200600_302600_NS4plusIfEEEE10hipError_tPvRmT2_T3_mT4_P12ihipStream_tbEUlT_E_NS1_11comp_targetILNS1_3genE4ELNS1_11target_archE910ELNS1_3gpuE8ELNS1_3repE0EEENS1_30default_config_static_selectorELNS0_4arch9wavefront6targetE1EEEvT1_
	.globl	_ZN7rocprim17ROCPRIM_400000_NS6detail17trampoline_kernelINS0_14default_configENS1_35adjacent_difference_config_selectorILb1EfEEZNS1_24adjacent_difference_implIS3_Lb1ELb0EPKfPfN6thrust23THRUST_200600_302600_NS4plusIfEEEE10hipError_tPvRmT2_T3_mT4_P12ihipStream_tbEUlT_E_NS1_11comp_targetILNS1_3genE4ELNS1_11target_archE910ELNS1_3gpuE8ELNS1_3repE0EEENS1_30default_config_static_selectorELNS0_4arch9wavefront6targetE1EEEvT1_
	.p2align	8
	.type	_ZN7rocprim17ROCPRIM_400000_NS6detail17trampoline_kernelINS0_14default_configENS1_35adjacent_difference_config_selectorILb1EfEEZNS1_24adjacent_difference_implIS3_Lb1ELb0EPKfPfN6thrust23THRUST_200600_302600_NS4plusIfEEEE10hipError_tPvRmT2_T3_mT4_P12ihipStream_tbEUlT_E_NS1_11comp_targetILNS1_3genE4ELNS1_11target_archE910ELNS1_3gpuE8ELNS1_3repE0EEENS1_30default_config_static_selectorELNS0_4arch9wavefront6targetE1EEEvT1_,@function
_ZN7rocprim17ROCPRIM_400000_NS6detail17trampoline_kernelINS0_14default_configENS1_35adjacent_difference_config_selectorILb1EfEEZNS1_24adjacent_difference_implIS3_Lb1ELb0EPKfPfN6thrust23THRUST_200600_302600_NS4plusIfEEEE10hipError_tPvRmT2_T3_mT4_P12ihipStream_tbEUlT_E_NS1_11comp_targetILNS1_3genE4ELNS1_11target_archE910ELNS1_3gpuE8ELNS1_3repE0EEENS1_30default_config_static_selectorELNS0_4arch9wavefront6targetE1EEEvT1_: ; @_ZN7rocprim17ROCPRIM_400000_NS6detail17trampoline_kernelINS0_14default_configENS1_35adjacent_difference_config_selectorILb1EfEEZNS1_24adjacent_difference_implIS3_Lb1ELb0EPKfPfN6thrust23THRUST_200600_302600_NS4plusIfEEEE10hipError_tPvRmT2_T3_mT4_P12ihipStream_tbEUlT_E_NS1_11comp_targetILNS1_3genE4ELNS1_11target_archE910ELNS1_3gpuE8ELNS1_3repE0EEENS1_30default_config_static_selectorELNS0_4arch9wavefront6targetE1EEEvT1_
; %bb.0:
	s_load_dwordx8 s[8:15], s[4:5], 0x0
	s_mov_b32 s0, 0x59999780
	s_load_dwordx4 s[16:19], s[4:5], 0x28
	s_movk_i32 s2, 0xa00
	s_mul_i32 s20, s6, 0xa00
	s_waitcnt lgkmcnt(0)
	s_lshl_b64 s[22:23], s[10:11], 2
	s_add_u32 s26, s8, s22
	s_addc_u32 s27, s9, s23
	s_add_u32 s0, 0xe0, s0
	s_addc_u32 s3, 0, 0
	v_add_co_u32_e64 v1, s[0:1], s0, 2.0
	s_cmp_lg_u64 s[0:1], 0
	s_addc_u32 s0, s3, 0x199999
	v_readfirstlane_b32 s3, v1
	s_mul_hi_u32 s4, s3, 0xfffff600
	s_mul_i32 s1, s0, 0xfffff600
	s_sub_i32 s4, s4, s3
	s_add_i32 s4, s4, s1
	s_mul_i32 s8, s3, 0xfffff600
	s_mul_hi_u32 s1, s3, s4
	s_mul_i32 s5, s3, s4
	s_mul_hi_u32 s3, s3, s8
	s_add_u32 s3, s3, s5
	s_addc_u32 s1, 0, s1
	s_mul_hi_u32 s9, s0, s8
	s_mul_i32 s8, s0, s8
	s_add_u32 s3, s3, s8
	s_mul_hi_u32 s5, s0, s4
	s_addc_u32 s1, s1, s9
	s_addc_u32 s3, s5, 0
	s_mul_i32 s4, s0, s4
	s_add_u32 s1, s1, s4
	s_addc_u32 s3, 0, s3
	v_add_co_u32_e32 v1, vcc, s1, v1
	s_cmp_lg_u64 vcc, 0
	s_addc_u32 s0, s0, s3
	v_readfirstlane_b32 s4, v1
	s_mul_i32 s3, s14, s0
	s_mul_hi_u32 s5, s14, s4
	s_mul_hi_u32 s1, s14, s0
	s_add_u32 s3, s5, s3
	s_addc_u32 s1, 0, s1
	s_mul_hi_u32 s8, s15, s4
	s_mul_i32 s4, s15, s4
	s_add_u32 s3, s3, s4
	s_mul_hi_u32 s5, s15, s0
	s_addc_u32 s1, s1, s8
	s_addc_u32 s3, s5, 0
	s_mul_i32 s0, s15, s0
	s_add_u32 s0, s1, s0
	s_addc_u32 s1, 0, s3
	s_add_u32 s3, s0, 1
	s_addc_u32 s4, s1, 0
	s_add_u32 s5, s0, 2
	s_mul_i32 s9, s1, 0xa00
	s_mul_hi_u32 s10, s0, 0xa00
	s_addc_u32 s8, s1, 0
	s_add_i32 s10, s10, s9
	s_mul_i32 s9, s0, 0xa00
	v_mov_b32_e32 v1, s9
	v_sub_co_u32_e32 v1, vcc, s14, v1
	s_cmp_lg_u64 vcc, 0
	s_subb_u32 s9, s15, s10
	v_subrev_co_u32_e32 v2, vcc, s2, v1
	s_cmp_lg_u64 vcc, 0
	s_subb_u32 s2, s9, 0
	v_readfirstlane_b32 s10, v2
	s_cmpk_gt_u32 s10, 0x9ff
	s_cselect_b32 s10, -1, 0
	s_cmp_eq_u32 s2, 0
	s_cselect_b32 s2, s10, -1
	s_cmp_lg_u32 s2, 0
	s_cselect_b32 s2, s5, s3
	s_cselect_b32 s3, s8, s4
	v_readfirstlane_b32 s4, v1
	s_cmpk_gt_u32 s4, 0x9ff
	s_cselect_b32 s4, -1, 0
	s_cmp_eq_u32 s9, 0
	s_cselect_b32 s4, s4, -1
	s_cmp_lg_u32 s4, 0
	s_cselect_b32 s3, s3, s1
	s_cselect_b32 s2, s2, s0
	s_mul_i32 s0, s3, 0xa00
	s_mul_hi_u32 s1, s2, 0xa00
	s_add_i32 s1, s1, s0
	s_mul_i32 s0, s2, 0xa00
	s_sub_u32 s0, s14, s0
	s_subb_u32 s1, s15, s1
	s_cmp_lg_u64 s[0:1], 0
	s_cselect_b64 s[0:1], -1, 0
	v_cndmask_b32_e64 v1, 0, 1, s[0:1]
	v_readfirstlane_b32 s0, v1
	s_add_u32 s2, s2, s0
	s_addc_u32 s3, s3, 0
	s_add_u32 s4, s18, s6
	s_addc_u32 s5, s19, 0
	s_add_u32 s8, s2, -1
	s_addc_u32 s9, s3, -1
	v_pk_mov_b32 v[2:3], s[8:9], s[8:9] op_sel:[0,1]
	v_cmp_ge_u64_e64 s[0:1], s[4:5], v[2:3]
	s_mov_b32 s7, 0
	s_mov_b64 s[10:11], -1
	s_and_b64 vcc, exec, s[0:1]
	s_mul_i32 s15, s8, 0xfffff600
	s_cbranch_vccz .LBB636_12
; %bb.1:
	s_mov_b32 s21, s7
	s_add_i32 s28, s15, s14
	s_lshl_b64 s[10:11], s[20:21], 2
	s_add_u32 s10, s26, s10
	s_addc_u32 s11, s27, s11
	v_cmp_gt_u32_e32 vcc, s28, v0
                                        ; implicit-def: $vgpr2_vgpr3_vgpr4_vgpr5_vgpr6
	s_and_saveexec_b64 s[24:25], vcc
	s_cbranch_execz .LBB636_3
; %bb.2:
	v_lshlrev_b32_e32 v1, 2, v0
	global_load_dword v2, v1, s[10:11]
.LBB636_3:
	s_or_b64 exec, exec, s[24:25]
	v_or_b32_e32 v1, 0x200, v0
	v_cmp_gt_u32_e32 vcc, s28, v1
	s_and_saveexec_b64 s[24:25], vcc
	s_cbranch_execz .LBB636_5
; %bb.4:
	v_lshlrev_b32_e32 v1, 2, v0
	global_load_dword v3, v1, s[10:11] offset:2048
.LBB636_5:
	s_or_b64 exec, exec, s[24:25]
	v_or_b32_e32 v1, 0x400, v0
	v_cmp_gt_u32_e32 vcc, s28, v1
	s_and_saveexec_b64 s[24:25], vcc
	s_cbranch_execz .LBB636_7
; %bb.6:
	v_lshlrev_b32_e32 v1, 2, v1
	global_load_dword v4, v1, s[10:11]
.LBB636_7:
	s_or_b64 exec, exec, s[24:25]
	v_or_b32_e32 v1, 0x600, v0
	v_cmp_gt_u32_e32 vcc, s28, v1
	s_and_saveexec_b64 s[24:25], vcc
	s_cbranch_execz .LBB636_9
; %bb.8:
	v_lshlrev_b32_e32 v1, 2, v1
	global_load_dword v5, v1, s[10:11]
.LBB636_9:
	;; [unrolled: 9-line block ×3, first 2 shown]
	s_or_b64 exec, exec, s[24:25]
	v_lshlrev_b32_e32 v1, 2, v0
	s_mov_b64 s[10:11], 0
	s_waitcnt vmcnt(0)
	ds_write2st64_b32 v1, v2, v3 offset1:8
	ds_write2st64_b32 v1, v4, v5 offset0:16 offset1:24
	ds_write_b32 v1, v6 offset:8192
	s_waitcnt lgkmcnt(0)
	s_barrier
.LBB636_12:
	s_and_b64 vcc, exec, s[10:11]
	v_lshlrev_b32_e32 v1, 2, v0
	s_cbranch_vccz .LBB636_14
; %bb.13:
	s_mov_b32 s21, 0
	s_lshl_b64 s[10:11], s[20:21], 2
	s_add_u32 s10, s26, s10
	s_addc_u32 s11, s27, s11
	v_mov_b32_e32 v2, s11
	v_add_co_u32_e32 v4, vcc, s10, v1
	v_addc_co_u32_e32 v5, vcc, 0, v2, vcc
	v_add_co_u32_e32 v2, vcc, 0x1000, v4
	v_addc_co_u32_e32 v3, vcc, 0, v5, vcc
	global_load_dword v6, v1, s[10:11]
	global_load_dword v7, v1, s[10:11] offset:2048
	global_load_dword v8, v[2:3], off
	global_load_dword v9, v[2:3], off offset:2048
	v_add_co_u32_e32 v2, vcc, 0x2000, v4
	v_addc_co_u32_e32 v3, vcc, 0, v5, vcc
	global_load_dword v2, v[2:3], off
	s_waitcnt vmcnt(3)
	ds_write2st64_b32 v1, v6, v7 offset1:8
	s_waitcnt vmcnt(1)
	ds_write2st64_b32 v1, v8, v9 offset0:16 offset1:24
	s_waitcnt vmcnt(0)
	ds_write_b32 v1, v2 offset:8192
	s_waitcnt lgkmcnt(0)
	s_barrier
.LBB636_14:
	v_mul_u32_u24_e32 v2, 5, v0
	v_lshlrev_b32_e32 v2, 2, v2
	ds_read2_b32 v[4:5], v2 offset1:1
	ds_read2_b32 v[6:7], v2 offset0:2 offset1:3
	ds_read_b32 v11, v2 offset:16
	s_cmp_eq_u64 s[4:5], 0
	s_waitcnt lgkmcnt(0)
	s_barrier
	s_cbranch_scc1 .LBB636_19
; %bb.15:
	s_lshl_b64 s[10:11], s[18:19], 2
	s_add_u32 s10, s16, s10
	s_addc_u32 s11, s17, s11
	s_lshl_b64 s[6:7], s[6:7], 2
	s_add_u32 s6, s10, s6
	s_addc_u32 s7, s11, s7
	s_add_u32 s6, s6, -4
	s_addc_u32 s7, s7, -1
	s_load_dword s10, s[6:7], 0x0
	s_cmp_eq_u64 s[4:5], s[8:9]
	s_cbranch_scc1 .LBB636_20
; %bb.16:
	v_cmp_ne_u32_e32 vcc, 0, v0
	s_waitcnt lgkmcnt(0)
	v_mov_b32_e32 v12, s10
	ds_write_b32 v1, v11
	s_waitcnt lgkmcnt(0)
	s_barrier
	s_and_saveexec_b64 s[6:7], vcc
	s_cbranch_execz .LBB636_18
; %bb.17:
	v_add_u32_e32 v2, -4, v1
	ds_read_b32 v12, v2
.LBB636_18:
	s_or_b64 exec, exec, s[6:7]
	v_mov_b32_e32 v10, v6
	v_mov_b32_e32 v8, v4
	;; [unrolled: 1-line block ×3, first 2 shown]
	v_pk_add_f32 v[2:3], v[6:7], v[10:11] op_sel:[1,0]
	v_pk_add_f32 v[8:9], v[4:5], v[8:9] op_sel:[1,0]
	s_waitcnt lgkmcnt(0)
	v_add_f32_e32 v12, v4, v12
	s_branch .LBB636_24
.LBB636_19:
                                        ; implicit-def: $vgpr3
                                        ; implicit-def: $vgpr9
                                        ; implicit-def: $vgpr12
	s_branch .LBB636_25
.LBB636_20:
                                        ; implicit-def: $vgpr3
                                        ; implicit-def: $vgpr9
                                        ; implicit-def: $vgpr12
	s_cbranch_execz .LBB636_24
; %bb.21:
	v_mul_u32_u24_e32 v10, 5, v0
	v_cmp_ne_u32_e32 vcc, 0, v0
	s_waitcnt lgkmcnt(0)
	v_mov_b32_e32 v12, s10
	ds_write_b32 v1, v11
	s_waitcnt lgkmcnt(0)
	s_barrier
	s_and_saveexec_b64 s[6:7], vcc
	s_cbranch_execz .LBB636_23
; %bb.22:
	v_add_u32_e32 v2, -4, v1
	ds_read_b32 v12, v2
.LBB636_23:
	s_or_b64 exec, exec, s[6:7]
	s_mulk_i32 s4, 0xf600
	s_add_i32 s4, s4, s14
	v_add_u32_e32 v2, 4, v10
	v_add_f32_e32 v3, v7, v11
	v_cmp_gt_u32_e32 vcc, s4, v2
	v_cndmask_b32_e32 v3, v11, v3, vcc
	v_add_u32_e32 v13, 3, v10
	v_mov_b32_e32 v2, v7
	v_pk_add_f32 v[8:9], v[6:7], v[2:3]
	v_cmp_gt_u32_e32 vcc, s4, v13
	v_cndmask_b32_e32 v2, v7, v8, vcc
	v_add_u32_e32 v13, 2, v10
	v_mov_b32_e32 v8, v5
	v_pk_add_f32 v[8:9], v[8:9], v[6:7]
	v_cmp_gt_u32_e32 vcc, s4, v13
	v_cndmask_b32_e32 v9, v6, v8, vcc
	v_add_u32_e32 v8, 1, v10
	v_mov_b32_e32 v13, v4
	s_waitcnt lgkmcnt(0)
	v_pk_add_f32 v[14:15], v[12:13], v[4:5]
	v_cmp_gt_u32_e32 vcc, s4, v8
	v_cndmask_b32_e32 v8, v5, v15, vcc
	v_add_f32_e32 v12, v4, v12
	v_cmp_gt_u32_e32 vcc, s4, v10
	v_cndmask_b32_e32 v12, v4, v12, vcc
.LBB636_24:
	s_cbranch_execnz .LBB636_33
.LBB636_25:
	s_cmp_eq_u64 s[2:3], 1
	v_cmp_ne_u32_e32 vcc, 0, v0
	s_cbranch_scc1 .LBB636_29
; %bb.26:
	v_mov_b32_e32 v10, v7
	v_mov_b32_e32 v8, v5
	v_mov_b32_e32 v9, v6
	v_pk_add_f32 v[2:3], v[6:7], v[10:11]
	v_pk_add_f32 v[8:9], v[4:5], v[8:9]
	v_mov_b32_e32 v12, v4
	ds_write_b32 v1, v11
	s_waitcnt lgkmcnt(0)
	s_barrier
	s_and_saveexec_b64 s[2:3], vcc
	s_cbranch_execz .LBB636_28
; %bb.27:
	v_add_u32_e32 v10, -4, v1
	ds_read_b32 v10, v10
	s_waitcnt lgkmcnt(0)
	v_add_f32_e32 v12, v4, v10
.LBB636_28:
	s_or_b64 exec, exec, s[2:3]
	s_cbranch_execz .LBB636_30
	s_branch .LBB636_33
.LBB636_29:
                                        ; implicit-def: $vgpr3
                                        ; implicit-def: $vgpr9
                                        ; implicit-def: $vgpr12
.LBB636_30:
	v_mad_u32_u24 v2, v0, 5, 4
	v_cmp_gt_u32_e32 vcc, s14, v2
	v_mad_u32_u24 v2, v0, 5, 3
	v_cmp_gt_u32_e64 s[2:3], s14, v2
	v_mov_b32_e32 v2, v7
	v_pk_add_f32 v[2:3], v[6:7], v[2:3]
	v_mad_u32_u24 v3, v0, 5, 2
	v_mul_u32_u24_e32 v14, 5, v0
	v_cmp_gt_u32_e64 s[4:5], s14, v3
	v_mad_u32_u24 v3, v0, 5, 1
	v_mov_b32_e32 v8, v5
	v_cmp_gt_u32_e64 s[6:7], s14, v3
	v_mov_b32_e32 v3, v4
	v_cmp_ne_u32_e64 s[8:9], 0, v0
	s_waitcnt lgkmcnt(0)
	v_cmp_gt_u32_e64 s[10:11], s14, v14
	v_add_f32_e32 v10, v7, v11
	v_pk_add_f32 v[8:9], v[8:9], v[6:7]
	v_pk_add_f32 v[12:13], v[2:3], v[4:5]
	s_and_b64 s[10:11], s[8:9], s[10:11]
	ds_write_b32 v1, v11
	s_waitcnt lgkmcnt(0)
	s_barrier
	s_and_saveexec_b64 s[8:9], s[10:11]
	s_cbranch_execz .LBB636_32
; %bb.31:
	v_add_u32_e32 v3, -4, v1
	ds_read_b32 v3, v3
	s_waitcnt lgkmcnt(0)
	v_add_f32_e32 v4, v4, v3
.LBB636_32:
	s_or_b64 exec, exec, s[8:9]
	v_cndmask_b32_e32 v3, v11, v10, vcc
	v_cndmask_b32_e64 v2, v7, v2, s[2:3]
	v_cndmask_b32_e64 v9, v6, v8, s[4:5]
	;; [unrolled: 1-line block ×3, first 2 shown]
	v_mov_b32_e32 v12, v4
.LBB636_33:
	s_add_u32 s4, s12, s22
	s_addc_u32 s5, s13, s23
	s_and_b64 vcc, exec, s[0:1]
	v_mul_u32_u24_e32 v13, 20, v0
	v_lshlrev_b32_e32 v14, 4, v0
	s_waitcnt lgkmcnt(0)
	s_barrier
	s_cbranch_vccz .LBB636_43
; %bb.34:
	s_mov_b32 s21, 0
	s_add_i32 s15, s15, s14
	s_lshl_b64 s[0:1], s[20:21], 2
	v_sub_u32_e32 v4, v13, v14
	s_add_u32 s0, s4, s0
	ds_write2_b32 v13, v12, v8 offset1:1
	ds_write2_b32 v13, v9, v2 offset0:2 offset1:3
	ds_write_b32 v13, v3 offset:16
	s_waitcnt lgkmcnt(0)
	s_barrier
	ds_read2st64_b32 v[10:11], v4 offset0:8 offset1:16
	ds_read2st64_b32 v[4:5], v4 offset0:24 offset1:32
	s_addc_u32 s1, s5, s1
	v_mov_b32_e32 v7, s1
	v_add_co_u32_e32 v6, vcc, s0, v1
	v_addc_co_u32_e32 v7, vcc, 0, v7, vcc
	v_cmp_gt_u32_e32 vcc, s15, v0
	s_and_saveexec_b64 s[0:1], vcc
	s_cbranch_execz .LBB636_36
; %bb.35:
	v_sub_u32_e32 v15, 0, v14
	v_add_u32_e32 v15, v13, v15
	ds_read_b32 v15, v15
	s_waitcnt lgkmcnt(0)
	global_store_dword v[6:7], v15, off
.LBB636_36:
	s_or_b64 exec, exec, s[0:1]
	v_or_b32_e32 v15, 0x200, v0
	v_cmp_gt_u32_e32 vcc, s15, v15
	s_and_saveexec_b64 s[0:1], vcc
	s_cbranch_execz .LBB636_38
; %bb.37:
	s_waitcnt lgkmcnt(1)
	global_store_dword v[6:7], v10, off offset:2048
.LBB636_38:
	s_or_b64 exec, exec, s[0:1]
	s_waitcnt lgkmcnt(1)
	v_or_b32_e32 v10, 0x400, v0
	v_cmp_gt_u32_e32 vcc, s15, v10
	s_and_saveexec_b64 s[0:1], vcc
	s_cbranch_execz .LBB636_40
; %bb.39:
	v_add_co_u32_e32 v16, vcc, 0x1000, v6
	v_addc_co_u32_e32 v17, vcc, 0, v7, vcc
	global_store_dword v[16:17], v11, off
.LBB636_40:
	s_or_b64 exec, exec, s[0:1]
	v_or_b32_e32 v10, 0x600, v0
	v_cmp_gt_u32_e32 vcc, s15, v10
	s_and_saveexec_b64 s[0:1], vcc
	s_cbranch_execz .LBB636_42
; %bb.41:
	v_add_co_u32_e32 v10, vcc, 0x1000, v6
	v_addc_co_u32_e32 v11, vcc, 0, v7, vcc
	s_waitcnt lgkmcnt(0)
	global_store_dword v[10:11], v4, off offset:2048
.LBB636_42:
	s_or_b64 exec, exec, s[0:1]
	v_or_b32_e32 v0, 0x800, v0
	v_cmp_gt_u32_e64 s[0:1], s15, v0
	s_branch .LBB636_45
.LBB636_43:
	s_mov_b64 s[0:1], 0
                                        ; implicit-def: $vgpr5
                                        ; implicit-def: $vgpr6_vgpr7
	s_cbranch_execz .LBB636_45
; %bb.44:
	s_mov_b32 s21, 0
	s_lshl_b64 s[2:3], s[20:21], 2
	s_add_u32 s2, s4, s2
	s_addc_u32 s3, s5, s3
	v_sub_u32_e32 v0, v13, v14
	ds_write2_b32 v13, v12, v8 offset1:1
	ds_write2_b32 v13, v9, v2 offset0:2 offset1:3
	ds_write_b32 v13, v3 offset:16
	s_waitcnt lgkmcnt(0)
	s_barrier
	ds_read2st64_b32 v[2:3], v0 offset1:8
	ds_read2st64_b32 v[8:9], v0 offset0:16 offset1:24
	ds_read_b32 v5, v0 offset:8192
	v_mov_b32_e32 v0, s3
	v_add_co_u32_e32 v6, vcc, s2, v1
	v_addc_co_u32_e32 v7, vcc, 0, v0, vcc
	v_add_co_u32_e32 v0, vcc, 0x1000, v6
	s_waitcnt lgkmcnt(2)
	global_store_dword v1, v2, s[2:3]
	global_store_dword v1, v3, s[2:3] offset:2048
	v_addc_co_u32_e32 v1, vcc, 0, v7, vcc
	s_or_b64 s[0:1], s[0:1], exec
	s_waitcnt lgkmcnt(1)
	global_store_dword v[0:1], v8, off
	global_store_dword v[0:1], v9, off offset:2048
.LBB636_45:
	s_and_saveexec_b64 s[2:3], s[0:1]
	s_cbranch_execnz .LBB636_47
; %bb.46:
	s_endpgm
.LBB636_47:
	v_add_co_u32_e32 v0, vcc, 0x2000, v6
	v_addc_co_u32_e32 v1, vcc, 0, v7, vcc
	s_waitcnt lgkmcnt(0)
	global_store_dword v[0:1], v5, off
	s_endpgm
	.section	.rodata,"a",@progbits
	.p2align	6, 0x0
	.amdhsa_kernel _ZN7rocprim17ROCPRIM_400000_NS6detail17trampoline_kernelINS0_14default_configENS1_35adjacent_difference_config_selectorILb1EfEEZNS1_24adjacent_difference_implIS3_Lb1ELb0EPKfPfN6thrust23THRUST_200600_302600_NS4plusIfEEEE10hipError_tPvRmT2_T3_mT4_P12ihipStream_tbEUlT_E_NS1_11comp_targetILNS1_3genE4ELNS1_11target_archE910ELNS1_3gpuE8ELNS1_3repE0EEENS1_30default_config_static_selectorELNS0_4arch9wavefront6targetE1EEEvT1_
		.amdhsa_group_segment_fixed_size 10240
		.amdhsa_private_segment_fixed_size 0
		.amdhsa_kernarg_size 56
		.amdhsa_user_sgpr_count 6
		.amdhsa_user_sgpr_private_segment_buffer 1
		.amdhsa_user_sgpr_dispatch_ptr 0
		.amdhsa_user_sgpr_queue_ptr 0
		.amdhsa_user_sgpr_kernarg_segment_ptr 1
		.amdhsa_user_sgpr_dispatch_id 0
		.amdhsa_user_sgpr_flat_scratch_init 0
		.amdhsa_user_sgpr_kernarg_preload_length 0
		.amdhsa_user_sgpr_kernarg_preload_offset 0
		.amdhsa_user_sgpr_private_segment_size 0
		.amdhsa_uses_dynamic_stack 0
		.amdhsa_system_sgpr_private_segment_wavefront_offset 0
		.amdhsa_system_sgpr_workgroup_id_x 1
		.amdhsa_system_sgpr_workgroup_id_y 0
		.amdhsa_system_sgpr_workgroup_id_z 0
		.amdhsa_system_sgpr_workgroup_info 0
		.amdhsa_system_vgpr_workitem_id 0
		.amdhsa_next_free_vgpr 18
		.amdhsa_next_free_sgpr 29
		.amdhsa_accum_offset 20
		.amdhsa_reserve_vcc 1
		.amdhsa_reserve_flat_scratch 0
		.amdhsa_float_round_mode_32 0
		.amdhsa_float_round_mode_16_64 0
		.amdhsa_float_denorm_mode_32 3
		.amdhsa_float_denorm_mode_16_64 3
		.amdhsa_dx10_clamp 1
		.amdhsa_ieee_mode 1
		.amdhsa_fp16_overflow 0
		.amdhsa_tg_split 0
		.amdhsa_exception_fp_ieee_invalid_op 0
		.amdhsa_exception_fp_denorm_src 0
		.amdhsa_exception_fp_ieee_div_zero 0
		.amdhsa_exception_fp_ieee_overflow 0
		.amdhsa_exception_fp_ieee_underflow 0
		.amdhsa_exception_fp_ieee_inexact 0
		.amdhsa_exception_int_div_zero 0
	.end_amdhsa_kernel
	.section	.text._ZN7rocprim17ROCPRIM_400000_NS6detail17trampoline_kernelINS0_14default_configENS1_35adjacent_difference_config_selectorILb1EfEEZNS1_24adjacent_difference_implIS3_Lb1ELb0EPKfPfN6thrust23THRUST_200600_302600_NS4plusIfEEEE10hipError_tPvRmT2_T3_mT4_P12ihipStream_tbEUlT_E_NS1_11comp_targetILNS1_3genE4ELNS1_11target_archE910ELNS1_3gpuE8ELNS1_3repE0EEENS1_30default_config_static_selectorELNS0_4arch9wavefront6targetE1EEEvT1_,"axG",@progbits,_ZN7rocprim17ROCPRIM_400000_NS6detail17trampoline_kernelINS0_14default_configENS1_35adjacent_difference_config_selectorILb1EfEEZNS1_24adjacent_difference_implIS3_Lb1ELb0EPKfPfN6thrust23THRUST_200600_302600_NS4plusIfEEEE10hipError_tPvRmT2_T3_mT4_P12ihipStream_tbEUlT_E_NS1_11comp_targetILNS1_3genE4ELNS1_11target_archE910ELNS1_3gpuE8ELNS1_3repE0EEENS1_30default_config_static_selectorELNS0_4arch9wavefront6targetE1EEEvT1_,comdat
.Lfunc_end636:
	.size	_ZN7rocprim17ROCPRIM_400000_NS6detail17trampoline_kernelINS0_14default_configENS1_35adjacent_difference_config_selectorILb1EfEEZNS1_24adjacent_difference_implIS3_Lb1ELb0EPKfPfN6thrust23THRUST_200600_302600_NS4plusIfEEEE10hipError_tPvRmT2_T3_mT4_P12ihipStream_tbEUlT_E_NS1_11comp_targetILNS1_3genE4ELNS1_11target_archE910ELNS1_3gpuE8ELNS1_3repE0EEENS1_30default_config_static_selectorELNS0_4arch9wavefront6targetE1EEEvT1_, .Lfunc_end636-_ZN7rocprim17ROCPRIM_400000_NS6detail17trampoline_kernelINS0_14default_configENS1_35adjacent_difference_config_selectorILb1EfEEZNS1_24adjacent_difference_implIS3_Lb1ELb0EPKfPfN6thrust23THRUST_200600_302600_NS4plusIfEEEE10hipError_tPvRmT2_T3_mT4_P12ihipStream_tbEUlT_E_NS1_11comp_targetILNS1_3genE4ELNS1_11target_archE910ELNS1_3gpuE8ELNS1_3repE0EEENS1_30default_config_static_selectorELNS0_4arch9wavefront6targetE1EEEvT1_
                                        ; -- End function
	.section	.AMDGPU.csdata,"",@progbits
; Kernel info:
; codeLenInByte = 2068
; NumSgprs: 33
; NumVgprs: 18
; NumAgprs: 0
; TotalNumVgprs: 18
; ScratchSize: 0
; MemoryBound: 0
; FloatMode: 240
; IeeeMode: 1
; LDSByteSize: 10240 bytes/workgroup (compile time only)
; SGPRBlocks: 4
; VGPRBlocks: 2
; NumSGPRsForWavesPerEU: 33
; NumVGPRsForWavesPerEU: 18
; AccumOffset: 20
; Occupancy: 8
; WaveLimiterHint : 1
; COMPUTE_PGM_RSRC2:SCRATCH_EN: 0
; COMPUTE_PGM_RSRC2:USER_SGPR: 6
; COMPUTE_PGM_RSRC2:TRAP_HANDLER: 0
; COMPUTE_PGM_RSRC2:TGID_X_EN: 1
; COMPUTE_PGM_RSRC2:TGID_Y_EN: 0
; COMPUTE_PGM_RSRC2:TGID_Z_EN: 0
; COMPUTE_PGM_RSRC2:TIDIG_COMP_CNT: 0
; COMPUTE_PGM_RSRC3_GFX90A:ACCUM_OFFSET: 4
; COMPUTE_PGM_RSRC3_GFX90A:TG_SPLIT: 0
	.section	.text._ZN7rocprim17ROCPRIM_400000_NS6detail17trampoline_kernelINS0_14default_configENS1_35adjacent_difference_config_selectorILb1EfEEZNS1_24adjacent_difference_implIS3_Lb1ELb0EPKfPfN6thrust23THRUST_200600_302600_NS4plusIfEEEE10hipError_tPvRmT2_T3_mT4_P12ihipStream_tbEUlT_E_NS1_11comp_targetILNS1_3genE3ELNS1_11target_archE908ELNS1_3gpuE7ELNS1_3repE0EEENS1_30default_config_static_selectorELNS0_4arch9wavefront6targetE1EEEvT1_,"axG",@progbits,_ZN7rocprim17ROCPRIM_400000_NS6detail17trampoline_kernelINS0_14default_configENS1_35adjacent_difference_config_selectorILb1EfEEZNS1_24adjacent_difference_implIS3_Lb1ELb0EPKfPfN6thrust23THRUST_200600_302600_NS4plusIfEEEE10hipError_tPvRmT2_T3_mT4_P12ihipStream_tbEUlT_E_NS1_11comp_targetILNS1_3genE3ELNS1_11target_archE908ELNS1_3gpuE7ELNS1_3repE0EEENS1_30default_config_static_selectorELNS0_4arch9wavefront6targetE1EEEvT1_,comdat
	.protected	_ZN7rocprim17ROCPRIM_400000_NS6detail17trampoline_kernelINS0_14default_configENS1_35adjacent_difference_config_selectorILb1EfEEZNS1_24adjacent_difference_implIS3_Lb1ELb0EPKfPfN6thrust23THRUST_200600_302600_NS4plusIfEEEE10hipError_tPvRmT2_T3_mT4_P12ihipStream_tbEUlT_E_NS1_11comp_targetILNS1_3genE3ELNS1_11target_archE908ELNS1_3gpuE7ELNS1_3repE0EEENS1_30default_config_static_selectorELNS0_4arch9wavefront6targetE1EEEvT1_ ; -- Begin function _ZN7rocprim17ROCPRIM_400000_NS6detail17trampoline_kernelINS0_14default_configENS1_35adjacent_difference_config_selectorILb1EfEEZNS1_24adjacent_difference_implIS3_Lb1ELb0EPKfPfN6thrust23THRUST_200600_302600_NS4plusIfEEEE10hipError_tPvRmT2_T3_mT4_P12ihipStream_tbEUlT_E_NS1_11comp_targetILNS1_3genE3ELNS1_11target_archE908ELNS1_3gpuE7ELNS1_3repE0EEENS1_30default_config_static_selectorELNS0_4arch9wavefront6targetE1EEEvT1_
	.globl	_ZN7rocprim17ROCPRIM_400000_NS6detail17trampoline_kernelINS0_14default_configENS1_35adjacent_difference_config_selectorILb1EfEEZNS1_24adjacent_difference_implIS3_Lb1ELb0EPKfPfN6thrust23THRUST_200600_302600_NS4plusIfEEEE10hipError_tPvRmT2_T3_mT4_P12ihipStream_tbEUlT_E_NS1_11comp_targetILNS1_3genE3ELNS1_11target_archE908ELNS1_3gpuE7ELNS1_3repE0EEENS1_30default_config_static_selectorELNS0_4arch9wavefront6targetE1EEEvT1_
	.p2align	8
	.type	_ZN7rocprim17ROCPRIM_400000_NS6detail17trampoline_kernelINS0_14default_configENS1_35adjacent_difference_config_selectorILb1EfEEZNS1_24adjacent_difference_implIS3_Lb1ELb0EPKfPfN6thrust23THRUST_200600_302600_NS4plusIfEEEE10hipError_tPvRmT2_T3_mT4_P12ihipStream_tbEUlT_E_NS1_11comp_targetILNS1_3genE3ELNS1_11target_archE908ELNS1_3gpuE7ELNS1_3repE0EEENS1_30default_config_static_selectorELNS0_4arch9wavefront6targetE1EEEvT1_,@function
_ZN7rocprim17ROCPRIM_400000_NS6detail17trampoline_kernelINS0_14default_configENS1_35adjacent_difference_config_selectorILb1EfEEZNS1_24adjacent_difference_implIS3_Lb1ELb0EPKfPfN6thrust23THRUST_200600_302600_NS4plusIfEEEE10hipError_tPvRmT2_T3_mT4_P12ihipStream_tbEUlT_E_NS1_11comp_targetILNS1_3genE3ELNS1_11target_archE908ELNS1_3gpuE7ELNS1_3repE0EEENS1_30default_config_static_selectorELNS0_4arch9wavefront6targetE1EEEvT1_: ; @_ZN7rocprim17ROCPRIM_400000_NS6detail17trampoline_kernelINS0_14default_configENS1_35adjacent_difference_config_selectorILb1EfEEZNS1_24adjacent_difference_implIS3_Lb1ELb0EPKfPfN6thrust23THRUST_200600_302600_NS4plusIfEEEE10hipError_tPvRmT2_T3_mT4_P12ihipStream_tbEUlT_E_NS1_11comp_targetILNS1_3genE3ELNS1_11target_archE908ELNS1_3gpuE7ELNS1_3repE0EEENS1_30default_config_static_selectorELNS0_4arch9wavefront6targetE1EEEvT1_
; %bb.0:
	.section	.rodata,"a",@progbits
	.p2align	6, 0x0
	.amdhsa_kernel _ZN7rocprim17ROCPRIM_400000_NS6detail17trampoline_kernelINS0_14default_configENS1_35adjacent_difference_config_selectorILb1EfEEZNS1_24adjacent_difference_implIS3_Lb1ELb0EPKfPfN6thrust23THRUST_200600_302600_NS4plusIfEEEE10hipError_tPvRmT2_T3_mT4_P12ihipStream_tbEUlT_E_NS1_11comp_targetILNS1_3genE3ELNS1_11target_archE908ELNS1_3gpuE7ELNS1_3repE0EEENS1_30default_config_static_selectorELNS0_4arch9wavefront6targetE1EEEvT1_
		.amdhsa_group_segment_fixed_size 0
		.amdhsa_private_segment_fixed_size 0
		.amdhsa_kernarg_size 56
		.amdhsa_user_sgpr_count 6
		.amdhsa_user_sgpr_private_segment_buffer 1
		.amdhsa_user_sgpr_dispatch_ptr 0
		.amdhsa_user_sgpr_queue_ptr 0
		.amdhsa_user_sgpr_kernarg_segment_ptr 1
		.amdhsa_user_sgpr_dispatch_id 0
		.amdhsa_user_sgpr_flat_scratch_init 0
		.amdhsa_user_sgpr_kernarg_preload_length 0
		.amdhsa_user_sgpr_kernarg_preload_offset 0
		.amdhsa_user_sgpr_private_segment_size 0
		.amdhsa_uses_dynamic_stack 0
		.amdhsa_system_sgpr_private_segment_wavefront_offset 0
		.amdhsa_system_sgpr_workgroup_id_x 1
		.amdhsa_system_sgpr_workgroup_id_y 0
		.amdhsa_system_sgpr_workgroup_id_z 0
		.amdhsa_system_sgpr_workgroup_info 0
		.amdhsa_system_vgpr_workitem_id 0
		.amdhsa_next_free_vgpr 1
		.amdhsa_next_free_sgpr 0
		.amdhsa_accum_offset 4
		.amdhsa_reserve_vcc 0
		.amdhsa_reserve_flat_scratch 0
		.amdhsa_float_round_mode_32 0
		.amdhsa_float_round_mode_16_64 0
		.amdhsa_float_denorm_mode_32 3
		.amdhsa_float_denorm_mode_16_64 3
		.amdhsa_dx10_clamp 1
		.amdhsa_ieee_mode 1
		.amdhsa_fp16_overflow 0
		.amdhsa_tg_split 0
		.amdhsa_exception_fp_ieee_invalid_op 0
		.amdhsa_exception_fp_denorm_src 0
		.amdhsa_exception_fp_ieee_div_zero 0
		.amdhsa_exception_fp_ieee_overflow 0
		.amdhsa_exception_fp_ieee_underflow 0
		.amdhsa_exception_fp_ieee_inexact 0
		.amdhsa_exception_int_div_zero 0
	.end_amdhsa_kernel
	.section	.text._ZN7rocprim17ROCPRIM_400000_NS6detail17trampoline_kernelINS0_14default_configENS1_35adjacent_difference_config_selectorILb1EfEEZNS1_24adjacent_difference_implIS3_Lb1ELb0EPKfPfN6thrust23THRUST_200600_302600_NS4plusIfEEEE10hipError_tPvRmT2_T3_mT4_P12ihipStream_tbEUlT_E_NS1_11comp_targetILNS1_3genE3ELNS1_11target_archE908ELNS1_3gpuE7ELNS1_3repE0EEENS1_30default_config_static_selectorELNS0_4arch9wavefront6targetE1EEEvT1_,"axG",@progbits,_ZN7rocprim17ROCPRIM_400000_NS6detail17trampoline_kernelINS0_14default_configENS1_35adjacent_difference_config_selectorILb1EfEEZNS1_24adjacent_difference_implIS3_Lb1ELb0EPKfPfN6thrust23THRUST_200600_302600_NS4plusIfEEEE10hipError_tPvRmT2_T3_mT4_P12ihipStream_tbEUlT_E_NS1_11comp_targetILNS1_3genE3ELNS1_11target_archE908ELNS1_3gpuE7ELNS1_3repE0EEENS1_30default_config_static_selectorELNS0_4arch9wavefront6targetE1EEEvT1_,comdat
.Lfunc_end637:
	.size	_ZN7rocprim17ROCPRIM_400000_NS6detail17trampoline_kernelINS0_14default_configENS1_35adjacent_difference_config_selectorILb1EfEEZNS1_24adjacent_difference_implIS3_Lb1ELb0EPKfPfN6thrust23THRUST_200600_302600_NS4plusIfEEEE10hipError_tPvRmT2_T3_mT4_P12ihipStream_tbEUlT_E_NS1_11comp_targetILNS1_3genE3ELNS1_11target_archE908ELNS1_3gpuE7ELNS1_3repE0EEENS1_30default_config_static_selectorELNS0_4arch9wavefront6targetE1EEEvT1_, .Lfunc_end637-_ZN7rocprim17ROCPRIM_400000_NS6detail17trampoline_kernelINS0_14default_configENS1_35adjacent_difference_config_selectorILb1EfEEZNS1_24adjacent_difference_implIS3_Lb1ELb0EPKfPfN6thrust23THRUST_200600_302600_NS4plusIfEEEE10hipError_tPvRmT2_T3_mT4_P12ihipStream_tbEUlT_E_NS1_11comp_targetILNS1_3genE3ELNS1_11target_archE908ELNS1_3gpuE7ELNS1_3repE0EEENS1_30default_config_static_selectorELNS0_4arch9wavefront6targetE1EEEvT1_
                                        ; -- End function
	.section	.AMDGPU.csdata,"",@progbits
; Kernel info:
; codeLenInByte = 0
; NumSgprs: 4
; NumVgprs: 0
; NumAgprs: 0
; TotalNumVgprs: 0
; ScratchSize: 0
; MemoryBound: 0
; FloatMode: 240
; IeeeMode: 1
; LDSByteSize: 0 bytes/workgroup (compile time only)
; SGPRBlocks: 0
; VGPRBlocks: 0
; NumSGPRsForWavesPerEU: 4
; NumVGPRsForWavesPerEU: 1
; AccumOffset: 4
; Occupancy: 8
; WaveLimiterHint : 0
; COMPUTE_PGM_RSRC2:SCRATCH_EN: 0
; COMPUTE_PGM_RSRC2:USER_SGPR: 6
; COMPUTE_PGM_RSRC2:TRAP_HANDLER: 0
; COMPUTE_PGM_RSRC2:TGID_X_EN: 1
; COMPUTE_PGM_RSRC2:TGID_Y_EN: 0
; COMPUTE_PGM_RSRC2:TGID_Z_EN: 0
; COMPUTE_PGM_RSRC2:TIDIG_COMP_CNT: 0
; COMPUTE_PGM_RSRC3_GFX90A:ACCUM_OFFSET: 0
; COMPUTE_PGM_RSRC3_GFX90A:TG_SPLIT: 0
	.section	.text._ZN7rocprim17ROCPRIM_400000_NS6detail17trampoline_kernelINS0_14default_configENS1_35adjacent_difference_config_selectorILb1EfEEZNS1_24adjacent_difference_implIS3_Lb1ELb0EPKfPfN6thrust23THRUST_200600_302600_NS4plusIfEEEE10hipError_tPvRmT2_T3_mT4_P12ihipStream_tbEUlT_E_NS1_11comp_targetILNS1_3genE2ELNS1_11target_archE906ELNS1_3gpuE6ELNS1_3repE0EEENS1_30default_config_static_selectorELNS0_4arch9wavefront6targetE1EEEvT1_,"axG",@progbits,_ZN7rocprim17ROCPRIM_400000_NS6detail17trampoline_kernelINS0_14default_configENS1_35adjacent_difference_config_selectorILb1EfEEZNS1_24adjacent_difference_implIS3_Lb1ELb0EPKfPfN6thrust23THRUST_200600_302600_NS4plusIfEEEE10hipError_tPvRmT2_T3_mT4_P12ihipStream_tbEUlT_E_NS1_11comp_targetILNS1_3genE2ELNS1_11target_archE906ELNS1_3gpuE6ELNS1_3repE0EEENS1_30default_config_static_selectorELNS0_4arch9wavefront6targetE1EEEvT1_,comdat
	.protected	_ZN7rocprim17ROCPRIM_400000_NS6detail17trampoline_kernelINS0_14default_configENS1_35adjacent_difference_config_selectorILb1EfEEZNS1_24adjacent_difference_implIS3_Lb1ELb0EPKfPfN6thrust23THRUST_200600_302600_NS4plusIfEEEE10hipError_tPvRmT2_T3_mT4_P12ihipStream_tbEUlT_E_NS1_11comp_targetILNS1_3genE2ELNS1_11target_archE906ELNS1_3gpuE6ELNS1_3repE0EEENS1_30default_config_static_selectorELNS0_4arch9wavefront6targetE1EEEvT1_ ; -- Begin function _ZN7rocprim17ROCPRIM_400000_NS6detail17trampoline_kernelINS0_14default_configENS1_35adjacent_difference_config_selectorILb1EfEEZNS1_24adjacent_difference_implIS3_Lb1ELb0EPKfPfN6thrust23THRUST_200600_302600_NS4plusIfEEEE10hipError_tPvRmT2_T3_mT4_P12ihipStream_tbEUlT_E_NS1_11comp_targetILNS1_3genE2ELNS1_11target_archE906ELNS1_3gpuE6ELNS1_3repE0EEENS1_30default_config_static_selectorELNS0_4arch9wavefront6targetE1EEEvT1_
	.globl	_ZN7rocprim17ROCPRIM_400000_NS6detail17trampoline_kernelINS0_14default_configENS1_35adjacent_difference_config_selectorILb1EfEEZNS1_24adjacent_difference_implIS3_Lb1ELb0EPKfPfN6thrust23THRUST_200600_302600_NS4plusIfEEEE10hipError_tPvRmT2_T3_mT4_P12ihipStream_tbEUlT_E_NS1_11comp_targetILNS1_3genE2ELNS1_11target_archE906ELNS1_3gpuE6ELNS1_3repE0EEENS1_30default_config_static_selectorELNS0_4arch9wavefront6targetE1EEEvT1_
	.p2align	8
	.type	_ZN7rocprim17ROCPRIM_400000_NS6detail17trampoline_kernelINS0_14default_configENS1_35adjacent_difference_config_selectorILb1EfEEZNS1_24adjacent_difference_implIS3_Lb1ELb0EPKfPfN6thrust23THRUST_200600_302600_NS4plusIfEEEE10hipError_tPvRmT2_T3_mT4_P12ihipStream_tbEUlT_E_NS1_11comp_targetILNS1_3genE2ELNS1_11target_archE906ELNS1_3gpuE6ELNS1_3repE0EEENS1_30default_config_static_selectorELNS0_4arch9wavefront6targetE1EEEvT1_,@function
_ZN7rocprim17ROCPRIM_400000_NS6detail17trampoline_kernelINS0_14default_configENS1_35adjacent_difference_config_selectorILb1EfEEZNS1_24adjacent_difference_implIS3_Lb1ELb0EPKfPfN6thrust23THRUST_200600_302600_NS4plusIfEEEE10hipError_tPvRmT2_T3_mT4_P12ihipStream_tbEUlT_E_NS1_11comp_targetILNS1_3genE2ELNS1_11target_archE906ELNS1_3gpuE6ELNS1_3repE0EEENS1_30default_config_static_selectorELNS0_4arch9wavefront6targetE1EEEvT1_: ; @_ZN7rocprim17ROCPRIM_400000_NS6detail17trampoline_kernelINS0_14default_configENS1_35adjacent_difference_config_selectorILb1EfEEZNS1_24adjacent_difference_implIS3_Lb1ELb0EPKfPfN6thrust23THRUST_200600_302600_NS4plusIfEEEE10hipError_tPvRmT2_T3_mT4_P12ihipStream_tbEUlT_E_NS1_11comp_targetILNS1_3genE2ELNS1_11target_archE906ELNS1_3gpuE6ELNS1_3repE0EEENS1_30default_config_static_selectorELNS0_4arch9wavefront6targetE1EEEvT1_
; %bb.0:
	.section	.rodata,"a",@progbits
	.p2align	6, 0x0
	.amdhsa_kernel _ZN7rocprim17ROCPRIM_400000_NS6detail17trampoline_kernelINS0_14default_configENS1_35adjacent_difference_config_selectorILb1EfEEZNS1_24adjacent_difference_implIS3_Lb1ELb0EPKfPfN6thrust23THRUST_200600_302600_NS4plusIfEEEE10hipError_tPvRmT2_T3_mT4_P12ihipStream_tbEUlT_E_NS1_11comp_targetILNS1_3genE2ELNS1_11target_archE906ELNS1_3gpuE6ELNS1_3repE0EEENS1_30default_config_static_selectorELNS0_4arch9wavefront6targetE1EEEvT1_
		.amdhsa_group_segment_fixed_size 0
		.amdhsa_private_segment_fixed_size 0
		.amdhsa_kernarg_size 56
		.amdhsa_user_sgpr_count 6
		.amdhsa_user_sgpr_private_segment_buffer 1
		.amdhsa_user_sgpr_dispatch_ptr 0
		.amdhsa_user_sgpr_queue_ptr 0
		.amdhsa_user_sgpr_kernarg_segment_ptr 1
		.amdhsa_user_sgpr_dispatch_id 0
		.amdhsa_user_sgpr_flat_scratch_init 0
		.amdhsa_user_sgpr_kernarg_preload_length 0
		.amdhsa_user_sgpr_kernarg_preload_offset 0
		.amdhsa_user_sgpr_private_segment_size 0
		.amdhsa_uses_dynamic_stack 0
		.amdhsa_system_sgpr_private_segment_wavefront_offset 0
		.amdhsa_system_sgpr_workgroup_id_x 1
		.amdhsa_system_sgpr_workgroup_id_y 0
		.amdhsa_system_sgpr_workgroup_id_z 0
		.amdhsa_system_sgpr_workgroup_info 0
		.amdhsa_system_vgpr_workitem_id 0
		.amdhsa_next_free_vgpr 1
		.amdhsa_next_free_sgpr 0
		.amdhsa_accum_offset 4
		.amdhsa_reserve_vcc 0
		.amdhsa_reserve_flat_scratch 0
		.amdhsa_float_round_mode_32 0
		.amdhsa_float_round_mode_16_64 0
		.amdhsa_float_denorm_mode_32 3
		.amdhsa_float_denorm_mode_16_64 3
		.amdhsa_dx10_clamp 1
		.amdhsa_ieee_mode 1
		.amdhsa_fp16_overflow 0
		.amdhsa_tg_split 0
		.amdhsa_exception_fp_ieee_invalid_op 0
		.amdhsa_exception_fp_denorm_src 0
		.amdhsa_exception_fp_ieee_div_zero 0
		.amdhsa_exception_fp_ieee_overflow 0
		.amdhsa_exception_fp_ieee_underflow 0
		.amdhsa_exception_fp_ieee_inexact 0
		.amdhsa_exception_int_div_zero 0
	.end_amdhsa_kernel
	.section	.text._ZN7rocprim17ROCPRIM_400000_NS6detail17trampoline_kernelINS0_14default_configENS1_35adjacent_difference_config_selectorILb1EfEEZNS1_24adjacent_difference_implIS3_Lb1ELb0EPKfPfN6thrust23THRUST_200600_302600_NS4plusIfEEEE10hipError_tPvRmT2_T3_mT4_P12ihipStream_tbEUlT_E_NS1_11comp_targetILNS1_3genE2ELNS1_11target_archE906ELNS1_3gpuE6ELNS1_3repE0EEENS1_30default_config_static_selectorELNS0_4arch9wavefront6targetE1EEEvT1_,"axG",@progbits,_ZN7rocprim17ROCPRIM_400000_NS6detail17trampoline_kernelINS0_14default_configENS1_35adjacent_difference_config_selectorILb1EfEEZNS1_24adjacent_difference_implIS3_Lb1ELb0EPKfPfN6thrust23THRUST_200600_302600_NS4plusIfEEEE10hipError_tPvRmT2_T3_mT4_P12ihipStream_tbEUlT_E_NS1_11comp_targetILNS1_3genE2ELNS1_11target_archE906ELNS1_3gpuE6ELNS1_3repE0EEENS1_30default_config_static_selectorELNS0_4arch9wavefront6targetE1EEEvT1_,comdat
.Lfunc_end638:
	.size	_ZN7rocprim17ROCPRIM_400000_NS6detail17trampoline_kernelINS0_14default_configENS1_35adjacent_difference_config_selectorILb1EfEEZNS1_24adjacent_difference_implIS3_Lb1ELb0EPKfPfN6thrust23THRUST_200600_302600_NS4plusIfEEEE10hipError_tPvRmT2_T3_mT4_P12ihipStream_tbEUlT_E_NS1_11comp_targetILNS1_3genE2ELNS1_11target_archE906ELNS1_3gpuE6ELNS1_3repE0EEENS1_30default_config_static_selectorELNS0_4arch9wavefront6targetE1EEEvT1_, .Lfunc_end638-_ZN7rocprim17ROCPRIM_400000_NS6detail17trampoline_kernelINS0_14default_configENS1_35adjacent_difference_config_selectorILb1EfEEZNS1_24adjacent_difference_implIS3_Lb1ELb0EPKfPfN6thrust23THRUST_200600_302600_NS4plusIfEEEE10hipError_tPvRmT2_T3_mT4_P12ihipStream_tbEUlT_E_NS1_11comp_targetILNS1_3genE2ELNS1_11target_archE906ELNS1_3gpuE6ELNS1_3repE0EEENS1_30default_config_static_selectorELNS0_4arch9wavefront6targetE1EEEvT1_
                                        ; -- End function
	.section	.AMDGPU.csdata,"",@progbits
; Kernel info:
; codeLenInByte = 0
; NumSgprs: 4
; NumVgprs: 0
; NumAgprs: 0
; TotalNumVgprs: 0
; ScratchSize: 0
; MemoryBound: 0
; FloatMode: 240
; IeeeMode: 1
; LDSByteSize: 0 bytes/workgroup (compile time only)
; SGPRBlocks: 0
; VGPRBlocks: 0
; NumSGPRsForWavesPerEU: 4
; NumVGPRsForWavesPerEU: 1
; AccumOffset: 4
; Occupancy: 8
; WaveLimiterHint : 0
; COMPUTE_PGM_RSRC2:SCRATCH_EN: 0
; COMPUTE_PGM_RSRC2:USER_SGPR: 6
; COMPUTE_PGM_RSRC2:TRAP_HANDLER: 0
; COMPUTE_PGM_RSRC2:TGID_X_EN: 1
; COMPUTE_PGM_RSRC2:TGID_Y_EN: 0
; COMPUTE_PGM_RSRC2:TGID_Z_EN: 0
; COMPUTE_PGM_RSRC2:TIDIG_COMP_CNT: 0
; COMPUTE_PGM_RSRC3_GFX90A:ACCUM_OFFSET: 0
; COMPUTE_PGM_RSRC3_GFX90A:TG_SPLIT: 0
	.section	.text._ZN7rocprim17ROCPRIM_400000_NS6detail17trampoline_kernelINS0_14default_configENS1_35adjacent_difference_config_selectorILb1EfEEZNS1_24adjacent_difference_implIS3_Lb1ELb0EPKfPfN6thrust23THRUST_200600_302600_NS4plusIfEEEE10hipError_tPvRmT2_T3_mT4_P12ihipStream_tbEUlT_E_NS1_11comp_targetILNS1_3genE9ELNS1_11target_archE1100ELNS1_3gpuE3ELNS1_3repE0EEENS1_30default_config_static_selectorELNS0_4arch9wavefront6targetE1EEEvT1_,"axG",@progbits,_ZN7rocprim17ROCPRIM_400000_NS6detail17trampoline_kernelINS0_14default_configENS1_35adjacent_difference_config_selectorILb1EfEEZNS1_24adjacent_difference_implIS3_Lb1ELb0EPKfPfN6thrust23THRUST_200600_302600_NS4plusIfEEEE10hipError_tPvRmT2_T3_mT4_P12ihipStream_tbEUlT_E_NS1_11comp_targetILNS1_3genE9ELNS1_11target_archE1100ELNS1_3gpuE3ELNS1_3repE0EEENS1_30default_config_static_selectorELNS0_4arch9wavefront6targetE1EEEvT1_,comdat
	.protected	_ZN7rocprim17ROCPRIM_400000_NS6detail17trampoline_kernelINS0_14default_configENS1_35adjacent_difference_config_selectorILb1EfEEZNS1_24adjacent_difference_implIS3_Lb1ELb0EPKfPfN6thrust23THRUST_200600_302600_NS4plusIfEEEE10hipError_tPvRmT2_T3_mT4_P12ihipStream_tbEUlT_E_NS1_11comp_targetILNS1_3genE9ELNS1_11target_archE1100ELNS1_3gpuE3ELNS1_3repE0EEENS1_30default_config_static_selectorELNS0_4arch9wavefront6targetE1EEEvT1_ ; -- Begin function _ZN7rocprim17ROCPRIM_400000_NS6detail17trampoline_kernelINS0_14default_configENS1_35adjacent_difference_config_selectorILb1EfEEZNS1_24adjacent_difference_implIS3_Lb1ELb0EPKfPfN6thrust23THRUST_200600_302600_NS4plusIfEEEE10hipError_tPvRmT2_T3_mT4_P12ihipStream_tbEUlT_E_NS1_11comp_targetILNS1_3genE9ELNS1_11target_archE1100ELNS1_3gpuE3ELNS1_3repE0EEENS1_30default_config_static_selectorELNS0_4arch9wavefront6targetE1EEEvT1_
	.globl	_ZN7rocprim17ROCPRIM_400000_NS6detail17trampoline_kernelINS0_14default_configENS1_35adjacent_difference_config_selectorILb1EfEEZNS1_24adjacent_difference_implIS3_Lb1ELb0EPKfPfN6thrust23THRUST_200600_302600_NS4plusIfEEEE10hipError_tPvRmT2_T3_mT4_P12ihipStream_tbEUlT_E_NS1_11comp_targetILNS1_3genE9ELNS1_11target_archE1100ELNS1_3gpuE3ELNS1_3repE0EEENS1_30default_config_static_selectorELNS0_4arch9wavefront6targetE1EEEvT1_
	.p2align	8
	.type	_ZN7rocprim17ROCPRIM_400000_NS6detail17trampoline_kernelINS0_14default_configENS1_35adjacent_difference_config_selectorILb1EfEEZNS1_24adjacent_difference_implIS3_Lb1ELb0EPKfPfN6thrust23THRUST_200600_302600_NS4plusIfEEEE10hipError_tPvRmT2_T3_mT4_P12ihipStream_tbEUlT_E_NS1_11comp_targetILNS1_3genE9ELNS1_11target_archE1100ELNS1_3gpuE3ELNS1_3repE0EEENS1_30default_config_static_selectorELNS0_4arch9wavefront6targetE1EEEvT1_,@function
_ZN7rocprim17ROCPRIM_400000_NS6detail17trampoline_kernelINS0_14default_configENS1_35adjacent_difference_config_selectorILb1EfEEZNS1_24adjacent_difference_implIS3_Lb1ELb0EPKfPfN6thrust23THRUST_200600_302600_NS4plusIfEEEE10hipError_tPvRmT2_T3_mT4_P12ihipStream_tbEUlT_E_NS1_11comp_targetILNS1_3genE9ELNS1_11target_archE1100ELNS1_3gpuE3ELNS1_3repE0EEENS1_30default_config_static_selectorELNS0_4arch9wavefront6targetE1EEEvT1_: ; @_ZN7rocprim17ROCPRIM_400000_NS6detail17trampoline_kernelINS0_14default_configENS1_35adjacent_difference_config_selectorILb1EfEEZNS1_24adjacent_difference_implIS3_Lb1ELb0EPKfPfN6thrust23THRUST_200600_302600_NS4plusIfEEEE10hipError_tPvRmT2_T3_mT4_P12ihipStream_tbEUlT_E_NS1_11comp_targetILNS1_3genE9ELNS1_11target_archE1100ELNS1_3gpuE3ELNS1_3repE0EEENS1_30default_config_static_selectorELNS0_4arch9wavefront6targetE1EEEvT1_
; %bb.0:
	.section	.rodata,"a",@progbits
	.p2align	6, 0x0
	.amdhsa_kernel _ZN7rocprim17ROCPRIM_400000_NS6detail17trampoline_kernelINS0_14default_configENS1_35adjacent_difference_config_selectorILb1EfEEZNS1_24adjacent_difference_implIS3_Lb1ELb0EPKfPfN6thrust23THRUST_200600_302600_NS4plusIfEEEE10hipError_tPvRmT2_T3_mT4_P12ihipStream_tbEUlT_E_NS1_11comp_targetILNS1_3genE9ELNS1_11target_archE1100ELNS1_3gpuE3ELNS1_3repE0EEENS1_30default_config_static_selectorELNS0_4arch9wavefront6targetE1EEEvT1_
		.amdhsa_group_segment_fixed_size 0
		.amdhsa_private_segment_fixed_size 0
		.amdhsa_kernarg_size 56
		.amdhsa_user_sgpr_count 6
		.amdhsa_user_sgpr_private_segment_buffer 1
		.amdhsa_user_sgpr_dispatch_ptr 0
		.amdhsa_user_sgpr_queue_ptr 0
		.amdhsa_user_sgpr_kernarg_segment_ptr 1
		.amdhsa_user_sgpr_dispatch_id 0
		.amdhsa_user_sgpr_flat_scratch_init 0
		.amdhsa_user_sgpr_kernarg_preload_length 0
		.amdhsa_user_sgpr_kernarg_preload_offset 0
		.amdhsa_user_sgpr_private_segment_size 0
		.amdhsa_uses_dynamic_stack 0
		.amdhsa_system_sgpr_private_segment_wavefront_offset 0
		.amdhsa_system_sgpr_workgroup_id_x 1
		.amdhsa_system_sgpr_workgroup_id_y 0
		.amdhsa_system_sgpr_workgroup_id_z 0
		.amdhsa_system_sgpr_workgroup_info 0
		.amdhsa_system_vgpr_workitem_id 0
		.amdhsa_next_free_vgpr 1
		.amdhsa_next_free_sgpr 0
		.amdhsa_accum_offset 4
		.amdhsa_reserve_vcc 0
		.amdhsa_reserve_flat_scratch 0
		.amdhsa_float_round_mode_32 0
		.amdhsa_float_round_mode_16_64 0
		.amdhsa_float_denorm_mode_32 3
		.amdhsa_float_denorm_mode_16_64 3
		.amdhsa_dx10_clamp 1
		.amdhsa_ieee_mode 1
		.amdhsa_fp16_overflow 0
		.amdhsa_tg_split 0
		.amdhsa_exception_fp_ieee_invalid_op 0
		.amdhsa_exception_fp_denorm_src 0
		.amdhsa_exception_fp_ieee_div_zero 0
		.amdhsa_exception_fp_ieee_overflow 0
		.amdhsa_exception_fp_ieee_underflow 0
		.amdhsa_exception_fp_ieee_inexact 0
		.amdhsa_exception_int_div_zero 0
	.end_amdhsa_kernel
	.section	.text._ZN7rocprim17ROCPRIM_400000_NS6detail17trampoline_kernelINS0_14default_configENS1_35adjacent_difference_config_selectorILb1EfEEZNS1_24adjacent_difference_implIS3_Lb1ELb0EPKfPfN6thrust23THRUST_200600_302600_NS4plusIfEEEE10hipError_tPvRmT2_T3_mT4_P12ihipStream_tbEUlT_E_NS1_11comp_targetILNS1_3genE9ELNS1_11target_archE1100ELNS1_3gpuE3ELNS1_3repE0EEENS1_30default_config_static_selectorELNS0_4arch9wavefront6targetE1EEEvT1_,"axG",@progbits,_ZN7rocprim17ROCPRIM_400000_NS6detail17trampoline_kernelINS0_14default_configENS1_35adjacent_difference_config_selectorILb1EfEEZNS1_24adjacent_difference_implIS3_Lb1ELb0EPKfPfN6thrust23THRUST_200600_302600_NS4plusIfEEEE10hipError_tPvRmT2_T3_mT4_P12ihipStream_tbEUlT_E_NS1_11comp_targetILNS1_3genE9ELNS1_11target_archE1100ELNS1_3gpuE3ELNS1_3repE0EEENS1_30default_config_static_selectorELNS0_4arch9wavefront6targetE1EEEvT1_,comdat
.Lfunc_end639:
	.size	_ZN7rocprim17ROCPRIM_400000_NS6detail17trampoline_kernelINS0_14default_configENS1_35adjacent_difference_config_selectorILb1EfEEZNS1_24adjacent_difference_implIS3_Lb1ELb0EPKfPfN6thrust23THRUST_200600_302600_NS4plusIfEEEE10hipError_tPvRmT2_T3_mT4_P12ihipStream_tbEUlT_E_NS1_11comp_targetILNS1_3genE9ELNS1_11target_archE1100ELNS1_3gpuE3ELNS1_3repE0EEENS1_30default_config_static_selectorELNS0_4arch9wavefront6targetE1EEEvT1_, .Lfunc_end639-_ZN7rocprim17ROCPRIM_400000_NS6detail17trampoline_kernelINS0_14default_configENS1_35adjacent_difference_config_selectorILb1EfEEZNS1_24adjacent_difference_implIS3_Lb1ELb0EPKfPfN6thrust23THRUST_200600_302600_NS4plusIfEEEE10hipError_tPvRmT2_T3_mT4_P12ihipStream_tbEUlT_E_NS1_11comp_targetILNS1_3genE9ELNS1_11target_archE1100ELNS1_3gpuE3ELNS1_3repE0EEENS1_30default_config_static_selectorELNS0_4arch9wavefront6targetE1EEEvT1_
                                        ; -- End function
	.section	.AMDGPU.csdata,"",@progbits
; Kernel info:
; codeLenInByte = 0
; NumSgprs: 4
; NumVgprs: 0
; NumAgprs: 0
; TotalNumVgprs: 0
; ScratchSize: 0
; MemoryBound: 0
; FloatMode: 240
; IeeeMode: 1
; LDSByteSize: 0 bytes/workgroup (compile time only)
; SGPRBlocks: 0
; VGPRBlocks: 0
; NumSGPRsForWavesPerEU: 4
; NumVGPRsForWavesPerEU: 1
; AccumOffset: 4
; Occupancy: 8
; WaveLimiterHint : 0
; COMPUTE_PGM_RSRC2:SCRATCH_EN: 0
; COMPUTE_PGM_RSRC2:USER_SGPR: 6
; COMPUTE_PGM_RSRC2:TRAP_HANDLER: 0
; COMPUTE_PGM_RSRC2:TGID_X_EN: 1
; COMPUTE_PGM_RSRC2:TGID_Y_EN: 0
; COMPUTE_PGM_RSRC2:TGID_Z_EN: 0
; COMPUTE_PGM_RSRC2:TIDIG_COMP_CNT: 0
; COMPUTE_PGM_RSRC3_GFX90A:ACCUM_OFFSET: 0
; COMPUTE_PGM_RSRC3_GFX90A:TG_SPLIT: 0
	.section	.text._ZN7rocprim17ROCPRIM_400000_NS6detail17trampoline_kernelINS0_14default_configENS1_35adjacent_difference_config_selectorILb1EfEEZNS1_24adjacent_difference_implIS3_Lb1ELb0EPKfPfN6thrust23THRUST_200600_302600_NS4plusIfEEEE10hipError_tPvRmT2_T3_mT4_P12ihipStream_tbEUlT_E_NS1_11comp_targetILNS1_3genE8ELNS1_11target_archE1030ELNS1_3gpuE2ELNS1_3repE0EEENS1_30default_config_static_selectorELNS0_4arch9wavefront6targetE1EEEvT1_,"axG",@progbits,_ZN7rocprim17ROCPRIM_400000_NS6detail17trampoline_kernelINS0_14default_configENS1_35adjacent_difference_config_selectorILb1EfEEZNS1_24adjacent_difference_implIS3_Lb1ELb0EPKfPfN6thrust23THRUST_200600_302600_NS4plusIfEEEE10hipError_tPvRmT2_T3_mT4_P12ihipStream_tbEUlT_E_NS1_11comp_targetILNS1_3genE8ELNS1_11target_archE1030ELNS1_3gpuE2ELNS1_3repE0EEENS1_30default_config_static_selectorELNS0_4arch9wavefront6targetE1EEEvT1_,comdat
	.protected	_ZN7rocprim17ROCPRIM_400000_NS6detail17trampoline_kernelINS0_14default_configENS1_35adjacent_difference_config_selectorILb1EfEEZNS1_24adjacent_difference_implIS3_Lb1ELb0EPKfPfN6thrust23THRUST_200600_302600_NS4plusIfEEEE10hipError_tPvRmT2_T3_mT4_P12ihipStream_tbEUlT_E_NS1_11comp_targetILNS1_3genE8ELNS1_11target_archE1030ELNS1_3gpuE2ELNS1_3repE0EEENS1_30default_config_static_selectorELNS0_4arch9wavefront6targetE1EEEvT1_ ; -- Begin function _ZN7rocprim17ROCPRIM_400000_NS6detail17trampoline_kernelINS0_14default_configENS1_35adjacent_difference_config_selectorILb1EfEEZNS1_24adjacent_difference_implIS3_Lb1ELb0EPKfPfN6thrust23THRUST_200600_302600_NS4plusIfEEEE10hipError_tPvRmT2_T3_mT4_P12ihipStream_tbEUlT_E_NS1_11comp_targetILNS1_3genE8ELNS1_11target_archE1030ELNS1_3gpuE2ELNS1_3repE0EEENS1_30default_config_static_selectorELNS0_4arch9wavefront6targetE1EEEvT1_
	.globl	_ZN7rocprim17ROCPRIM_400000_NS6detail17trampoline_kernelINS0_14default_configENS1_35adjacent_difference_config_selectorILb1EfEEZNS1_24adjacent_difference_implIS3_Lb1ELb0EPKfPfN6thrust23THRUST_200600_302600_NS4plusIfEEEE10hipError_tPvRmT2_T3_mT4_P12ihipStream_tbEUlT_E_NS1_11comp_targetILNS1_3genE8ELNS1_11target_archE1030ELNS1_3gpuE2ELNS1_3repE0EEENS1_30default_config_static_selectorELNS0_4arch9wavefront6targetE1EEEvT1_
	.p2align	8
	.type	_ZN7rocprim17ROCPRIM_400000_NS6detail17trampoline_kernelINS0_14default_configENS1_35adjacent_difference_config_selectorILb1EfEEZNS1_24adjacent_difference_implIS3_Lb1ELb0EPKfPfN6thrust23THRUST_200600_302600_NS4plusIfEEEE10hipError_tPvRmT2_T3_mT4_P12ihipStream_tbEUlT_E_NS1_11comp_targetILNS1_3genE8ELNS1_11target_archE1030ELNS1_3gpuE2ELNS1_3repE0EEENS1_30default_config_static_selectorELNS0_4arch9wavefront6targetE1EEEvT1_,@function
_ZN7rocprim17ROCPRIM_400000_NS6detail17trampoline_kernelINS0_14default_configENS1_35adjacent_difference_config_selectorILb1EfEEZNS1_24adjacent_difference_implIS3_Lb1ELb0EPKfPfN6thrust23THRUST_200600_302600_NS4plusIfEEEE10hipError_tPvRmT2_T3_mT4_P12ihipStream_tbEUlT_E_NS1_11comp_targetILNS1_3genE8ELNS1_11target_archE1030ELNS1_3gpuE2ELNS1_3repE0EEENS1_30default_config_static_selectorELNS0_4arch9wavefront6targetE1EEEvT1_: ; @_ZN7rocprim17ROCPRIM_400000_NS6detail17trampoline_kernelINS0_14default_configENS1_35adjacent_difference_config_selectorILb1EfEEZNS1_24adjacent_difference_implIS3_Lb1ELb0EPKfPfN6thrust23THRUST_200600_302600_NS4plusIfEEEE10hipError_tPvRmT2_T3_mT4_P12ihipStream_tbEUlT_E_NS1_11comp_targetILNS1_3genE8ELNS1_11target_archE1030ELNS1_3gpuE2ELNS1_3repE0EEENS1_30default_config_static_selectorELNS0_4arch9wavefront6targetE1EEEvT1_
; %bb.0:
	.section	.rodata,"a",@progbits
	.p2align	6, 0x0
	.amdhsa_kernel _ZN7rocprim17ROCPRIM_400000_NS6detail17trampoline_kernelINS0_14default_configENS1_35adjacent_difference_config_selectorILb1EfEEZNS1_24adjacent_difference_implIS3_Lb1ELb0EPKfPfN6thrust23THRUST_200600_302600_NS4plusIfEEEE10hipError_tPvRmT2_T3_mT4_P12ihipStream_tbEUlT_E_NS1_11comp_targetILNS1_3genE8ELNS1_11target_archE1030ELNS1_3gpuE2ELNS1_3repE0EEENS1_30default_config_static_selectorELNS0_4arch9wavefront6targetE1EEEvT1_
		.amdhsa_group_segment_fixed_size 0
		.amdhsa_private_segment_fixed_size 0
		.amdhsa_kernarg_size 56
		.amdhsa_user_sgpr_count 6
		.amdhsa_user_sgpr_private_segment_buffer 1
		.amdhsa_user_sgpr_dispatch_ptr 0
		.amdhsa_user_sgpr_queue_ptr 0
		.amdhsa_user_sgpr_kernarg_segment_ptr 1
		.amdhsa_user_sgpr_dispatch_id 0
		.amdhsa_user_sgpr_flat_scratch_init 0
		.amdhsa_user_sgpr_kernarg_preload_length 0
		.amdhsa_user_sgpr_kernarg_preload_offset 0
		.amdhsa_user_sgpr_private_segment_size 0
		.amdhsa_uses_dynamic_stack 0
		.amdhsa_system_sgpr_private_segment_wavefront_offset 0
		.amdhsa_system_sgpr_workgroup_id_x 1
		.amdhsa_system_sgpr_workgroup_id_y 0
		.amdhsa_system_sgpr_workgroup_id_z 0
		.amdhsa_system_sgpr_workgroup_info 0
		.amdhsa_system_vgpr_workitem_id 0
		.amdhsa_next_free_vgpr 1
		.amdhsa_next_free_sgpr 0
		.amdhsa_accum_offset 4
		.amdhsa_reserve_vcc 0
		.amdhsa_reserve_flat_scratch 0
		.amdhsa_float_round_mode_32 0
		.amdhsa_float_round_mode_16_64 0
		.amdhsa_float_denorm_mode_32 3
		.amdhsa_float_denorm_mode_16_64 3
		.amdhsa_dx10_clamp 1
		.amdhsa_ieee_mode 1
		.amdhsa_fp16_overflow 0
		.amdhsa_tg_split 0
		.amdhsa_exception_fp_ieee_invalid_op 0
		.amdhsa_exception_fp_denorm_src 0
		.amdhsa_exception_fp_ieee_div_zero 0
		.amdhsa_exception_fp_ieee_overflow 0
		.amdhsa_exception_fp_ieee_underflow 0
		.amdhsa_exception_fp_ieee_inexact 0
		.amdhsa_exception_int_div_zero 0
	.end_amdhsa_kernel
	.section	.text._ZN7rocprim17ROCPRIM_400000_NS6detail17trampoline_kernelINS0_14default_configENS1_35adjacent_difference_config_selectorILb1EfEEZNS1_24adjacent_difference_implIS3_Lb1ELb0EPKfPfN6thrust23THRUST_200600_302600_NS4plusIfEEEE10hipError_tPvRmT2_T3_mT4_P12ihipStream_tbEUlT_E_NS1_11comp_targetILNS1_3genE8ELNS1_11target_archE1030ELNS1_3gpuE2ELNS1_3repE0EEENS1_30default_config_static_selectorELNS0_4arch9wavefront6targetE1EEEvT1_,"axG",@progbits,_ZN7rocprim17ROCPRIM_400000_NS6detail17trampoline_kernelINS0_14default_configENS1_35adjacent_difference_config_selectorILb1EfEEZNS1_24adjacent_difference_implIS3_Lb1ELb0EPKfPfN6thrust23THRUST_200600_302600_NS4plusIfEEEE10hipError_tPvRmT2_T3_mT4_P12ihipStream_tbEUlT_E_NS1_11comp_targetILNS1_3genE8ELNS1_11target_archE1030ELNS1_3gpuE2ELNS1_3repE0EEENS1_30default_config_static_selectorELNS0_4arch9wavefront6targetE1EEEvT1_,comdat
.Lfunc_end640:
	.size	_ZN7rocprim17ROCPRIM_400000_NS6detail17trampoline_kernelINS0_14default_configENS1_35adjacent_difference_config_selectorILb1EfEEZNS1_24adjacent_difference_implIS3_Lb1ELb0EPKfPfN6thrust23THRUST_200600_302600_NS4plusIfEEEE10hipError_tPvRmT2_T3_mT4_P12ihipStream_tbEUlT_E_NS1_11comp_targetILNS1_3genE8ELNS1_11target_archE1030ELNS1_3gpuE2ELNS1_3repE0EEENS1_30default_config_static_selectorELNS0_4arch9wavefront6targetE1EEEvT1_, .Lfunc_end640-_ZN7rocprim17ROCPRIM_400000_NS6detail17trampoline_kernelINS0_14default_configENS1_35adjacent_difference_config_selectorILb1EfEEZNS1_24adjacent_difference_implIS3_Lb1ELb0EPKfPfN6thrust23THRUST_200600_302600_NS4plusIfEEEE10hipError_tPvRmT2_T3_mT4_P12ihipStream_tbEUlT_E_NS1_11comp_targetILNS1_3genE8ELNS1_11target_archE1030ELNS1_3gpuE2ELNS1_3repE0EEENS1_30default_config_static_selectorELNS0_4arch9wavefront6targetE1EEEvT1_
                                        ; -- End function
	.section	.AMDGPU.csdata,"",@progbits
; Kernel info:
; codeLenInByte = 0
; NumSgprs: 4
; NumVgprs: 0
; NumAgprs: 0
; TotalNumVgprs: 0
; ScratchSize: 0
; MemoryBound: 0
; FloatMode: 240
; IeeeMode: 1
; LDSByteSize: 0 bytes/workgroup (compile time only)
; SGPRBlocks: 0
; VGPRBlocks: 0
; NumSGPRsForWavesPerEU: 4
; NumVGPRsForWavesPerEU: 1
; AccumOffset: 4
; Occupancy: 8
; WaveLimiterHint : 0
; COMPUTE_PGM_RSRC2:SCRATCH_EN: 0
; COMPUTE_PGM_RSRC2:USER_SGPR: 6
; COMPUTE_PGM_RSRC2:TRAP_HANDLER: 0
; COMPUTE_PGM_RSRC2:TGID_X_EN: 1
; COMPUTE_PGM_RSRC2:TGID_Y_EN: 0
; COMPUTE_PGM_RSRC2:TGID_Z_EN: 0
; COMPUTE_PGM_RSRC2:TIDIG_COMP_CNT: 0
; COMPUTE_PGM_RSRC3_GFX90A:ACCUM_OFFSET: 0
; COMPUTE_PGM_RSRC3_GFX90A:TG_SPLIT: 0
	.section	.text._ZN7rocprim17ROCPRIM_400000_NS6detail17trampoline_kernelINS0_14default_configENS1_35adjacent_difference_config_selectorILb0EdEEZNS1_24adjacent_difference_implIS3_Lb0ELb0EPKdPdN6thrust23THRUST_200600_302600_NS4plusIdEEEE10hipError_tPvRmT2_T3_mT4_P12ihipStream_tbEUlT_E_NS1_11comp_targetILNS1_3genE0ELNS1_11target_archE4294967295ELNS1_3gpuE0ELNS1_3repE0EEENS1_30default_config_static_selectorELNS0_4arch9wavefront6targetE1EEEvT1_,"axG",@progbits,_ZN7rocprim17ROCPRIM_400000_NS6detail17trampoline_kernelINS0_14default_configENS1_35adjacent_difference_config_selectorILb0EdEEZNS1_24adjacent_difference_implIS3_Lb0ELb0EPKdPdN6thrust23THRUST_200600_302600_NS4plusIdEEEE10hipError_tPvRmT2_T3_mT4_P12ihipStream_tbEUlT_E_NS1_11comp_targetILNS1_3genE0ELNS1_11target_archE4294967295ELNS1_3gpuE0ELNS1_3repE0EEENS1_30default_config_static_selectorELNS0_4arch9wavefront6targetE1EEEvT1_,comdat
	.protected	_ZN7rocprim17ROCPRIM_400000_NS6detail17trampoline_kernelINS0_14default_configENS1_35adjacent_difference_config_selectorILb0EdEEZNS1_24adjacent_difference_implIS3_Lb0ELb0EPKdPdN6thrust23THRUST_200600_302600_NS4plusIdEEEE10hipError_tPvRmT2_T3_mT4_P12ihipStream_tbEUlT_E_NS1_11comp_targetILNS1_3genE0ELNS1_11target_archE4294967295ELNS1_3gpuE0ELNS1_3repE0EEENS1_30default_config_static_selectorELNS0_4arch9wavefront6targetE1EEEvT1_ ; -- Begin function _ZN7rocprim17ROCPRIM_400000_NS6detail17trampoline_kernelINS0_14default_configENS1_35adjacent_difference_config_selectorILb0EdEEZNS1_24adjacent_difference_implIS3_Lb0ELb0EPKdPdN6thrust23THRUST_200600_302600_NS4plusIdEEEE10hipError_tPvRmT2_T3_mT4_P12ihipStream_tbEUlT_E_NS1_11comp_targetILNS1_3genE0ELNS1_11target_archE4294967295ELNS1_3gpuE0ELNS1_3repE0EEENS1_30default_config_static_selectorELNS0_4arch9wavefront6targetE1EEEvT1_
	.globl	_ZN7rocprim17ROCPRIM_400000_NS6detail17trampoline_kernelINS0_14default_configENS1_35adjacent_difference_config_selectorILb0EdEEZNS1_24adjacent_difference_implIS3_Lb0ELb0EPKdPdN6thrust23THRUST_200600_302600_NS4plusIdEEEE10hipError_tPvRmT2_T3_mT4_P12ihipStream_tbEUlT_E_NS1_11comp_targetILNS1_3genE0ELNS1_11target_archE4294967295ELNS1_3gpuE0ELNS1_3repE0EEENS1_30default_config_static_selectorELNS0_4arch9wavefront6targetE1EEEvT1_
	.p2align	8
	.type	_ZN7rocprim17ROCPRIM_400000_NS6detail17trampoline_kernelINS0_14default_configENS1_35adjacent_difference_config_selectorILb0EdEEZNS1_24adjacent_difference_implIS3_Lb0ELb0EPKdPdN6thrust23THRUST_200600_302600_NS4plusIdEEEE10hipError_tPvRmT2_T3_mT4_P12ihipStream_tbEUlT_E_NS1_11comp_targetILNS1_3genE0ELNS1_11target_archE4294967295ELNS1_3gpuE0ELNS1_3repE0EEENS1_30default_config_static_selectorELNS0_4arch9wavefront6targetE1EEEvT1_,@function
_ZN7rocprim17ROCPRIM_400000_NS6detail17trampoline_kernelINS0_14default_configENS1_35adjacent_difference_config_selectorILb0EdEEZNS1_24adjacent_difference_implIS3_Lb0ELb0EPKdPdN6thrust23THRUST_200600_302600_NS4plusIdEEEE10hipError_tPvRmT2_T3_mT4_P12ihipStream_tbEUlT_E_NS1_11comp_targetILNS1_3genE0ELNS1_11target_archE4294967295ELNS1_3gpuE0ELNS1_3repE0EEENS1_30default_config_static_selectorELNS0_4arch9wavefront6targetE1EEEvT1_: ; @_ZN7rocprim17ROCPRIM_400000_NS6detail17trampoline_kernelINS0_14default_configENS1_35adjacent_difference_config_selectorILb0EdEEZNS1_24adjacent_difference_implIS3_Lb0ELb0EPKdPdN6thrust23THRUST_200600_302600_NS4plusIdEEEE10hipError_tPvRmT2_T3_mT4_P12ihipStream_tbEUlT_E_NS1_11comp_targetILNS1_3genE0ELNS1_11target_archE4294967295ELNS1_3gpuE0ELNS1_3repE0EEENS1_30default_config_static_selectorELNS0_4arch9wavefront6targetE1EEEvT1_
; %bb.0:
	.section	.rodata,"a",@progbits
	.p2align	6, 0x0
	.amdhsa_kernel _ZN7rocprim17ROCPRIM_400000_NS6detail17trampoline_kernelINS0_14default_configENS1_35adjacent_difference_config_selectorILb0EdEEZNS1_24adjacent_difference_implIS3_Lb0ELb0EPKdPdN6thrust23THRUST_200600_302600_NS4plusIdEEEE10hipError_tPvRmT2_T3_mT4_P12ihipStream_tbEUlT_E_NS1_11comp_targetILNS1_3genE0ELNS1_11target_archE4294967295ELNS1_3gpuE0ELNS1_3repE0EEENS1_30default_config_static_selectorELNS0_4arch9wavefront6targetE1EEEvT1_
		.amdhsa_group_segment_fixed_size 0
		.amdhsa_private_segment_fixed_size 0
		.amdhsa_kernarg_size 56
		.amdhsa_user_sgpr_count 6
		.amdhsa_user_sgpr_private_segment_buffer 1
		.amdhsa_user_sgpr_dispatch_ptr 0
		.amdhsa_user_sgpr_queue_ptr 0
		.amdhsa_user_sgpr_kernarg_segment_ptr 1
		.amdhsa_user_sgpr_dispatch_id 0
		.amdhsa_user_sgpr_flat_scratch_init 0
		.amdhsa_user_sgpr_kernarg_preload_length 0
		.amdhsa_user_sgpr_kernarg_preload_offset 0
		.amdhsa_user_sgpr_private_segment_size 0
		.amdhsa_uses_dynamic_stack 0
		.amdhsa_system_sgpr_private_segment_wavefront_offset 0
		.amdhsa_system_sgpr_workgroup_id_x 1
		.amdhsa_system_sgpr_workgroup_id_y 0
		.amdhsa_system_sgpr_workgroup_id_z 0
		.amdhsa_system_sgpr_workgroup_info 0
		.amdhsa_system_vgpr_workitem_id 0
		.amdhsa_next_free_vgpr 1
		.amdhsa_next_free_sgpr 0
		.amdhsa_accum_offset 4
		.amdhsa_reserve_vcc 0
		.amdhsa_reserve_flat_scratch 0
		.amdhsa_float_round_mode_32 0
		.amdhsa_float_round_mode_16_64 0
		.amdhsa_float_denorm_mode_32 3
		.amdhsa_float_denorm_mode_16_64 3
		.amdhsa_dx10_clamp 1
		.amdhsa_ieee_mode 1
		.amdhsa_fp16_overflow 0
		.amdhsa_tg_split 0
		.amdhsa_exception_fp_ieee_invalid_op 0
		.amdhsa_exception_fp_denorm_src 0
		.amdhsa_exception_fp_ieee_div_zero 0
		.amdhsa_exception_fp_ieee_overflow 0
		.amdhsa_exception_fp_ieee_underflow 0
		.amdhsa_exception_fp_ieee_inexact 0
		.amdhsa_exception_int_div_zero 0
	.end_amdhsa_kernel
	.section	.text._ZN7rocprim17ROCPRIM_400000_NS6detail17trampoline_kernelINS0_14default_configENS1_35adjacent_difference_config_selectorILb0EdEEZNS1_24adjacent_difference_implIS3_Lb0ELb0EPKdPdN6thrust23THRUST_200600_302600_NS4plusIdEEEE10hipError_tPvRmT2_T3_mT4_P12ihipStream_tbEUlT_E_NS1_11comp_targetILNS1_3genE0ELNS1_11target_archE4294967295ELNS1_3gpuE0ELNS1_3repE0EEENS1_30default_config_static_selectorELNS0_4arch9wavefront6targetE1EEEvT1_,"axG",@progbits,_ZN7rocprim17ROCPRIM_400000_NS6detail17trampoline_kernelINS0_14default_configENS1_35adjacent_difference_config_selectorILb0EdEEZNS1_24adjacent_difference_implIS3_Lb0ELb0EPKdPdN6thrust23THRUST_200600_302600_NS4plusIdEEEE10hipError_tPvRmT2_T3_mT4_P12ihipStream_tbEUlT_E_NS1_11comp_targetILNS1_3genE0ELNS1_11target_archE4294967295ELNS1_3gpuE0ELNS1_3repE0EEENS1_30default_config_static_selectorELNS0_4arch9wavefront6targetE1EEEvT1_,comdat
.Lfunc_end641:
	.size	_ZN7rocprim17ROCPRIM_400000_NS6detail17trampoline_kernelINS0_14default_configENS1_35adjacent_difference_config_selectorILb0EdEEZNS1_24adjacent_difference_implIS3_Lb0ELb0EPKdPdN6thrust23THRUST_200600_302600_NS4plusIdEEEE10hipError_tPvRmT2_T3_mT4_P12ihipStream_tbEUlT_E_NS1_11comp_targetILNS1_3genE0ELNS1_11target_archE4294967295ELNS1_3gpuE0ELNS1_3repE0EEENS1_30default_config_static_selectorELNS0_4arch9wavefront6targetE1EEEvT1_, .Lfunc_end641-_ZN7rocprim17ROCPRIM_400000_NS6detail17trampoline_kernelINS0_14default_configENS1_35adjacent_difference_config_selectorILb0EdEEZNS1_24adjacent_difference_implIS3_Lb0ELb0EPKdPdN6thrust23THRUST_200600_302600_NS4plusIdEEEE10hipError_tPvRmT2_T3_mT4_P12ihipStream_tbEUlT_E_NS1_11comp_targetILNS1_3genE0ELNS1_11target_archE4294967295ELNS1_3gpuE0ELNS1_3repE0EEENS1_30default_config_static_selectorELNS0_4arch9wavefront6targetE1EEEvT1_
                                        ; -- End function
	.section	.AMDGPU.csdata,"",@progbits
; Kernel info:
; codeLenInByte = 0
; NumSgprs: 4
; NumVgprs: 0
; NumAgprs: 0
; TotalNumVgprs: 0
; ScratchSize: 0
; MemoryBound: 0
; FloatMode: 240
; IeeeMode: 1
; LDSByteSize: 0 bytes/workgroup (compile time only)
; SGPRBlocks: 0
; VGPRBlocks: 0
; NumSGPRsForWavesPerEU: 4
; NumVGPRsForWavesPerEU: 1
; AccumOffset: 4
; Occupancy: 8
; WaveLimiterHint : 0
; COMPUTE_PGM_RSRC2:SCRATCH_EN: 0
; COMPUTE_PGM_RSRC2:USER_SGPR: 6
; COMPUTE_PGM_RSRC2:TRAP_HANDLER: 0
; COMPUTE_PGM_RSRC2:TGID_X_EN: 1
; COMPUTE_PGM_RSRC2:TGID_Y_EN: 0
; COMPUTE_PGM_RSRC2:TGID_Z_EN: 0
; COMPUTE_PGM_RSRC2:TIDIG_COMP_CNT: 0
; COMPUTE_PGM_RSRC3_GFX90A:ACCUM_OFFSET: 0
; COMPUTE_PGM_RSRC3_GFX90A:TG_SPLIT: 0
	.section	.text._ZN7rocprim17ROCPRIM_400000_NS6detail17trampoline_kernelINS0_14default_configENS1_35adjacent_difference_config_selectorILb0EdEEZNS1_24adjacent_difference_implIS3_Lb0ELb0EPKdPdN6thrust23THRUST_200600_302600_NS4plusIdEEEE10hipError_tPvRmT2_T3_mT4_P12ihipStream_tbEUlT_E_NS1_11comp_targetILNS1_3genE10ELNS1_11target_archE1201ELNS1_3gpuE5ELNS1_3repE0EEENS1_30default_config_static_selectorELNS0_4arch9wavefront6targetE1EEEvT1_,"axG",@progbits,_ZN7rocprim17ROCPRIM_400000_NS6detail17trampoline_kernelINS0_14default_configENS1_35adjacent_difference_config_selectorILb0EdEEZNS1_24adjacent_difference_implIS3_Lb0ELb0EPKdPdN6thrust23THRUST_200600_302600_NS4plusIdEEEE10hipError_tPvRmT2_T3_mT4_P12ihipStream_tbEUlT_E_NS1_11comp_targetILNS1_3genE10ELNS1_11target_archE1201ELNS1_3gpuE5ELNS1_3repE0EEENS1_30default_config_static_selectorELNS0_4arch9wavefront6targetE1EEEvT1_,comdat
	.protected	_ZN7rocprim17ROCPRIM_400000_NS6detail17trampoline_kernelINS0_14default_configENS1_35adjacent_difference_config_selectorILb0EdEEZNS1_24adjacent_difference_implIS3_Lb0ELb0EPKdPdN6thrust23THRUST_200600_302600_NS4plusIdEEEE10hipError_tPvRmT2_T3_mT4_P12ihipStream_tbEUlT_E_NS1_11comp_targetILNS1_3genE10ELNS1_11target_archE1201ELNS1_3gpuE5ELNS1_3repE0EEENS1_30default_config_static_selectorELNS0_4arch9wavefront6targetE1EEEvT1_ ; -- Begin function _ZN7rocprim17ROCPRIM_400000_NS6detail17trampoline_kernelINS0_14default_configENS1_35adjacent_difference_config_selectorILb0EdEEZNS1_24adjacent_difference_implIS3_Lb0ELb0EPKdPdN6thrust23THRUST_200600_302600_NS4plusIdEEEE10hipError_tPvRmT2_T3_mT4_P12ihipStream_tbEUlT_E_NS1_11comp_targetILNS1_3genE10ELNS1_11target_archE1201ELNS1_3gpuE5ELNS1_3repE0EEENS1_30default_config_static_selectorELNS0_4arch9wavefront6targetE1EEEvT1_
	.globl	_ZN7rocprim17ROCPRIM_400000_NS6detail17trampoline_kernelINS0_14default_configENS1_35adjacent_difference_config_selectorILb0EdEEZNS1_24adjacent_difference_implIS3_Lb0ELb0EPKdPdN6thrust23THRUST_200600_302600_NS4plusIdEEEE10hipError_tPvRmT2_T3_mT4_P12ihipStream_tbEUlT_E_NS1_11comp_targetILNS1_3genE10ELNS1_11target_archE1201ELNS1_3gpuE5ELNS1_3repE0EEENS1_30default_config_static_selectorELNS0_4arch9wavefront6targetE1EEEvT1_
	.p2align	8
	.type	_ZN7rocprim17ROCPRIM_400000_NS6detail17trampoline_kernelINS0_14default_configENS1_35adjacent_difference_config_selectorILb0EdEEZNS1_24adjacent_difference_implIS3_Lb0ELb0EPKdPdN6thrust23THRUST_200600_302600_NS4plusIdEEEE10hipError_tPvRmT2_T3_mT4_P12ihipStream_tbEUlT_E_NS1_11comp_targetILNS1_3genE10ELNS1_11target_archE1201ELNS1_3gpuE5ELNS1_3repE0EEENS1_30default_config_static_selectorELNS0_4arch9wavefront6targetE1EEEvT1_,@function
_ZN7rocprim17ROCPRIM_400000_NS6detail17trampoline_kernelINS0_14default_configENS1_35adjacent_difference_config_selectorILb0EdEEZNS1_24adjacent_difference_implIS3_Lb0ELb0EPKdPdN6thrust23THRUST_200600_302600_NS4plusIdEEEE10hipError_tPvRmT2_T3_mT4_P12ihipStream_tbEUlT_E_NS1_11comp_targetILNS1_3genE10ELNS1_11target_archE1201ELNS1_3gpuE5ELNS1_3repE0EEENS1_30default_config_static_selectorELNS0_4arch9wavefront6targetE1EEEvT1_: ; @_ZN7rocprim17ROCPRIM_400000_NS6detail17trampoline_kernelINS0_14default_configENS1_35adjacent_difference_config_selectorILb0EdEEZNS1_24adjacent_difference_implIS3_Lb0ELb0EPKdPdN6thrust23THRUST_200600_302600_NS4plusIdEEEE10hipError_tPvRmT2_T3_mT4_P12ihipStream_tbEUlT_E_NS1_11comp_targetILNS1_3genE10ELNS1_11target_archE1201ELNS1_3gpuE5ELNS1_3repE0EEENS1_30default_config_static_selectorELNS0_4arch9wavefront6targetE1EEEvT1_
; %bb.0:
	.section	.rodata,"a",@progbits
	.p2align	6, 0x0
	.amdhsa_kernel _ZN7rocprim17ROCPRIM_400000_NS6detail17trampoline_kernelINS0_14default_configENS1_35adjacent_difference_config_selectorILb0EdEEZNS1_24adjacent_difference_implIS3_Lb0ELb0EPKdPdN6thrust23THRUST_200600_302600_NS4plusIdEEEE10hipError_tPvRmT2_T3_mT4_P12ihipStream_tbEUlT_E_NS1_11comp_targetILNS1_3genE10ELNS1_11target_archE1201ELNS1_3gpuE5ELNS1_3repE0EEENS1_30default_config_static_selectorELNS0_4arch9wavefront6targetE1EEEvT1_
		.amdhsa_group_segment_fixed_size 0
		.amdhsa_private_segment_fixed_size 0
		.amdhsa_kernarg_size 56
		.amdhsa_user_sgpr_count 6
		.amdhsa_user_sgpr_private_segment_buffer 1
		.amdhsa_user_sgpr_dispatch_ptr 0
		.amdhsa_user_sgpr_queue_ptr 0
		.amdhsa_user_sgpr_kernarg_segment_ptr 1
		.amdhsa_user_sgpr_dispatch_id 0
		.amdhsa_user_sgpr_flat_scratch_init 0
		.amdhsa_user_sgpr_kernarg_preload_length 0
		.amdhsa_user_sgpr_kernarg_preload_offset 0
		.amdhsa_user_sgpr_private_segment_size 0
		.amdhsa_uses_dynamic_stack 0
		.amdhsa_system_sgpr_private_segment_wavefront_offset 0
		.amdhsa_system_sgpr_workgroup_id_x 1
		.amdhsa_system_sgpr_workgroup_id_y 0
		.amdhsa_system_sgpr_workgroup_id_z 0
		.amdhsa_system_sgpr_workgroup_info 0
		.amdhsa_system_vgpr_workitem_id 0
		.amdhsa_next_free_vgpr 1
		.amdhsa_next_free_sgpr 0
		.amdhsa_accum_offset 4
		.amdhsa_reserve_vcc 0
		.amdhsa_reserve_flat_scratch 0
		.amdhsa_float_round_mode_32 0
		.amdhsa_float_round_mode_16_64 0
		.amdhsa_float_denorm_mode_32 3
		.amdhsa_float_denorm_mode_16_64 3
		.amdhsa_dx10_clamp 1
		.amdhsa_ieee_mode 1
		.amdhsa_fp16_overflow 0
		.amdhsa_tg_split 0
		.amdhsa_exception_fp_ieee_invalid_op 0
		.amdhsa_exception_fp_denorm_src 0
		.amdhsa_exception_fp_ieee_div_zero 0
		.amdhsa_exception_fp_ieee_overflow 0
		.amdhsa_exception_fp_ieee_underflow 0
		.amdhsa_exception_fp_ieee_inexact 0
		.amdhsa_exception_int_div_zero 0
	.end_amdhsa_kernel
	.section	.text._ZN7rocprim17ROCPRIM_400000_NS6detail17trampoline_kernelINS0_14default_configENS1_35adjacent_difference_config_selectorILb0EdEEZNS1_24adjacent_difference_implIS3_Lb0ELb0EPKdPdN6thrust23THRUST_200600_302600_NS4plusIdEEEE10hipError_tPvRmT2_T3_mT4_P12ihipStream_tbEUlT_E_NS1_11comp_targetILNS1_3genE10ELNS1_11target_archE1201ELNS1_3gpuE5ELNS1_3repE0EEENS1_30default_config_static_selectorELNS0_4arch9wavefront6targetE1EEEvT1_,"axG",@progbits,_ZN7rocprim17ROCPRIM_400000_NS6detail17trampoline_kernelINS0_14default_configENS1_35adjacent_difference_config_selectorILb0EdEEZNS1_24adjacent_difference_implIS3_Lb0ELb0EPKdPdN6thrust23THRUST_200600_302600_NS4plusIdEEEE10hipError_tPvRmT2_T3_mT4_P12ihipStream_tbEUlT_E_NS1_11comp_targetILNS1_3genE10ELNS1_11target_archE1201ELNS1_3gpuE5ELNS1_3repE0EEENS1_30default_config_static_selectorELNS0_4arch9wavefront6targetE1EEEvT1_,comdat
.Lfunc_end642:
	.size	_ZN7rocprim17ROCPRIM_400000_NS6detail17trampoline_kernelINS0_14default_configENS1_35adjacent_difference_config_selectorILb0EdEEZNS1_24adjacent_difference_implIS3_Lb0ELb0EPKdPdN6thrust23THRUST_200600_302600_NS4plusIdEEEE10hipError_tPvRmT2_T3_mT4_P12ihipStream_tbEUlT_E_NS1_11comp_targetILNS1_3genE10ELNS1_11target_archE1201ELNS1_3gpuE5ELNS1_3repE0EEENS1_30default_config_static_selectorELNS0_4arch9wavefront6targetE1EEEvT1_, .Lfunc_end642-_ZN7rocprim17ROCPRIM_400000_NS6detail17trampoline_kernelINS0_14default_configENS1_35adjacent_difference_config_selectorILb0EdEEZNS1_24adjacent_difference_implIS3_Lb0ELb0EPKdPdN6thrust23THRUST_200600_302600_NS4plusIdEEEE10hipError_tPvRmT2_T3_mT4_P12ihipStream_tbEUlT_E_NS1_11comp_targetILNS1_3genE10ELNS1_11target_archE1201ELNS1_3gpuE5ELNS1_3repE0EEENS1_30default_config_static_selectorELNS0_4arch9wavefront6targetE1EEEvT1_
                                        ; -- End function
	.section	.AMDGPU.csdata,"",@progbits
; Kernel info:
; codeLenInByte = 0
; NumSgprs: 4
; NumVgprs: 0
; NumAgprs: 0
; TotalNumVgprs: 0
; ScratchSize: 0
; MemoryBound: 0
; FloatMode: 240
; IeeeMode: 1
; LDSByteSize: 0 bytes/workgroup (compile time only)
; SGPRBlocks: 0
; VGPRBlocks: 0
; NumSGPRsForWavesPerEU: 4
; NumVGPRsForWavesPerEU: 1
; AccumOffset: 4
; Occupancy: 8
; WaveLimiterHint : 0
; COMPUTE_PGM_RSRC2:SCRATCH_EN: 0
; COMPUTE_PGM_RSRC2:USER_SGPR: 6
; COMPUTE_PGM_RSRC2:TRAP_HANDLER: 0
; COMPUTE_PGM_RSRC2:TGID_X_EN: 1
; COMPUTE_PGM_RSRC2:TGID_Y_EN: 0
; COMPUTE_PGM_RSRC2:TGID_Z_EN: 0
; COMPUTE_PGM_RSRC2:TIDIG_COMP_CNT: 0
; COMPUTE_PGM_RSRC3_GFX90A:ACCUM_OFFSET: 0
; COMPUTE_PGM_RSRC3_GFX90A:TG_SPLIT: 0
	.section	.text._ZN7rocprim17ROCPRIM_400000_NS6detail17trampoline_kernelINS0_14default_configENS1_35adjacent_difference_config_selectorILb0EdEEZNS1_24adjacent_difference_implIS3_Lb0ELb0EPKdPdN6thrust23THRUST_200600_302600_NS4plusIdEEEE10hipError_tPvRmT2_T3_mT4_P12ihipStream_tbEUlT_E_NS1_11comp_targetILNS1_3genE5ELNS1_11target_archE942ELNS1_3gpuE9ELNS1_3repE0EEENS1_30default_config_static_selectorELNS0_4arch9wavefront6targetE1EEEvT1_,"axG",@progbits,_ZN7rocprim17ROCPRIM_400000_NS6detail17trampoline_kernelINS0_14default_configENS1_35adjacent_difference_config_selectorILb0EdEEZNS1_24adjacent_difference_implIS3_Lb0ELb0EPKdPdN6thrust23THRUST_200600_302600_NS4plusIdEEEE10hipError_tPvRmT2_T3_mT4_P12ihipStream_tbEUlT_E_NS1_11comp_targetILNS1_3genE5ELNS1_11target_archE942ELNS1_3gpuE9ELNS1_3repE0EEENS1_30default_config_static_selectorELNS0_4arch9wavefront6targetE1EEEvT1_,comdat
	.protected	_ZN7rocprim17ROCPRIM_400000_NS6detail17trampoline_kernelINS0_14default_configENS1_35adjacent_difference_config_selectorILb0EdEEZNS1_24adjacent_difference_implIS3_Lb0ELb0EPKdPdN6thrust23THRUST_200600_302600_NS4plusIdEEEE10hipError_tPvRmT2_T3_mT4_P12ihipStream_tbEUlT_E_NS1_11comp_targetILNS1_3genE5ELNS1_11target_archE942ELNS1_3gpuE9ELNS1_3repE0EEENS1_30default_config_static_selectorELNS0_4arch9wavefront6targetE1EEEvT1_ ; -- Begin function _ZN7rocprim17ROCPRIM_400000_NS6detail17trampoline_kernelINS0_14default_configENS1_35adjacent_difference_config_selectorILb0EdEEZNS1_24adjacent_difference_implIS3_Lb0ELb0EPKdPdN6thrust23THRUST_200600_302600_NS4plusIdEEEE10hipError_tPvRmT2_T3_mT4_P12ihipStream_tbEUlT_E_NS1_11comp_targetILNS1_3genE5ELNS1_11target_archE942ELNS1_3gpuE9ELNS1_3repE0EEENS1_30default_config_static_selectorELNS0_4arch9wavefront6targetE1EEEvT1_
	.globl	_ZN7rocprim17ROCPRIM_400000_NS6detail17trampoline_kernelINS0_14default_configENS1_35adjacent_difference_config_selectorILb0EdEEZNS1_24adjacent_difference_implIS3_Lb0ELb0EPKdPdN6thrust23THRUST_200600_302600_NS4plusIdEEEE10hipError_tPvRmT2_T3_mT4_P12ihipStream_tbEUlT_E_NS1_11comp_targetILNS1_3genE5ELNS1_11target_archE942ELNS1_3gpuE9ELNS1_3repE0EEENS1_30default_config_static_selectorELNS0_4arch9wavefront6targetE1EEEvT1_
	.p2align	8
	.type	_ZN7rocprim17ROCPRIM_400000_NS6detail17trampoline_kernelINS0_14default_configENS1_35adjacent_difference_config_selectorILb0EdEEZNS1_24adjacent_difference_implIS3_Lb0ELb0EPKdPdN6thrust23THRUST_200600_302600_NS4plusIdEEEE10hipError_tPvRmT2_T3_mT4_P12ihipStream_tbEUlT_E_NS1_11comp_targetILNS1_3genE5ELNS1_11target_archE942ELNS1_3gpuE9ELNS1_3repE0EEENS1_30default_config_static_selectorELNS0_4arch9wavefront6targetE1EEEvT1_,@function
_ZN7rocprim17ROCPRIM_400000_NS6detail17trampoline_kernelINS0_14default_configENS1_35adjacent_difference_config_selectorILb0EdEEZNS1_24adjacent_difference_implIS3_Lb0ELb0EPKdPdN6thrust23THRUST_200600_302600_NS4plusIdEEEE10hipError_tPvRmT2_T3_mT4_P12ihipStream_tbEUlT_E_NS1_11comp_targetILNS1_3genE5ELNS1_11target_archE942ELNS1_3gpuE9ELNS1_3repE0EEENS1_30default_config_static_selectorELNS0_4arch9wavefront6targetE1EEEvT1_: ; @_ZN7rocprim17ROCPRIM_400000_NS6detail17trampoline_kernelINS0_14default_configENS1_35adjacent_difference_config_selectorILb0EdEEZNS1_24adjacent_difference_implIS3_Lb0ELb0EPKdPdN6thrust23THRUST_200600_302600_NS4plusIdEEEE10hipError_tPvRmT2_T3_mT4_P12ihipStream_tbEUlT_E_NS1_11comp_targetILNS1_3genE5ELNS1_11target_archE942ELNS1_3gpuE9ELNS1_3repE0EEENS1_30default_config_static_selectorELNS0_4arch9wavefront6targetE1EEEvT1_
; %bb.0:
	.section	.rodata,"a",@progbits
	.p2align	6, 0x0
	.amdhsa_kernel _ZN7rocprim17ROCPRIM_400000_NS6detail17trampoline_kernelINS0_14default_configENS1_35adjacent_difference_config_selectorILb0EdEEZNS1_24adjacent_difference_implIS3_Lb0ELb0EPKdPdN6thrust23THRUST_200600_302600_NS4plusIdEEEE10hipError_tPvRmT2_T3_mT4_P12ihipStream_tbEUlT_E_NS1_11comp_targetILNS1_3genE5ELNS1_11target_archE942ELNS1_3gpuE9ELNS1_3repE0EEENS1_30default_config_static_selectorELNS0_4arch9wavefront6targetE1EEEvT1_
		.amdhsa_group_segment_fixed_size 0
		.amdhsa_private_segment_fixed_size 0
		.amdhsa_kernarg_size 56
		.amdhsa_user_sgpr_count 6
		.amdhsa_user_sgpr_private_segment_buffer 1
		.amdhsa_user_sgpr_dispatch_ptr 0
		.amdhsa_user_sgpr_queue_ptr 0
		.amdhsa_user_sgpr_kernarg_segment_ptr 1
		.amdhsa_user_sgpr_dispatch_id 0
		.amdhsa_user_sgpr_flat_scratch_init 0
		.amdhsa_user_sgpr_kernarg_preload_length 0
		.amdhsa_user_sgpr_kernarg_preload_offset 0
		.amdhsa_user_sgpr_private_segment_size 0
		.amdhsa_uses_dynamic_stack 0
		.amdhsa_system_sgpr_private_segment_wavefront_offset 0
		.amdhsa_system_sgpr_workgroup_id_x 1
		.amdhsa_system_sgpr_workgroup_id_y 0
		.amdhsa_system_sgpr_workgroup_id_z 0
		.amdhsa_system_sgpr_workgroup_info 0
		.amdhsa_system_vgpr_workitem_id 0
		.amdhsa_next_free_vgpr 1
		.amdhsa_next_free_sgpr 0
		.amdhsa_accum_offset 4
		.amdhsa_reserve_vcc 0
		.amdhsa_reserve_flat_scratch 0
		.amdhsa_float_round_mode_32 0
		.amdhsa_float_round_mode_16_64 0
		.amdhsa_float_denorm_mode_32 3
		.amdhsa_float_denorm_mode_16_64 3
		.amdhsa_dx10_clamp 1
		.amdhsa_ieee_mode 1
		.amdhsa_fp16_overflow 0
		.amdhsa_tg_split 0
		.amdhsa_exception_fp_ieee_invalid_op 0
		.amdhsa_exception_fp_denorm_src 0
		.amdhsa_exception_fp_ieee_div_zero 0
		.amdhsa_exception_fp_ieee_overflow 0
		.amdhsa_exception_fp_ieee_underflow 0
		.amdhsa_exception_fp_ieee_inexact 0
		.amdhsa_exception_int_div_zero 0
	.end_amdhsa_kernel
	.section	.text._ZN7rocprim17ROCPRIM_400000_NS6detail17trampoline_kernelINS0_14default_configENS1_35adjacent_difference_config_selectorILb0EdEEZNS1_24adjacent_difference_implIS3_Lb0ELb0EPKdPdN6thrust23THRUST_200600_302600_NS4plusIdEEEE10hipError_tPvRmT2_T3_mT4_P12ihipStream_tbEUlT_E_NS1_11comp_targetILNS1_3genE5ELNS1_11target_archE942ELNS1_3gpuE9ELNS1_3repE0EEENS1_30default_config_static_selectorELNS0_4arch9wavefront6targetE1EEEvT1_,"axG",@progbits,_ZN7rocprim17ROCPRIM_400000_NS6detail17trampoline_kernelINS0_14default_configENS1_35adjacent_difference_config_selectorILb0EdEEZNS1_24adjacent_difference_implIS3_Lb0ELb0EPKdPdN6thrust23THRUST_200600_302600_NS4plusIdEEEE10hipError_tPvRmT2_T3_mT4_P12ihipStream_tbEUlT_E_NS1_11comp_targetILNS1_3genE5ELNS1_11target_archE942ELNS1_3gpuE9ELNS1_3repE0EEENS1_30default_config_static_selectorELNS0_4arch9wavefront6targetE1EEEvT1_,comdat
.Lfunc_end643:
	.size	_ZN7rocprim17ROCPRIM_400000_NS6detail17trampoline_kernelINS0_14default_configENS1_35adjacent_difference_config_selectorILb0EdEEZNS1_24adjacent_difference_implIS3_Lb0ELb0EPKdPdN6thrust23THRUST_200600_302600_NS4plusIdEEEE10hipError_tPvRmT2_T3_mT4_P12ihipStream_tbEUlT_E_NS1_11comp_targetILNS1_3genE5ELNS1_11target_archE942ELNS1_3gpuE9ELNS1_3repE0EEENS1_30default_config_static_selectorELNS0_4arch9wavefront6targetE1EEEvT1_, .Lfunc_end643-_ZN7rocprim17ROCPRIM_400000_NS6detail17trampoline_kernelINS0_14default_configENS1_35adjacent_difference_config_selectorILb0EdEEZNS1_24adjacent_difference_implIS3_Lb0ELb0EPKdPdN6thrust23THRUST_200600_302600_NS4plusIdEEEE10hipError_tPvRmT2_T3_mT4_P12ihipStream_tbEUlT_E_NS1_11comp_targetILNS1_3genE5ELNS1_11target_archE942ELNS1_3gpuE9ELNS1_3repE0EEENS1_30default_config_static_selectorELNS0_4arch9wavefront6targetE1EEEvT1_
                                        ; -- End function
	.section	.AMDGPU.csdata,"",@progbits
; Kernel info:
; codeLenInByte = 0
; NumSgprs: 4
; NumVgprs: 0
; NumAgprs: 0
; TotalNumVgprs: 0
; ScratchSize: 0
; MemoryBound: 0
; FloatMode: 240
; IeeeMode: 1
; LDSByteSize: 0 bytes/workgroup (compile time only)
; SGPRBlocks: 0
; VGPRBlocks: 0
; NumSGPRsForWavesPerEU: 4
; NumVGPRsForWavesPerEU: 1
; AccumOffset: 4
; Occupancy: 8
; WaveLimiterHint : 0
; COMPUTE_PGM_RSRC2:SCRATCH_EN: 0
; COMPUTE_PGM_RSRC2:USER_SGPR: 6
; COMPUTE_PGM_RSRC2:TRAP_HANDLER: 0
; COMPUTE_PGM_RSRC2:TGID_X_EN: 1
; COMPUTE_PGM_RSRC2:TGID_Y_EN: 0
; COMPUTE_PGM_RSRC2:TGID_Z_EN: 0
; COMPUTE_PGM_RSRC2:TIDIG_COMP_CNT: 0
; COMPUTE_PGM_RSRC3_GFX90A:ACCUM_OFFSET: 0
; COMPUTE_PGM_RSRC3_GFX90A:TG_SPLIT: 0
	.section	.text._ZN7rocprim17ROCPRIM_400000_NS6detail17trampoline_kernelINS0_14default_configENS1_35adjacent_difference_config_selectorILb0EdEEZNS1_24adjacent_difference_implIS3_Lb0ELb0EPKdPdN6thrust23THRUST_200600_302600_NS4plusIdEEEE10hipError_tPvRmT2_T3_mT4_P12ihipStream_tbEUlT_E_NS1_11comp_targetILNS1_3genE4ELNS1_11target_archE910ELNS1_3gpuE8ELNS1_3repE0EEENS1_30default_config_static_selectorELNS0_4arch9wavefront6targetE1EEEvT1_,"axG",@progbits,_ZN7rocprim17ROCPRIM_400000_NS6detail17trampoline_kernelINS0_14default_configENS1_35adjacent_difference_config_selectorILb0EdEEZNS1_24adjacent_difference_implIS3_Lb0ELb0EPKdPdN6thrust23THRUST_200600_302600_NS4plusIdEEEE10hipError_tPvRmT2_T3_mT4_P12ihipStream_tbEUlT_E_NS1_11comp_targetILNS1_3genE4ELNS1_11target_archE910ELNS1_3gpuE8ELNS1_3repE0EEENS1_30default_config_static_selectorELNS0_4arch9wavefront6targetE1EEEvT1_,comdat
	.protected	_ZN7rocprim17ROCPRIM_400000_NS6detail17trampoline_kernelINS0_14default_configENS1_35adjacent_difference_config_selectorILb0EdEEZNS1_24adjacent_difference_implIS3_Lb0ELb0EPKdPdN6thrust23THRUST_200600_302600_NS4plusIdEEEE10hipError_tPvRmT2_T3_mT4_P12ihipStream_tbEUlT_E_NS1_11comp_targetILNS1_3genE4ELNS1_11target_archE910ELNS1_3gpuE8ELNS1_3repE0EEENS1_30default_config_static_selectorELNS0_4arch9wavefront6targetE1EEEvT1_ ; -- Begin function _ZN7rocprim17ROCPRIM_400000_NS6detail17trampoline_kernelINS0_14default_configENS1_35adjacent_difference_config_selectorILb0EdEEZNS1_24adjacent_difference_implIS3_Lb0ELb0EPKdPdN6thrust23THRUST_200600_302600_NS4plusIdEEEE10hipError_tPvRmT2_T3_mT4_P12ihipStream_tbEUlT_E_NS1_11comp_targetILNS1_3genE4ELNS1_11target_archE910ELNS1_3gpuE8ELNS1_3repE0EEENS1_30default_config_static_selectorELNS0_4arch9wavefront6targetE1EEEvT1_
	.globl	_ZN7rocprim17ROCPRIM_400000_NS6detail17trampoline_kernelINS0_14default_configENS1_35adjacent_difference_config_selectorILb0EdEEZNS1_24adjacent_difference_implIS3_Lb0ELb0EPKdPdN6thrust23THRUST_200600_302600_NS4plusIdEEEE10hipError_tPvRmT2_T3_mT4_P12ihipStream_tbEUlT_E_NS1_11comp_targetILNS1_3genE4ELNS1_11target_archE910ELNS1_3gpuE8ELNS1_3repE0EEENS1_30default_config_static_selectorELNS0_4arch9wavefront6targetE1EEEvT1_
	.p2align	8
	.type	_ZN7rocprim17ROCPRIM_400000_NS6detail17trampoline_kernelINS0_14default_configENS1_35adjacent_difference_config_selectorILb0EdEEZNS1_24adjacent_difference_implIS3_Lb0ELb0EPKdPdN6thrust23THRUST_200600_302600_NS4plusIdEEEE10hipError_tPvRmT2_T3_mT4_P12ihipStream_tbEUlT_E_NS1_11comp_targetILNS1_3genE4ELNS1_11target_archE910ELNS1_3gpuE8ELNS1_3repE0EEENS1_30default_config_static_selectorELNS0_4arch9wavefront6targetE1EEEvT1_,@function
_ZN7rocprim17ROCPRIM_400000_NS6detail17trampoline_kernelINS0_14default_configENS1_35adjacent_difference_config_selectorILb0EdEEZNS1_24adjacent_difference_implIS3_Lb0ELb0EPKdPdN6thrust23THRUST_200600_302600_NS4plusIdEEEE10hipError_tPvRmT2_T3_mT4_P12ihipStream_tbEUlT_E_NS1_11comp_targetILNS1_3genE4ELNS1_11target_archE910ELNS1_3gpuE8ELNS1_3repE0EEENS1_30default_config_static_selectorELNS0_4arch9wavefront6targetE1EEEvT1_: ; @_ZN7rocprim17ROCPRIM_400000_NS6detail17trampoline_kernelINS0_14default_configENS1_35adjacent_difference_config_selectorILb0EdEEZNS1_24adjacent_difference_implIS3_Lb0ELb0EPKdPdN6thrust23THRUST_200600_302600_NS4plusIdEEEE10hipError_tPvRmT2_T3_mT4_P12ihipStream_tbEUlT_E_NS1_11comp_targetILNS1_3genE4ELNS1_11target_archE910ELNS1_3gpuE8ELNS1_3repE0EEENS1_30default_config_static_selectorELNS0_4arch9wavefront6targetE1EEEvT1_
; %bb.0:
	s_load_dwordx8 s[8:15], s[4:5], 0x0
	s_load_dwordx2 s[0:1], s[4:5], 0x30
	s_mov_b32 s5, 0
	s_mov_b64 s[16:17], -1
	s_waitcnt lgkmcnt(0)
	s_lshl_b64 s[10:11], s[10:11], 3
	s_add_u32 s20, s8, s10
	s_addc_u32 s21, s9, s11
	s_lshl_b32 s4, s6, 9
	s_lshr_b64 s[2:3], s[14:15], 9
	s_and_b32 s8, s14, 0x1ff
	s_mov_b32 s9, s5
	s_cmp_lg_u64 s[8:9], 0
	s_cselect_b64 s[8:9], -1, 0
	v_cndmask_b32_e64 v1, 0, 1, s[8:9]
	v_readfirstlane_b32 s7, v1
	s_add_u32 s2, s2, s7
	s_addc_u32 s3, s3, 0
	s_add_u32 s8, s0, s6
	s_addc_u32 s9, s1, 0
	s_add_u32 s6, s2, -1
	s_addc_u32 s7, s3, -1
	v_pk_mov_b32 v[2:3], s[6:7], s[6:7] op_sel:[0,1]
	v_cmp_ge_u64_e64 s[0:1], s[8:9], v[2:3]
	s_and_b64 vcc, exec, s[0:1]
	s_cbranch_vccz .LBB644_6
; %bb.1:
	s_lshl_b32 s15, s6, 9
	s_sub_i32 s15, s14, s15
	s_lshl_b64 s[16:17], s[4:5], 3
	s_add_u32 s16, s20, s16
	s_addc_u32 s17, s21, s17
	v_cmp_gt_u32_e32 vcc, s15, v0
                                        ; implicit-def: $vgpr2_vgpr3_vgpr4_vgpr5
	s_and_saveexec_b64 s[18:19], vcc
	s_cbranch_execz .LBB644_3
; %bb.2:
	v_lshlrev_b32_e32 v1, 3, v0
	global_load_dwordx2 v[2:3], v1, s[16:17]
.LBB644_3:
	s_or_b64 exec, exec, s[18:19]
	v_or_b32_e32 v1, 0x100, v0
	v_cmp_gt_u32_e32 vcc, s15, v1
	s_and_saveexec_b64 s[18:19], vcc
	s_cbranch_execz .LBB644_5
; %bb.4:
	v_lshlrev_b32_e32 v4, 3, v0
	global_load_dwordx2 v[4:5], v4, s[16:17] offset:2048
.LBB644_5:
	s_or_b64 exec, exec, s[18:19]
	v_lshrrev_b32_e32 v6, 2, v0
	v_lshrrev_b32_e32 v1, 2, v1
	v_and_b32_e32 v6, 56, v6
	v_lshlrev_b32_e32 v7, 3, v0
	v_and_b32_e32 v1, 0x78, v1
	v_add_u32_e32 v6, v6, v7
	v_add_u32_e32 v1, v1, v7
	s_mov_b64 s[16:17], 0
	s_waitcnt vmcnt(0)
	ds_write_b64 v6, v[2:3]
	ds_write_b64 v1, v[4:5] offset:2048
	s_waitcnt lgkmcnt(0)
	s_barrier
.LBB644_6:
	s_and_b64 vcc, exec, s[16:17]
	v_lshlrev_b32_e32 v1, 3, v0
	s_cbranch_vccz .LBB644_8
; %bb.7:
	s_lshl_b64 s[16:17], s[4:5], 3
	s_add_u32 s16, s20, s16
	s_addc_u32 s17, s21, s17
	global_load_dwordx2 v[2:3], v1, s[16:17]
	global_load_dwordx2 v[4:5], v1, s[16:17] offset:2048
	v_lshrrev_b32_e32 v6, 2, v0
	v_or_b32_e32 v7, 0x100, v0
	v_and_b32_e32 v6, 56, v6
	v_lshrrev_b32_e32 v7, 2, v7
	v_add_u32_e32 v6, v6, v1
	v_and_b32_e32 v7, 0x78, v7
	v_add_u32_e32 v7, v7, v1
	s_waitcnt vmcnt(1)
	ds_write_b64 v6, v[2:3]
	s_waitcnt vmcnt(0)
	ds_write_b64 v7, v[4:5] offset:2048
	s_waitcnt lgkmcnt(0)
	s_barrier
.LBB644_8:
	v_lshlrev_b32_e32 v2, 1, v0
	v_lshrrev_b32_e32 v3, 4, v0
	v_add_lshl_u32 v2, v3, v2, 3
	ds_read2_b64 v[2:5], v2 offset1:1
	s_cmp_eq_u64 s[8:9], 0
	s_waitcnt lgkmcnt(0)
	s_barrier
	s_cbranch_scc1 .LBB644_13
; %bb.9:
	s_lshl_b64 s[16:17], s[4:5], 3
	s_add_u32 s5, s20, s16
	s_addc_u32 s15, s21, s17
	s_add_u32 s16, s5, -8
	s_addc_u32 s17, s15, -1
	s_load_dwordx2 s[16:17], s[16:17], 0x0
	s_cmp_eq_u64 s[8:9], s[6:7]
	s_cbranch_scc1 .LBB644_14
; %bb.10:
	v_cmp_ne_u32_e32 vcc, 0, v0
	s_waitcnt lgkmcnt(0)
	v_pk_mov_b32 v[6:7], s[16:17], s[16:17] op_sel:[0,1]
	ds_write_b64 v1, v[4:5]
	s_waitcnt lgkmcnt(0)
	s_barrier
	s_and_saveexec_b64 s[18:19], vcc
	s_cbranch_execz .LBB644_12
; %bb.11:
	v_add_u32_e32 v6, -8, v1
	ds_read_b64 v[6:7], v6
.LBB644_12:
	s_or_b64 exec, exec, s[18:19]
	v_add_f64 v[10:11], v[2:3], v[4:5]
	s_waitcnt lgkmcnt(0)
	v_add_f64 v[6:7], v[2:3], v[6:7]
	s_branch .LBB644_18
.LBB644_13:
                                        ; implicit-def: $vgpr10_vgpr11
                                        ; implicit-def: $vgpr6_vgpr7_vgpr8_vgpr9
	s_branch .LBB644_19
.LBB644_14:
                                        ; implicit-def: $vgpr10_vgpr11
                                        ; implicit-def: $vgpr6_vgpr7_vgpr8_vgpr9
	s_cbranch_execz .LBB644_18
; %bb.15:
	v_cmp_ne_u32_e32 vcc, 0, v0
	s_waitcnt lgkmcnt(0)
	v_pk_mov_b32 v[6:7], s[16:17], s[16:17] op_sel:[0,1]
	ds_write_b64 v1, v[4:5]
	s_waitcnt lgkmcnt(0)
	s_barrier
	s_and_saveexec_b64 s[16:17], vcc
	s_cbranch_execz .LBB644_17
; %bb.16:
	v_add_u32_e32 v6, -8, v1
	ds_read_b64 v[6:7], v6
.LBB644_17:
	s_or_b64 exec, exec, s[16:17]
	s_lshl_b32 s5, s8, 9
	v_lshlrev_b32_e32 v12, 1, v0
	s_sub_i32 s5, s14, s5
	v_or_b32_e32 v10, 1, v12
	v_add_f64 v[8:9], v[2:3], v[4:5]
	v_cmp_gt_u32_e32 vcc, s5, v10
	v_cndmask_b32_e32 v11, v5, v9, vcc
	v_cndmask_b32_e32 v10, v4, v8, vcc
	s_waitcnt lgkmcnt(0)
	v_add_f64 v[6:7], v[2:3], v[6:7]
	v_cmp_gt_u32_e32 vcc, s5, v12
	v_cndmask_b32_e32 v7, v3, v7, vcc
	v_cndmask_b32_e32 v6, v2, v6, vcc
.LBB644_18:
	s_cbranch_execnz .LBB644_27
.LBB644_19:
	s_cmp_eq_u64 s[2:3], 1
	v_add_f64 v[10:11], v[2:3], v[4:5]
	v_cmp_ne_u32_e32 vcc, 0, v0
	s_cbranch_scc1 .LBB644_23
; %bb.20:
	v_pk_mov_b32 v[6:7], v[2:3], v[2:3] op_sel:[0,1]
	ds_write_b64 v1, v[4:5]
	s_waitcnt lgkmcnt(0)
	s_barrier
	s_and_saveexec_b64 s[2:3], vcc
	s_cbranch_execz .LBB644_22
; %bb.21:
	v_add_u32_e32 v6, -8, v1
	ds_read_b64 v[6:7], v6
	s_waitcnt lgkmcnt(0)
	v_add_f64 v[6:7], v[2:3], v[6:7]
.LBB644_22:
	s_or_b64 exec, exec, s[2:3]
	s_cbranch_execz .LBB644_24
	s_branch .LBB644_27
.LBB644_23:
                                        ; implicit-def: $vgpr6_vgpr7_vgpr8_vgpr9
.LBB644_24:
	v_lshlrev_b32_e32 v6, 1, v0
	v_or_b32_e32 v7, 1, v6
	v_cmp_gt_u32_e32 vcc, s14, v7
	v_cndmask_b32_e32 v11, v5, v11, vcc
	v_cndmask_b32_e32 v10, v4, v10, vcc
	v_cmp_ne_u32_e32 vcc, 0, v0
	v_cmp_gt_u32_e64 s[2:3], s14, v6
	s_and_b64 s[8:9], vcc, s[2:3]
	ds_write_b64 v1, v[4:5]
	s_waitcnt lgkmcnt(0)
	s_barrier
	s_and_saveexec_b64 s[2:3], s[8:9]
	s_cbranch_execz .LBB644_26
; %bb.25:
	v_add_u32_e32 v4, -8, v1
	ds_read_b64 v[4:5], v4
	s_waitcnt lgkmcnt(0)
	v_add_f64 v[2:3], v[2:3], v[4:5]
.LBB644_26:
	s_or_b64 exec, exec, s[2:3]
	v_pk_mov_b32 v[6:7], v[2:3], v[2:3] op_sel:[0,1]
.LBB644_27:
	s_add_u32 s7, s12, s10
	s_addc_u32 s8, s13, s11
	s_and_b64 vcc, exec, s[0:1]
	v_lshrrev_b32_e32 v8, 1, v0
	s_waitcnt lgkmcnt(0)
	s_barrier
	s_cbranch_vccz .LBB644_31
; %bb.28:
	v_and_b32_e32 v2, 0x78, v8
	v_lshl_add_u32 v2, v0, 4, v2
	v_or_b32_e32 v9, 0x100, v0
	s_lshl_b32 s0, s6, 9
	s_mov_b32 s5, 0
	ds_write2_b64 v2, v[6:7], v[10:11] offset1:1
	v_lshrrev_b32_e32 v2, 5, v9
	s_sub_i32 s2, s14, s0
	s_lshl_b64 s[0:1], s[4:5], 3
	v_add_lshl_u32 v2, v2, v0, 3
	s_add_u32 s0, s7, s0
	s_waitcnt lgkmcnt(0)
	s_barrier
	ds_read_b64 v[2:3], v2 offset:2048
	s_addc_u32 s1, s8, s1
	v_mov_b32_e32 v5, s1
	v_add_co_u32_e32 v4, vcc, s0, v1
	v_addc_co_u32_e32 v5, vcc, 0, v5, vcc
	v_cmp_gt_u32_e32 vcc, s2, v0
	s_and_saveexec_b64 s[0:1], vcc
	s_cbranch_execz .LBB644_30
; %bb.29:
	v_lshrrev_b32_e32 v12, 5, v0
	v_add_lshl_u32 v12, v12, v0, 3
	ds_read_b64 v[12:13], v12
	s_waitcnt lgkmcnt(0)
	global_store_dwordx2 v[4:5], v[12:13], off
.LBB644_30:
	s_or_b64 exec, exec, s[0:1]
	v_cmp_gt_u32_e64 s[0:1], s2, v9
	s_branch .LBB644_33
.LBB644_31:
	s_mov_b64 s[0:1], 0
                                        ; implicit-def: $vgpr2_vgpr3
                                        ; implicit-def: $vgpr4_vgpr5
	s_cbranch_execz .LBB644_33
; %bb.32:
	s_waitcnt lgkmcnt(0)
	v_and_b32_e32 v2, 0x78, v8
	v_lshl_add_u32 v2, v0, 4, v2
	s_mov_b32 s5, 0
	ds_write2_b64 v2, v[6:7], v[10:11] offset1:1
	v_lshrrev_b32_e32 v2, 5, v0
	v_or_b32_e32 v3, 0x100, v0
	s_lshl_b64 s[2:3], s[4:5], 3
	v_add_lshl_u32 v2, v2, v0, 3
	v_lshrrev_b32_e32 v3, 5, v3
	s_add_u32 s2, s7, s2
	s_waitcnt lgkmcnt(0)
	s_barrier
	v_add_lshl_u32 v0, v3, v0, 3
	ds_read_b64 v[6:7], v2
	ds_read_b64 v[2:3], v0 offset:2048
	s_addc_u32 s3, s8, s3
	v_mov_b32_e32 v0, s3
	v_add_co_u32_e32 v4, vcc, s2, v1
	v_addc_co_u32_e32 v5, vcc, 0, v0, vcc
	s_or_b64 s[0:1], s[0:1], exec
	s_waitcnt lgkmcnt(1)
	global_store_dwordx2 v1, v[6:7], s[2:3]
.LBB644_33:
	s_and_saveexec_b64 s[2:3], s[0:1]
	s_cbranch_execnz .LBB644_35
; %bb.34:
	s_endpgm
.LBB644_35:
	s_waitcnt lgkmcnt(0)
	global_store_dwordx2 v[4:5], v[2:3], off offset:2048
	s_endpgm
	.section	.rodata,"a",@progbits
	.p2align	6, 0x0
	.amdhsa_kernel _ZN7rocprim17ROCPRIM_400000_NS6detail17trampoline_kernelINS0_14default_configENS1_35adjacent_difference_config_selectorILb0EdEEZNS1_24adjacent_difference_implIS3_Lb0ELb0EPKdPdN6thrust23THRUST_200600_302600_NS4plusIdEEEE10hipError_tPvRmT2_T3_mT4_P12ihipStream_tbEUlT_E_NS1_11comp_targetILNS1_3genE4ELNS1_11target_archE910ELNS1_3gpuE8ELNS1_3repE0EEENS1_30default_config_static_selectorELNS0_4arch9wavefront6targetE1EEEvT1_
		.amdhsa_group_segment_fixed_size 4224
		.amdhsa_private_segment_fixed_size 0
		.amdhsa_kernarg_size 56
		.amdhsa_user_sgpr_count 6
		.amdhsa_user_sgpr_private_segment_buffer 1
		.amdhsa_user_sgpr_dispatch_ptr 0
		.amdhsa_user_sgpr_queue_ptr 0
		.amdhsa_user_sgpr_kernarg_segment_ptr 1
		.amdhsa_user_sgpr_dispatch_id 0
		.amdhsa_user_sgpr_flat_scratch_init 0
		.amdhsa_user_sgpr_kernarg_preload_length 0
		.amdhsa_user_sgpr_kernarg_preload_offset 0
		.amdhsa_user_sgpr_private_segment_size 0
		.amdhsa_uses_dynamic_stack 0
		.amdhsa_system_sgpr_private_segment_wavefront_offset 0
		.amdhsa_system_sgpr_workgroup_id_x 1
		.amdhsa_system_sgpr_workgroup_id_y 0
		.amdhsa_system_sgpr_workgroup_id_z 0
		.amdhsa_system_sgpr_workgroup_info 0
		.amdhsa_system_vgpr_workitem_id 0
		.amdhsa_next_free_vgpr 14
		.amdhsa_next_free_sgpr 22
		.amdhsa_accum_offset 16
		.amdhsa_reserve_vcc 1
		.amdhsa_reserve_flat_scratch 0
		.amdhsa_float_round_mode_32 0
		.amdhsa_float_round_mode_16_64 0
		.amdhsa_float_denorm_mode_32 3
		.amdhsa_float_denorm_mode_16_64 3
		.amdhsa_dx10_clamp 1
		.amdhsa_ieee_mode 1
		.amdhsa_fp16_overflow 0
		.amdhsa_tg_split 0
		.amdhsa_exception_fp_ieee_invalid_op 0
		.amdhsa_exception_fp_denorm_src 0
		.amdhsa_exception_fp_ieee_div_zero 0
		.amdhsa_exception_fp_ieee_overflow 0
		.amdhsa_exception_fp_ieee_underflow 0
		.amdhsa_exception_fp_ieee_inexact 0
		.amdhsa_exception_int_div_zero 0
	.end_amdhsa_kernel
	.section	.text._ZN7rocprim17ROCPRIM_400000_NS6detail17trampoline_kernelINS0_14default_configENS1_35adjacent_difference_config_selectorILb0EdEEZNS1_24adjacent_difference_implIS3_Lb0ELb0EPKdPdN6thrust23THRUST_200600_302600_NS4plusIdEEEE10hipError_tPvRmT2_T3_mT4_P12ihipStream_tbEUlT_E_NS1_11comp_targetILNS1_3genE4ELNS1_11target_archE910ELNS1_3gpuE8ELNS1_3repE0EEENS1_30default_config_static_selectorELNS0_4arch9wavefront6targetE1EEEvT1_,"axG",@progbits,_ZN7rocprim17ROCPRIM_400000_NS6detail17trampoline_kernelINS0_14default_configENS1_35adjacent_difference_config_selectorILb0EdEEZNS1_24adjacent_difference_implIS3_Lb0ELb0EPKdPdN6thrust23THRUST_200600_302600_NS4plusIdEEEE10hipError_tPvRmT2_T3_mT4_P12ihipStream_tbEUlT_E_NS1_11comp_targetILNS1_3genE4ELNS1_11target_archE910ELNS1_3gpuE8ELNS1_3repE0EEENS1_30default_config_static_selectorELNS0_4arch9wavefront6targetE1EEEvT1_,comdat
.Lfunc_end644:
	.size	_ZN7rocprim17ROCPRIM_400000_NS6detail17trampoline_kernelINS0_14default_configENS1_35adjacent_difference_config_selectorILb0EdEEZNS1_24adjacent_difference_implIS3_Lb0ELb0EPKdPdN6thrust23THRUST_200600_302600_NS4plusIdEEEE10hipError_tPvRmT2_T3_mT4_P12ihipStream_tbEUlT_E_NS1_11comp_targetILNS1_3genE4ELNS1_11target_archE910ELNS1_3gpuE8ELNS1_3repE0EEENS1_30default_config_static_selectorELNS0_4arch9wavefront6targetE1EEEvT1_, .Lfunc_end644-_ZN7rocprim17ROCPRIM_400000_NS6detail17trampoline_kernelINS0_14default_configENS1_35adjacent_difference_config_selectorILb0EdEEZNS1_24adjacent_difference_implIS3_Lb0ELb0EPKdPdN6thrust23THRUST_200600_302600_NS4plusIdEEEE10hipError_tPvRmT2_T3_mT4_P12ihipStream_tbEUlT_E_NS1_11comp_targetILNS1_3genE4ELNS1_11target_archE910ELNS1_3gpuE8ELNS1_3repE0EEENS1_30default_config_static_selectorELNS0_4arch9wavefront6targetE1EEEvT1_
                                        ; -- End function
	.section	.AMDGPU.csdata,"",@progbits
; Kernel info:
; codeLenInByte = 1200
; NumSgprs: 26
; NumVgprs: 14
; NumAgprs: 0
; TotalNumVgprs: 14
; ScratchSize: 0
; MemoryBound: 0
; FloatMode: 240
; IeeeMode: 1
; LDSByteSize: 4224 bytes/workgroup (compile time only)
; SGPRBlocks: 3
; VGPRBlocks: 1
; NumSGPRsForWavesPerEU: 26
; NumVGPRsForWavesPerEU: 14
; AccumOffset: 16
; Occupancy: 8
; WaveLimiterHint : 1
; COMPUTE_PGM_RSRC2:SCRATCH_EN: 0
; COMPUTE_PGM_RSRC2:USER_SGPR: 6
; COMPUTE_PGM_RSRC2:TRAP_HANDLER: 0
; COMPUTE_PGM_RSRC2:TGID_X_EN: 1
; COMPUTE_PGM_RSRC2:TGID_Y_EN: 0
; COMPUTE_PGM_RSRC2:TGID_Z_EN: 0
; COMPUTE_PGM_RSRC2:TIDIG_COMP_CNT: 0
; COMPUTE_PGM_RSRC3_GFX90A:ACCUM_OFFSET: 3
; COMPUTE_PGM_RSRC3_GFX90A:TG_SPLIT: 0
	.section	.text._ZN7rocprim17ROCPRIM_400000_NS6detail17trampoline_kernelINS0_14default_configENS1_35adjacent_difference_config_selectorILb0EdEEZNS1_24adjacent_difference_implIS3_Lb0ELb0EPKdPdN6thrust23THRUST_200600_302600_NS4plusIdEEEE10hipError_tPvRmT2_T3_mT4_P12ihipStream_tbEUlT_E_NS1_11comp_targetILNS1_3genE3ELNS1_11target_archE908ELNS1_3gpuE7ELNS1_3repE0EEENS1_30default_config_static_selectorELNS0_4arch9wavefront6targetE1EEEvT1_,"axG",@progbits,_ZN7rocprim17ROCPRIM_400000_NS6detail17trampoline_kernelINS0_14default_configENS1_35adjacent_difference_config_selectorILb0EdEEZNS1_24adjacent_difference_implIS3_Lb0ELb0EPKdPdN6thrust23THRUST_200600_302600_NS4plusIdEEEE10hipError_tPvRmT2_T3_mT4_P12ihipStream_tbEUlT_E_NS1_11comp_targetILNS1_3genE3ELNS1_11target_archE908ELNS1_3gpuE7ELNS1_3repE0EEENS1_30default_config_static_selectorELNS0_4arch9wavefront6targetE1EEEvT1_,comdat
	.protected	_ZN7rocprim17ROCPRIM_400000_NS6detail17trampoline_kernelINS0_14default_configENS1_35adjacent_difference_config_selectorILb0EdEEZNS1_24adjacent_difference_implIS3_Lb0ELb0EPKdPdN6thrust23THRUST_200600_302600_NS4plusIdEEEE10hipError_tPvRmT2_T3_mT4_P12ihipStream_tbEUlT_E_NS1_11comp_targetILNS1_3genE3ELNS1_11target_archE908ELNS1_3gpuE7ELNS1_3repE0EEENS1_30default_config_static_selectorELNS0_4arch9wavefront6targetE1EEEvT1_ ; -- Begin function _ZN7rocprim17ROCPRIM_400000_NS6detail17trampoline_kernelINS0_14default_configENS1_35adjacent_difference_config_selectorILb0EdEEZNS1_24adjacent_difference_implIS3_Lb0ELb0EPKdPdN6thrust23THRUST_200600_302600_NS4plusIdEEEE10hipError_tPvRmT2_T3_mT4_P12ihipStream_tbEUlT_E_NS1_11comp_targetILNS1_3genE3ELNS1_11target_archE908ELNS1_3gpuE7ELNS1_3repE0EEENS1_30default_config_static_selectorELNS0_4arch9wavefront6targetE1EEEvT1_
	.globl	_ZN7rocprim17ROCPRIM_400000_NS6detail17trampoline_kernelINS0_14default_configENS1_35adjacent_difference_config_selectorILb0EdEEZNS1_24adjacent_difference_implIS3_Lb0ELb0EPKdPdN6thrust23THRUST_200600_302600_NS4plusIdEEEE10hipError_tPvRmT2_T3_mT4_P12ihipStream_tbEUlT_E_NS1_11comp_targetILNS1_3genE3ELNS1_11target_archE908ELNS1_3gpuE7ELNS1_3repE0EEENS1_30default_config_static_selectorELNS0_4arch9wavefront6targetE1EEEvT1_
	.p2align	8
	.type	_ZN7rocprim17ROCPRIM_400000_NS6detail17trampoline_kernelINS0_14default_configENS1_35adjacent_difference_config_selectorILb0EdEEZNS1_24adjacent_difference_implIS3_Lb0ELb0EPKdPdN6thrust23THRUST_200600_302600_NS4plusIdEEEE10hipError_tPvRmT2_T3_mT4_P12ihipStream_tbEUlT_E_NS1_11comp_targetILNS1_3genE3ELNS1_11target_archE908ELNS1_3gpuE7ELNS1_3repE0EEENS1_30default_config_static_selectorELNS0_4arch9wavefront6targetE1EEEvT1_,@function
_ZN7rocprim17ROCPRIM_400000_NS6detail17trampoline_kernelINS0_14default_configENS1_35adjacent_difference_config_selectorILb0EdEEZNS1_24adjacent_difference_implIS3_Lb0ELb0EPKdPdN6thrust23THRUST_200600_302600_NS4plusIdEEEE10hipError_tPvRmT2_T3_mT4_P12ihipStream_tbEUlT_E_NS1_11comp_targetILNS1_3genE3ELNS1_11target_archE908ELNS1_3gpuE7ELNS1_3repE0EEENS1_30default_config_static_selectorELNS0_4arch9wavefront6targetE1EEEvT1_: ; @_ZN7rocprim17ROCPRIM_400000_NS6detail17trampoline_kernelINS0_14default_configENS1_35adjacent_difference_config_selectorILb0EdEEZNS1_24adjacent_difference_implIS3_Lb0ELb0EPKdPdN6thrust23THRUST_200600_302600_NS4plusIdEEEE10hipError_tPvRmT2_T3_mT4_P12ihipStream_tbEUlT_E_NS1_11comp_targetILNS1_3genE3ELNS1_11target_archE908ELNS1_3gpuE7ELNS1_3repE0EEENS1_30default_config_static_selectorELNS0_4arch9wavefront6targetE1EEEvT1_
; %bb.0:
	.section	.rodata,"a",@progbits
	.p2align	6, 0x0
	.amdhsa_kernel _ZN7rocprim17ROCPRIM_400000_NS6detail17trampoline_kernelINS0_14default_configENS1_35adjacent_difference_config_selectorILb0EdEEZNS1_24adjacent_difference_implIS3_Lb0ELb0EPKdPdN6thrust23THRUST_200600_302600_NS4plusIdEEEE10hipError_tPvRmT2_T3_mT4_P12ihipStream_tbEUlT_E_NS1_11comp_targetILNS1_3genE3ELNS1_11target_archE908ELNS1_3gpuE7ELNS1_3repE0EEENS1_30default_config_static_selectorELNS0_4arch9wavefront6targetE1EEEvT1_
		.amdhsa_group_segment_fixed_size 0
		.amdhsa_private_segment_fixed_size 0
		.amdhsa_kernarg_size 56
		.amdhsa_user_sgpr_count 6
		.amdhsa_user_sgpr_private_segment_buffer 1
		.amdhsa_user_sgpr_dispatch_ptr 0
		.amdhsa_user_sgpr_queue_ptr 0
		.amdhsa_user_sgpr_kernarg_segment_ptr 1
		.amdhsa_user_sgpr_dispatch_id 0
		.amdhsa_user_sgpr_flat_scratch_init 0
		.amdhsa_user_sgpr_kernarg_preload_length 0
		.amdhsa_user_sgpr_kernarg_preload_offset 0
		.amdhsa_user_sgpr_private_segment_size 0
		.amdhsa_uses_dynamic_stack 0
		.amdhsa_system_sgpr_private_segment_wavefront_offset 0
		.amdhsa_system_sgpr_workgroup_id_x 1
		.amdhsa_system_sgpr_workgroup_id_y 0
		.amdhsa_system_sgpr_workgroup_id_z 0
		.amdhsa_system_sgpr_workgroup_info 0
		.amdhsa_system_vgpr_workitem_id 0
		.amdhsa_next_free_vgpr 1
		.amdhsa_next_free_sgpr 0
		.amdhsa_accum_offset 4
		.amdhsa_reserve_vcc 0
		.amdhsa_reserve_flat_scratch 0
		.amdhsa_float_round_mode_32 0
		.amdhsa_float_round_mode_16_64 0
		.amdhsa_float_denorm_mode_32 3
		.amdhsa_float_denorm_mode_16_64 3
		.amdhsa_dx10_clamp 1
		.amdhsa_ieee_mode 1
		.amdhsa_fp16_overflow 0
		.amdhsa_tg_split 0
		.amdhsa_exception_fp_ieee_invalid_op 0
		.amdhsa_exception_fp_denorm_src 0
		.amdhsa_exception_fp_ieee_div_zero 0
		.amdhsa_exception_fp_ieee_overflow 0
		.amdhsa_exception_fp_ieee_underflow 0
		.amdhsa_exception_fp_ieee_inexact 0
		.amdhsa_exception_int_div_zero 0
	.end_amdhsa_kernel
	.section	.text._ZN7rocprim17ROCPRIM_400000_NS6detail17trampoline_kernelINS0_14default_configENS1_35adjacent_difference_config_selectorILb0EdEEZNS1_24adjacent_difference_implIS3_Lb0ELb0EPKdPdN6thrust23THRUST_200600_302600_NS4plusIdEEEE10hipError_tPvRmT2_T3_mT4_P12ihipStream_tbEUlT_E_NS1_11comp_targetILNS1_3genE3ELNS1_11target_archE908ELNS1_3gpuE7ELNS1_3repE0EEENS1_30default_config_static_selectorELNS0_4arch9wavefront6targetE1EEEvT1_,"axG",@progbits,_ZN7rocprim17ROCPRIM_400000_NS6detail17trampoline_kernelINS0_14default_configENS1_35adjacent_difference_config_selectorILb0EdEEZNS1_24adjacent_difference_implIS3_Lb0ELb0EPKdPdN6thrust23THRUST_200600_302600_NS4plusIdEEEE10hipError_tPvRmT2_T3_mT4_P12ihipStream_tbEUlT_E_NS1_11comp_targetILNS1_3genE3ELNS1_11target_archE908ELNS1_3gpuE7ELNS1_3repE0EEENS1_30default_config_static_selectorELNS0_4arch9wavefront6targetE1EEEvT1_,comdat
.Lfunc_end645:
	.size	_ZN7rocprim17ROCPRIM_400000_NS6detail17trampoline_kernelINS0_14default_configENS1_35adjacent_difference_config_selectorILb0EdEEZNS1_24adjacent_difference_implIS3_Lb0ELb0EPKdPdN6thrust23THRUST_200600_302600_NS4plusIdEEEE10hipError_tPvRmT2_T3_mT4_P12ihipStream_tbEUlT_E_NS1_11comp_targetILNS1_3genE3ELNS1_11target_archE908ELNS1_3gpuE7ELNS1_3repE0EEENS1_30default_config_static_selectorELNS0_4arch9wavefront6targetE1EEEvT1_, .Lfunc_end645-_ZN7rocprim17ROCPRIM_400000_NS6detail17trampoline_kernelINS0_14default_configENS1_35adjacent_difference_config_selectorILb0EdEEZNS1_24adjacent_difference_implIS3_Lb0ELb0EPKdPdN6thrust23THRUST_200600_302600_NS4plusIdEEEE10hipError_tPvRmT2_T3_mT4_P12ihipStream_tbEUlT_E_NS1_11comp_targetILNS1_3genE3ELNS1_11target_archE908ELNS1_3gpuE7ELNS1_3repE0EEENS1_30default_config_static_selectorELNS0_4arch9wavefront6targetE1EEEvT1_
                                        ; -- End function
	.section	.AMDGPU.csdata,"",@progbits
; Kernel info:
; codeLenInByte = 0
; NumSgprs: 4
; NumVgprs: 0
; NumAgprs: 0
; TotalNumVgprs: 0
; ScratchSize: 0
; MemoryBound: 0
; FloatMode: 240
; IeeeMode: 1
; LDSByteSize: 0 bytes/workgroup (compile time only)
; SGPRBlocks: 0
; VGPRBlocks: 0
; NumSGPRsForWavesPerEU: 4
; NumVGPRsForWavesPerEU: 1
; AccumOffset: 4
; Occupancy: 8
; WaveLimiterHint : 0
; COMPUTE_PGM_RSRC2:SCRATCH_EN: 0
; COMPUTE_PGM_RSRC2:USER_SGPR: 6
; COMPUTE_PGM_RSRC2:TRAP_HANDLER: 0
; COMPUTE_PGM_RSRC2:TGID_X_EN: 1
; COMPUTE_PGM_RSRC2:TGID_Y_EN: 0
; COMPUTE_PGM_RSRC2:TGID_Z_EN: 0
; COMPUTE_PGM_RSRC2:TIDIG_COMP_CNT: 0
; COMPUTE_PGM_RSRC3_GFX90A:ACCUM_OFFSET: 0
; COMPUTE_PGM_RSRC3_GFX90A:TG_SPLIT: 0
	.section	.text._ZN7rocprim17ROCPRIM_400000_NS6detail17trampoline_kernelINS0_14default_configENS1_35adjacent_difference_config_selectorILb0EdEEZNS1_24adjacent_difference_implIS3_Lb0ELb0EPKdPdN6thrust23THRUST_200600_302600_NS4plusIdEEEE10hipError_tPvRmT2_T3_mT4_P12ihipStream_tbEUlT_E_NS1_11comp_targetILNS1_3genE2ELNS1_11target_archE906ELNS1_3gpuE6ELNS1_3repE0EEENS1_30default_config_static_selectorELNS0_4arch9wavefront6targetE1EEEvT1_,"axG",@progbits,_ZN7rocprim17ROCPRIM_400000_NS6detail17trampoline_kernelINS0_14default_configENS1_35adjacent_difference_config_selectorILb0EdEEZNS1_24adjacent_difference_implIS3_Lb0ELb0EPKdPdN6thrust23THRUST_200600_302600_NS4plusIdEEEE10hipError_tPvRmT2_T3_mT4_P12ihipStream_tbEUlT_E_NS1_11comp_targetILNS1_3genE2ELNS1_11target_archE906ELNS1_3gpuE6ELNS1_3repE0EEENS1_30default_config_static_selectorELNS0_4arch9wavefront6targetE1EEEvT1_,comdat
	.protected	_ZN7rocprim17ROCPRIM_400000_NS6detail17trampoline_kernelINS0_14default_configENS1_35adjacent_difference_config_selectorILb0EdEEZNS1_24adjacent_difference_implIS3_Lb0ELb0EPKdPdN6thrust23THRUST_200600_302600_NS4plusIdEEEE10hipError_tPvRmT2_T3_mT4_P12ihipStream_tbEUlT_E_NS1_11comp_targetILNS1_3genE2ELNS1_11target_archE906ELNS1_3gpuE6ELNS1_3repE0EEENS1_30default_config_static_selectorELNS0_4arch9wavefront6targetE1EEEvT1_ ; -- Begin function _ZN7rocprim17ROCPRIM_400000_NS6detail17trampoline_kernelINS0_14default_configENS1_35adjacent_difference_config_selectorILb0EdEEZNS1_24adjacent_difference_implIS3_Lb0ELb0EPKdPdN6thrust23THRUST_200600_302600_NS4plusIdEEEE10hipError_tPvRmT2_T3_mT4_P12ihipStream_tbEUlT_E_NS1_11comp_targetILNS1_3genE2ELNS1_11target_archE906ELNS1_3gpuE6ELNS1_3repE0EEENS1_30default_config_static_selectorELNS0_4arch9wavefront6targetE1EEEvT1_
	.globl	_ZN7rocprim17ROCPRIM_400000_NS6detail17trampoline_kernelINS0_14default_configENS1_35adjacent_difference_config_selectorILb0EdEEZNS1_24adjacent_difference_implIS3_Lb0ELb0EPKdPdN6thrust23THRUST_200600_302600_NS4plusIdEEEE10hipError_tPvRmT2_T3_mT4_P12ihipStream_tbEUlT_E_NS1_11comp_targetILNS1_3genE2ELNS1_11target_archE906ELNS1_3gpuE6ELNS1_3repE0EEENS1_30default_config_static_selectorELNS0_4arch9wavefront6targetE1EEEvT1_
	.p2align	8
	.type	_ZN7rocprim17ROCPRIM_400000_NS6detail17trampoline_kernelINS0_14default_configENS1_35adjacent_difference_config_selectorILb0EdEEZNS1_24adjacent_difference_implIS3_Lb0ELb0EPKdPdN6thrust23THRUST_200600_302600_NS4plusIdEEEE10hipError_tPvRmT2_T3_mT4_P12ihipStream_tbEUlT_E_NS1_11comp_targetILNS1_3genE2ELNS1_11target_archE906ELNS1_3gpuE6ELNS1_3repE0EEENS1_30default_config_static_selectorELNS0_4arch9wavefront6targetE1EEEvT1_,@function
_ZN7rocprim17ROCPRIM_400000_NS6detail17trampoline_kernelINS0_14default_configENS1_35adjacent_difference_config_selectorILb0EdEEZNS1_24adjacent_difference_implIS3_Lb0ELb0EPKdPdN6thrust23THRUST_200600_302600_NS4plusIdEEEE10hipError_tPvRmT2_T3_mT4_P12ihipStream_tbEUlT_E_NS1_11comp_targetILNS1_3genE2ELNS1_11target_archE906ELNS1_3gpuE6ELNS1_3repE0EEENS1_30default_config_static_selectorELNS0_4arch9wavefront6targetE1EEEvT1_: ; @_ZN7rocprim17ROCPRIM_400000_NS6detail17trampoline_kernelINS0_14default_configENS1_35adjacent_difference_config_selectorILb0EdEEZNS1_24adjacent_difference_implIS3_Lb0ELb0EPKdPdN6thrust23THRUST_200600_302600_NS4plusIdEEEE10hipError_tPvRmT2_T3_mT4_P12ihipStream_tbEUlT_E_NS1_11comp_targetILNS1_3genE2ELNS1_11target_archE906ELNS1_3gpuE6ELNS1_3repE0EEENS1_30default_config_static_selectorELNS0_4arch9wavefront6targetE1EEEvT1_
; %bb.0:
	.section	.rodata,"a",@progbits
	.p2align	6, 0x0
	.amdhsa_kernel _ZN7rocprim17ROCPRIM_400000_NS6detail17trampoline_kernelINS0_14default_configENS1_35adjacent_difference_config_selectorILb0EdEEZNS1_24adjacent_difference_implIS3_Lb0ELb0EPKdPdN6thrust23THRUST_200600_302600_NS4plusIdEEEE10hipError_tPvRmT2_T3_mT4_P12ihipStream_tbEUlT_E_NS1_11comp_targetILNS1_3genE2ELNS1_11target_archE906ELNS1_3gpuE6ELNS1_3repE0EEENS1_30default_config_static_selectorELNS0_4arch9wavefront6targetE1EEEvT1_
		.amdhsa_group_segment_fixed_size 0
		.amdhsa_private_segment_fixed_size 0
		.amdhsa_kernarg_size 56
		.amdhsa_user_sgpr_count 6
		.amdhsa_user_sgpr_private_segment_buffer 1
		.amdhsa_user_sgpr_dispatch_ptr 0
		.amdhsa_user_sgpr_queue_ptr 0
		.amdhsa_user_sgpr_kernarg_segment_ptr 1
		.amdhsa_user_sgpr_dispatch_id 0
		.amdhsa_user_sgpr_flat_scratch_init 0
		.amdhsa_user_sgpr_kernarg_preload_length 0
		.amdhsa_user_sgpr_kernarg_preload_offset 0
		.amdhsa_user_sgpr_private_segment_size 0
		.amdhsa_uses_dynamic_stack 0
		.amdhsa_system_sgpr_private_segment_wavefront_offset 0
		.amdhsa_system_sgpr_workgroup_id_x 1
		.amdhsa_system_sgpr_workgroup_id_y 0
		.amdhsa_system_sgpr_workgroup_id_z 0
		.amdhsa_system_sgpr_workgroup_info 0
		.amdhsa_system_vgpr_workitem_id 0
		.amdhsa_next_free_vgpr 1
		.amdhsa_next_free_sgpr 0
		.amdhsa_accum_offset 4
		.amdhsa_reserve_vcc 0
		.amdhsa_reserve_flat_scratch 0
		.amdhsa_float_round_mode_32 0
		.amdhsa_float_round_mode_16_64 0
		.amdhsa_float_denorm_mode_32 3
		.amdhsa_float_denorm_mode_16_64 3
		.amdhsa_dx10_clamp 1
		.amdhsa_ieee_mode 1
		.amdhsa_fp16_overflow 0
		.amdhsa_tg_split 0
		.amdhsa_exception_fp_ieee_invalid_op 0
		.amdhsa_exception_fp_denorm_src 0
		.amdhsa_exception_fp_ieee_div_zero 0
		.amdhsa_exception_fp_ieee_overflow 0
		.amdhsa_exception_fp_ieee_underflow 0
		.amdhsa_exception_fp_ieee_inexact 0
		.amdhsa_exception_int_div_zero 0
	.end_amdhsa_kernel
	.section	.text._ZN7rocprim17ROCPRIM_400000_NS6detail17trampoline_kernelINS0_14default_configENS1_35adjacent_difference_config_selectorILb0EdEEZNS1_24adjacent_difference_implIS3_Lb0ELb0EPKdPdN6thrust23THRUST_200600_302600_NS4plusIdEEEE10hipError_tPvRmT2_T3_mT4_P12ihipStream_tbEUlT_E_NS1_11comp_targetILNS1_3genE2ELNS1_11target_archE906ELNS1_3gpuE6ELNS1_3repE0EEENS1_30default_config_static_selectorELNS0_4arch9wavefront6targetE1EEEvT1_,"axG",@progbits,_ZN7rocprim17ROCPRIM_400000_NS6detail17trampoline_kernelINS0_14default_configENS1_35adjacent_difference_config_selectorILb0EdEEZNS1_24adjacent_difference_implIS3_Lb0ELb0EPKdPdN6thrust23THRUST_200600_302600_NS4plusIdEEEE10hipError_tPvRmT2_T3_mT4_P12ihipStream_tbEUlT_E_NS1_11comp_targetILNS1_3genE2ELNS1_11target_archE906ELNS1_3gpuE6ELNS1_3repE0EEENS1_30default_config_static_selectorELNS0_4arch9wavefront6targetE1EEEvT1_,comdat
.Lfunc_end646:
	.size	_ZN7rocprim17ROCPRIM_400000_NS6detail17trampoline_kernelINS0_14default_configENS1_35adjacent_difference_config_selectorILb0EdEEZNS1_24adjacent_difference_implIS3_Lb0ELb0EPKdPdN6thrust23THRUST_200600_302600_NS4plusIdEEEE10hipError_tPvRmT2_T3_mT4_P12ihipStream_tbEUlT_E_NS1_11comp_targetILNS1_3genE2ELNS1_11target_archE906ELNS1_3gpuE6ELNS1_3repE0EEENS1_30default_config_static_selectorELNS0_4arch9wavefront6targetE1EEEvT1_, .Lfunc_end646-_ZN7rocprim17ROCPRIM_400000_NS6detail17trampoline_kernelINS0_14default_configENS1_35adjacent_difference_config_selectorILb0EdEEZNS1_24adjacent_difference_implIS3_Lb0ELb0EPKdPdN6thrust23THRUST_200600_302600_NS4plusIdEEEE10hipError_tPvRmT2_T3_mT4_P12ihipStream_tbEUlT_E_NS1_11comp_targetILNS1_3genE2ELNS1_11target_archE906ELNS1_3gpuE6ELNS1_3repE0EEENS1_30default_config_static_selectorELNS0_4arch9wavefront6targetE1EEEvT1_
                                        ; -- End function
	.section	.AMDGPU.csdata,"",@progbits
; Kernel info:
; codeLenInByte = 0
; NumSgprs: 4
; NumVgprs: 0
; NumAgprs: 0
; TotalNumVgprs: 0
; ScratchSize: 0
; MemoryBound: 0
; FloatMode: 240
; IeeeMode: 1
; LDSByteSize: 0 bytes/workgroup (compile time only)
; SGPRBlocks: 0
; VGPRBlocks: 0
; NumSGPRsForWavesPerEU: 4
; NumVGPRsForWavesPerEU: 1
; AccumOffset: 4
; Occupancy: 8
; WaveLimiterHint : 0
; COMPUTE_PGM_RSRC2:SCRATCH_EN: 0
; COMPUTE_PGM_RSRC2:USER_SGPR: 6
; COMPUTE_PGM_RSRC2:TRAP_HANDLER: 0
; COMPUTE_PGM_RSRC2:TGID_X_EN: 1
; COMPUTE_PGM_RSRC2:TGID_Y_EN: 0
; COMPUTE_PGM_RSRC2:TGID_Z_EN: 0
; COMPUTE_PGM_RSRC2:TIDIG_COMP_CNT: 0
; COMPUTE_PGM_RSRC3_GFX90A:ACCUM_OFFSET: 0
; COMPUTE_PGM_RSRC3_GFX90A:TG_SPLIT: 0
	.section	.text._ZN7rocprim17ROCPRIM_400000_NS6detail17trampoline_kernelINS0_14default_configENS1_35adjacent_difference_config_selectorILb0EdEEZNS1_24adjacent_difference_implIS3_Lb0ELb0EPKdPdN6thrust23THRUST_200600_302600_NS4plusIdEEEE10hipError_tPvRmT2_T3_mT4_P12ihipStream_tbEUlT_E_NS1_11comp_targetILNS1_3genE9ELNS1_11target_archE1100ELNS1_3gpuE3ELNS1_3repE0EEENS1_30default_config_static_selectorELNS0_4arch9wavefront6targetE1EEEvT1_,"axG",@progbits,_ZN7rocprim17ROCPRIM_400000_NS6detail17trampoline_kernelINS0_14default_configENS1_35adjacent_difference_config_selectorILb0EdEEZNS1_24adjacent_difference_implIS3_Lb0ELb0EPKdPdN6thrust23THRUST_200600_302600_NS4plusIdEEEE10hipError_tPvRmT2_T3_mT4_P12ihipStream_tbEUlT_E_NS1_11comp_targetILNS1_3genE9ELNS1_11target_archE1100ELNS1_3gpuE3ELNS1_3repE0EEENS1_30default_config_static_selectorELNS0_4arch9wavefront6targetE1EEEvT1_,comdat
	.protected	_ZN7rocprim17ROCPRIM_400000_NS6detail17trampoline_kernelINS0_14default_configENS1_35adjacent_difference_config_selectorILb0EdEEZNS1_24adjacent_difference_implIS3_Lb0ELb0EPKdPdN6thrust23THRUST_200600_302600_NS4plusIdEEEE10hipError_tPvRmT2_T3_mT4_P12ihipStream_tbEUlT_E_NS1_11comp_targetILNS1_3genE9ELNS1_11target_archE1100ELNS1_3gpuE3ELNS1_3repE0EEENS1_30default_config_static_selectorELNS0_4arch9wavefront6targetE1EEEvT1_ ; -- Begin function _ZN7rocprim17ROCPRIM_400000_NS6detail17trampoline_kernelINS0_14default_configENS1_35adjacent_difference_config_selectorILb0EdEEZNS1_24adjacent_difference_implIS3_Lb0ELb0EPKdPdN6thrust23THRUST_200600_302600_NS4plusIdEEEE10hipError_tPvRmT2_T3_mT4_P12ihipStream_tbEUlT_E_NS1_11comp_targetILNS1_3genE9ELNS1_11target_archE1100ELNS1_3gpuE3ELNS1_3repE0EEENS1_30default_config_static_selectorELNS0_4arch9wavefront6targetE1EEEvT1_
	.globl	_ZN7rocprim17ROCPRIM_400000_NS6detail17trampoline_kernelINS0_14default_configENS1_35adjacent_difference_config_selectorILb0EdEEZNS1_24adjacent_difference_implIS3_Lb0ELb0EPKdPdN6thrust23THRUST_200600_302600_NS4plusIdEEEE10hipError_tPvRmT2_T3_mT4_P12ihipStream_tbEUlT_E_NS1_11comp_targetILNS1_3genE9ELNS1_11target_archE1100ELNS1_3gpuE3ELNS1_3repE0EEENS1_30default_config_static_selectorELNS0_4arch9wavefront6targetE1EEEvT1_
	.p2align	8
	.type	_ZN7rocprim17ROCPRIM_400000_NS6detail17trampoline_kernelINS0_14default_configENS1_35adjacent_difference_config_selectorILb0EdEEZNS1_24adjacent_difference_implIS3_Lb0ELb0EPKdPdN6thrust23THRUST_200600_302600_NS4plusIdEEEE10hipError_tPvRmT2_T3_mT4_P12ihipStream_tbEUlT_E_NS1_11comp_targetILNS1_3genE9ELNS1_11target_archE1100ELNS1_3gpuE3ELNS1_3repE0EEENS1_30default_config_static_selectorELNS0_4arch9wavefront6targetE1EEEvT1_,@function
_ZN7rocprim17ROCPRIM_400000_NS6detail17trampoline_kernelINS0_14default_configENS1_35adjacent_difference_config_selectorILb0EdEEZNS1_24adjacent_difference_implIS3_Lb0ELb0EPKdPdN6thrust23THRUST_200600_302600_NS4plusIdEEEE10hipError_tPvRmT2_T3_mT4_P12ihipStream_tbEUlT_E_NS1_11comp_targetILNS1_3genE9ELNS1_11target_archE1100ELNS1_3gpuE3ELNS1_3repE0EEENS1_30default_config_static_selectorELNS0_4arch9wavefront6targetE1EEEvT1_: ; @_ZN7rocprim17ROCPRIM_400000_NS6detail17trampoline_kernelINS0_14default_configENS1_35adjacent_difference_config_selectorILb0EdEEZNS1_24adjacent_difference_implIS3_Lb0ELb0EPKdPdN6thrust23THRUST_200600_302600_NS4plusIdEEEE10hipError_tPvRmT2_T3_mT4_P12ihipStream_tbEUlT_E_NS1_11comp_targetILNS1_3genE9ELNS1_11target_archE1100ELNS1_3gpuE3ELNS1_3repE0EEENS1_30default_config_static_selectorELNS0_4arch9wavefront6targetE1EEEvT1_
; %bb.0:
	.section	.rodata,"a",@progbits
	.p2align	6, 0x0
	.amdhsa_kernel _ZN7rocprim17ROCPRIM_400000_NS6detail17trampoline_kernelINS0_14default_configENS1_35adjacent_difference_config_selectorILb0EdEEZNS1_24adjacent_difference_implIS3_Lb0ELb0EPKdPdN6thrust23THRUST_200600_302600_NS4plusIdEEEE10hipError_tPvRmT2_T3_mT4_P12ihipStream_tbEUlT_E_NS1_11comp_targetILNS1_3genE9ELNS1_11target_archE1100ELNS1_3gpuE3ELNS1_3repE0EEENS1_30default_config_static_selectorELNS0_4arch9wavefront6targetE1EEEvT1_
		.amdhsa_group_segment_fixed_size 0
		.amdhsa_private_segment_fixed_size 0
		.amdhsa_kernarg_size 56
		.amdhsa_user_sgpr_count 6
		.amdhsa_user_sgpr_private_segment_buffer 1
		.amdhsa_user_sgpr_dispatch_ptr 0
		.amdhsa_user_sgpr_queue_ptr 0
		.amdhsa_user_sgpr_kernarg_segment_ptr 1
		.amdhsa_user_sgpr_dispatch_id 0
		.amdhsa_user_sgpr_flat_scratch_init 0
		.amdhsa_user_sgpr_kernarg_preload_length 0
		.amdhsa_user_sgpr_kernarg_preload_offset 0
		.amdhsa_user_sgpr_private_segment_size 0
		.amdhsa_uses_dynamic_stack 0
		.amdhsa_system_sgpr_private_segment_wavefront_offset 0
		.amdhsa_system_sgpr_workgroup_id_x 1
		.amdhsa_system_sgpr_workgroup_id_y 0
		.amdhsa_system_sgpr_workgroup_id_z 0
		.amdhsa_system_sgpr_workgroup_info 0
		.amdhsa_system_vgpr_workitem_id 0
		.amdhsa_next_free_vgpr 1
		.amdhsa_next_free_sgpr 0
		.amdhsa_accum_offset 4
		.amdhsa_reserve_vcc 0
		.amdhsa_reserve_flat_scratch 0
		.amdhsa_float_round_mode_32 0
		.amdhsa_float_round_mode_16_64 0
		.amdhsa_float_denorm_mode_32 3
		.amdhsa_float_denorm_mode_16_64 3
		.amdhsa_dx10_clamp 1
		.amdhsa_ieee_mode 1
		.amdhsa_fp16_overflow 0
		.amdhsa_tg_split 0
		.amdhsa_exception_fp_ieee_invalid_op 0
		.amdhsa_exception_fp_denorm_src 0
		.amdhsa_exception_fp_ieee_div_zero 0
		.amdhsa_exception_fp_ieee_overflow 0
		.amdhsa_exception_fp_ieee_underflow 0
		.amdhsa_exception_fp_ieee_inexact 0
		.amdhsa_exception_int_div_zero 0
	.end_amdhsa_kernel
	.section	.text._ZN7rocprim17ROCPRIM_400000_NS6detail17trampoline_kernelINS0_14default_configENS1_35adjacent_difference_config_selectorILb0EdEEZNS1_24adjacent_difference_implIS3_Lb0ELb0EPKdPdN6thrust23THRUST_200600_302600_NS4plusIdEEEE10hipError_tPvRmT2_T3_mT4_P12ihipStream_tbEUlT_E_NS1_11comp_targetILNS1_3genE9ELNS1_11target_archE1100ELNS1_3gpuE3ELNS1_3repE0EEENS1_30default_config_static_selectorELNS0_4arch9wavefront6targetE1EEEvT1_,"axG",@progbits,_ZN7rocprim17ROCPRIM_400000_NS6detail17trampoline_kernelINS0_14default_configENS1_35adjacent_difference_config_selectorILb0EdEEZNS1_24adjacent_difference_implIS3_Lb0ELb0EPKdPdN6thrust23THRUST_200600_302600_NS4plusIdEEEE10hipError_tPvRmT2_T3_mT4_P12ihipStream_tbEUlT_E_NS1_11comp_targetILNS1_3genE9ELNS1_11target_archE1100ELNS1_3gpuE3ELNS1_3repE0EEENS1_30default_config_static_selectorELNS0_4arch9wavefront6targetE1EEEvT1_,comdat
.Lfunc_end647:
	.size	_ZN7rocprim17ROCPRIM_400000_NS6detail17trampoline_kernelINS0_14default_configENS1_35adjacent_difference_config_selectorILb0EdEEZNS1_24adjacent_difference_implIS3_Lb0ELb0EPKdPdN6thrust23THRUST_200600_302600_NS4plusIdEEEE10hipError_tPvRmT2_T3_mT4_P12ihipStream_tbEUlT_E_NS1_11comp_targetILNS1_3genE9ELNS1_11target_archE1100ELNS1_3gpuE3ELNS1_3repE0EEENS1_30default_config_static_selectorELNS0_4arch9wavefront6targetE1EEEvT1_, .Lfunc_end647-_ZN7rocprim17ROCPRIM_400000_NS6detail17trampoline_kernelINS0_14default_configENS1_35adjacent_difference_config_selectorILb0EdEEZNS1_24adjacent_difference_implIS3_Lb0ELb0EPKdPdN6thrust23THRUST_200600_302600_NS4plusIdEEEE10hipError_tPvRmT2_T3_mT4_P12ihipStream_tbEUlT_E_NS1_11comp_targetILNS1_3genE9ELNS1_11target_archE1100ELNS1_3gpuE3ELNS1_3repE0EEENS1_30default_config_static_selectorELNS0_4arch9wavefront6targetE1EEEvT1_
                                        ; -- End function
	.section	.AMDGPU.csdata,"",@progbits
; Kernel info:
; codeLenInByte = 0
; NumSgprs: 4
; NumVgprs: 0
; NumAgprs: 0
; TotalNumVgprs: 0
; ScratchSize: 0
; MemoryBound: 0
; FloatMode: 240
; IeeeMode: 1
; LDSByteSize: 0 bytes/workgroup (compile time only)
; SGPRBlocks: 0
; VGPRBlocks: 0
; NumSGPRsForWavesPerEU: 4
; NumVGPRsForWavesPerEU: 1
; AccumOffset: 4
; Occupancy: 8
; WaveLimiterHint : 0
; COMPUTE_PGM_RSRC2:SCRATCH_EN: 0
; COMPUTE_PGM_RSRC2:USER_SGPR: 6
; COMPUTE_PGM_RSRC2:TRAP_HANDLER: 0
; COMPUTE_PGM_RSRC2:TGID_X_EN: 1
; COMPUTE_PGM_RSRC2:TGID_Y_EN: 0
; COMPUTE_PGM_RSRC2:TGID_Z_EN: 0
; COMPUTE_PGM_RSRC2:TIDIG_COMP_CNT: 0
; COMPUTE_PGM_RSRC3_GFX90A:ACCUM_OFFSET: 0
; COMPUTE_PGM_RSRC3_GFX90A:TG_SPLIT: 0
	.section	.text._ZN7rocprim17ROCPRIM_400000_NS6detail17trampoline_kernelINS0_14default_configENS1_35adjacent_difference_config_selectorILb0EdEEZNS1_24adjacent_difference_implIS3_Lb0ELb0EPKdPdN6thrust23THRUST_200600_302600_NS4plusIdEEEE10hipError_tPvRmT2_T3_mT4_P12ihipStream_tbEUlT_E_NS1_11comp_targetILNS1_3genE8ELNS1_11target_archE1030ELNS1_3gpuE2ELNS1_3repE0EEENS1_30default_config_static_selectorELNS0_4arch9wavefront6targetE1EEEvT1_,"axG",@progbits,_ZN7rocprim17ROCPRIM_400000_NS6detail17trampoline_kernelINS0_14default_configENS1_35adjacent_difference_config_selectorILb0EdEEZNS1_24adjacent_difference_implIS3_Lb0ELb0EPKdPdN6thrust23THRUST_200600_302600_NS4plusIdEEEE10hipError_tPvRmT2_T3_mT4_P12ihipStream_tbEUlT_E_NS1_11comp_targetILNS1_3genE8ELNS1_11target_archE1030ELNS1_3gpuE2ELNS1_3repE0EEENS1_30default_config_static_selectorELNS0_4arch9wavefront6targetE1EEEvT1_,comdat
	.protected	_ZN7rocprim17ROCPRIM_400000_NS6detail17trampoline_kernelINS0_14default_configENS1_35adjacent_difference_config_selectorILb0EdEEZNS1_24adjacent_difference_implIS3_Lb0ELb0EPKdPdN6thrust23THRUST_200600_302600_NS4plusIdEEEE10hipError_tPvRmT2_T3_mT4_P12ihipStream_tbEUlT_E_NS1_11comp_targetILNS1_3genE8ELNS1_11target_archE1030ELNS1_3gpuE2ELNS1_3repE0EEENS1_30default_config_static_selectorELNS0_4arch9wavefront6targetE1EEEvT1_ ; -- Begin function _ZN7rocprim17ROCPRIM_400000_NS6detail17trampoline_kernelINS0_14default_configENS1_35adjacent_difference_config_selectorILb0EdEEZNS1_24adjacent_difference_implIS3_Lb0ELb0EPKdPdN6thrust23THRUST_200600_302600_NS4plusIdEEEE10hipError_tPvRmT2_T3_mT4_P12ihipStream_tbEUlT_E_NS1_11comp_targetILNS1_3genE8ELNS1_11target_archE1030ELNS1_3gpuE2ELNS1_3repE0EEENS1_30default_config_static_selectorELNS0_4arch9wavefront6targetE1EEEvT1_
	.globl	_ZN7rocprim17ROCPRIM_400000_NS6detail17trampoline_kernelINS0_14default_configENS1_35adjacent_difference_config_selectorILb0EdEEZNS1_24adjacent_difference_implIS3_Lb0ELb0EPKdPdN6thrust23THRUST_200600_302600_NS4plusIdEEEE10hipError_tPvRmT2_T3_mT4_P12ihipStream_tbEUlT_E_NS1_11comp_targetILNS1_3genE8ELNS1_11target_archE1030ELNS1_3gpuE2ELNS1_3repE0EEENS1_30default_config_static_selectorELNS0_4arch9wavefront6targetE1EEEvT1_
	.p2align	8
	.type	_ZN7rocprim17ROCPRIM_400000_NS6detail17trampoline_kernelINS0_14default_configENS1_35adjacent_difference_config_selectorILb0EdEEZNS1_24adjacent_difference_implIS3_Lb0ELb0EPKdPdN6thrust23THRUST_200600_302600_NS4plusIdEEEE10hipError_tPvRmT2_T3_mT4_P12ihipStream_tbEUlT_E_NS1_11comp_targetILNS1_3genE8ELNS1_11target_archE1030ELNS1_3gpuE2ELNS1_3repE0EEENS1_30default_config_static_selectorELNS0_4arch9wavefront6targetE1EEEvT1_,@function
_ZN7rocprim17ROCPRIM_400000_NS6detail17trampoline_kernelINS0_14default_configENS1_35adjacent_difference_config_selectorILb0EdEEZNS1_24adjacent_difference_implIS3_Lb0ELb0EPKdPdN6thrust23THRUST_200600_302600_NS4plusIdEEEE10hipError_tPvRmT2_T3_mT4_P12ihipStream_tbEUlT_E_NS1_11comp_targetILNS1_3genE8ELNS1_11target_archE1030ELNS1_3gpuE2ELNS1_3repE0EEENS1_30default_config_static_selectorELNS0_4arch9wavefront6targetE1EEEvT1_: ; @_ZN7rocprim17ROCPRIM_400000_NS6detail17trampoline_kernelINS0_14default_configENS1_35adjacent_difference_config_selectorILb0EdEEZNS1_24adjacent_difference_implIS3_Lb0ELb0EPKdPdN6thrust23THRUST_200600_302600_NS4plusIdEEEE10hipError_tPvRmT2_T3_mT4_P12ihipStream_tbEUlT_E_NS1_11comp_targetILNS1_3genE8ELNS1_11target_archE1030ELNS1_3gpuE2ELNS1_3repE0EEENS1_30default_config_static_selectorELNS0_4arch9wavefront6targetE1EEEvT1_
; %bb.0:
	.section	.rodata,"a",@progbits
	.p2align	6, 0x0
	.amdhsa_kernel _ZN7rocprim17ROCPRIM_400000_NS6detail17trampoline_kernelINS0_14default_configENS1_35adjacent_difference_config_selectorILb0EdEEZNS1_24adjacent_difference_implIS3_Lb0ELb0EPKdPdN6thrust23THRUST_200600_302600_NS4plusIdEEEE10hipError_tPvRmT2_T3_mT4_P12ihipStream_tbEUlT_E_NS1_11comp_targetILNS1_3genE8ELNS1_11target_archE1030ELNS1_3gpuE2ELNS1_3repE0EEENS1_30default_config_static_selectorELNS0_4arch9wavefront6targetE1EEEvT1_
		.amdhsa_group_segment_fixed_size 0
		.amdhsa_private_segment_fixed_size 0
		.amdhsa_kernarg_size 56
		.amdhsa_user_sgpr_count 6
		.amdhsa_user_sgpr_private_segment_buffer 1
		.amdhsa_user_sgpr_dispatch_ptr 0
		.amdhsa_user_sgpr_queue_ptr 0
		.amdhsa_user_sgpr_kernarg_segment_ptr 1
		.amdhsa_user_sgpr_dispatch_id 0
		.amdhsa_user_sgpr_flat_scratch_init 0
		.amdhsa_user_sgpr_kernarg_preload_length 0
		.amdhsa_user_sgpr_kernarg_preload_offset 0
		.amdhsa_user_sgpr_private_segment_size 0
		.amdhsa_uses_dynamic_stack 0
		.amdhsa_system_sgpr_private_segment_wavefront_offset 0
		.amdhsa_system_sgpr_workgroup_id_x 1
		.amdhsa_system_sgpr_workgroup_id_y 0
		.amdhsa_system_sgpr_workgroup_id_z 0
		.amdhsa_system_sgpr_workgroup_info 0
		.amdhsa_system_vgpr_workitem_id 0
		.amdhsa_next_free_vgpr 1
		.amdhsa_next_free_sgpr 0
		.amdhsa_accum_offset 4
		.amdhsa_reserve_vcc 0
		.amdhsa_reserve_flat_scratch 0
		.amdhsa_float_round_mode_32 0
		.amdhsa_float_round_mode_16_64 0
		.amdhsa_float_denorm_mode_32 3
		.amdhsa_float_denorm_mode_16_64 3
		.amdhsa_dx10_clamp 1
		.amdhsa_ieee_mode 1
		.amdhsa_fp16_overflow 0
		.amdhsa_tg_split 0
		.amdhsa_exception_fp_ieee_invalid_op 0
		.amdhsa_exception_fp_denorm_src 0
		.amdhsa_exception_fp_ieee_div_zero 0
		.amdhsa_exception_fp_ieee_overflow 0
		.amdhsa_exception_fp_ieee_underflow 0
		.amdhsa_exception_fp_ieee_inexact 0
		.amdhsa_exception_int_div_zero 0
	.end_amdhsa_kernel
	.section	.text._ZN7rocprim17ROCPRIM_400000_NS6detail17trampoline_kernelINS0_14default_configENS1_35adjacent_difference_config_selectorILb0EdEEZNS1_24adjacent_difference_implIS3_Lb0ELb0EPKdPdN6thrust23THRUST_200600_302600_NS4plusIdEEEE10hipError_tPvRmT2_T3_mT4_P12ihipStream_tbEUlT_E_NS1_11comp_targetILNS1_3genE8ELNS1_11target_archE1030ELNS1_3gpuE2ELNS1_3repE0EEENS1_30default_config_static_selectorELNS0_4arch9wavefront6targetE1EEEvT1_,"axG",@progbits,_ZN7rocprim17ROCPRIM_400000_NS6detail17trampoline_kernelINS0_14default_configENS1_35adjacent_difference_config_selectorILb0EdEEZNS1_24adjacent_difference_implIS3_Lb0ELb0EPKdPdN6thrust23THRUST_200600_302600_NS4plusIdEEEE10hipError_tPvRmT2_T3_mT4_P12ihipStream_tbEUlT_E_NS1_11comp_targetILNS1_3genE8ELNS1_11target_archE1030ELNS1_3gpuE2ELNS1_3repE0EEENS1_30default_config_static_selectorELNS0_4arch9wavefront6targetE1EEEvT1_,comdat
.Lfunc_end648:
	.size	_ZN7rocprim17ROCPRIM_400000_NS6detail17trampoline_kernelINS0_14default_configENS1_35adjacent_difference_config_selectorILb0EdEEZNS1_24adjacent_difference_implIS3_Lb0ELb0EPKdPdN6thrust23THRUST_200600_302600_NS4plusIdEEEE10hipError_tPvRmT2_T3_mT4_P12ihipStream_tbEUlT_E_NS1_11comp_targetILNS1_3genE8ELNS1_11target_archE1030ELNS1_3gpuE2ELNS1_3repE0EEENS1_30default_config_static_selectorELNS0_4arch9wavefront6targetE1EEEvT1_, .Lfunc_end648-_ZN7rocprim17ROCPRIM_400000_NS6detail17trampoline_kernelINS0_14default_configENS1_35adjacent_difference_config_selectorILb0EdEEZNS1_24adjacent_difference_implIS3_Lb0ELb0EPKdPdN6thrust23THRUST_200600_302600_NS4plusIdEEEE10hipError_tPvRmT2_T3_mT4_P12ihipStream_tbEUlT_E_NS1_11comp_targetILNS1_3genE8ELNS1_11target_archE1030ELNS1_3gpuE2ELNS1_3repE0EEENS1_30default_config_static_selectorELNS0_4arch9wavefront6targetE1EEEvT1_
                                        ; -- End function
	.section	.AMDGPU.csdata,"",@progbits
; Kernel info:
; codeLenInByte = 0
; NumSgprs: 4
; NumVgprs: 0
; NumAgprs: 0
; TotalNumVgprs: 0
; ScratchSize: 0
; MemoryBound: 0
; FloatMode: 240
; IeeeMode: 1
; LDSByteSize: 0 bytes/workgroup (compile time only)
; SGPRBlocks: 0
; VGPRBlocks: 0
; NumSGPRsForWavesPerEU: 4
; NumVGPRsForWavesPerEU: 1
; AccumOffset: 4
; Occupancy: 8
; WaveLimiterHint : 0
; COMPUTE_PGM_RSRC2:SCRATCH_EN: 0
; COMPUTE_PGM_RSRC2:USER_SGPR: 6
; COMPUTE_PGM_RSRC2:TRAP_HANDLER: 0
; COMPUTE_PGM_RSRC2:TGID_X_EN: 1
; COMPUTE_PGM_RSRC2:TGID_Y_EN: 0
; COMPUTE_PGM_RSRC2:TGID_Z_EN: 0
; COMPUTE_PGM_RSRC2:TIDIG_COMP_CNT: 0
; COMPUTE_PGM_RSRC3_GFX90A:ACCUM_OFFSET: 0
; COMPUTE_PGM_RSRC3_GFX90A:TG_SPLIT: 0
	.section	.text._ZN7rocprim17ROCPRIM_400000_NS6detail17trampoline_kernelINS0_14default_configENS1_25transform_config_selectorIdLb0EEEZNS1_14transform_implILb0ES3_S5_NS0_18transform_iteratorINS0_17counting_iteratorImlEEZNS1_24adjacent_difference_implIS3_Lb1ELb0EPKdPdN6thrust23THRUST_200600_302600_NS4plusIdEEEE10hipError_tPvRmT2_T3_mT4_P12ihipStream_tbEUlmE_dEESD_NS0_8identityIvEEEESI_SL_SM_mSN_SP_bEUlT_E_NS1_11comp_targetILNS1_3genE0ELNS1_11target_archE4294967295ELNS1_3gpuE0ELNS1_3repE0EEENS1_30default_config_static_selectorELNS0_4arch9wavefront6targetE1EEEvT1_,"axG",@progbits,_ZN7rocprim17ROCPRIM_400000_NS6detail17trampoline_kernelINS0_14default_configENS1_25transform_config_selectorIdLb0EEEZNS1_14transform_implILb0ES3_S5_NS0_18transform_iteratorINS0_17counting_iteratorImlEEZNS1_24adjacent_difference_implIS3_Lb1ELb0EPKdPdN6thrust23THRUST_200600_302600_NS4plusIdEEEE10hipError_tPvRmT2_T3_mT4_P12ihipStream_tbEUlmE_dEESD_NS0_8identityIvEEEESI_SL_SM_mSN_SP_bEUlT_E_NS1_11comp_targetILNS1_3genE0ELNS1_11target_archE4294967295ELNS1_3gpuE0ELNS1_3repE0EEENS1_30default_config_static_selectorELNS0_4arch9wavefront6targetE1EEEvT1_,comdat
	.protected	_ZN7rocprim17ROCPRIM_400000_NS6detail17trampoline_kernelINS0_14default_configENS1_25transform_config_selectorIdLb0EEEZNS1_14transform_implILb0ES3_S5_NS0_18transform_iteratorINS0_17counting_iteratorImlEEZNS1_24adjacent_difference_implIS3_Lb1ELb0EPKdPdN6thrust23THRUST_200600_302600_NS4plusIdEEEE10hipError_tPvRmT2_T3_mT4_P12ihipStream_tbEUlmE_dEESD_NS0_8identityIvEEEESI_SL_SM_mSN_SP_bEUlT_E_NS1_11comp_targetILNS1_3genE0ELNS1_11target_archE4294967295ELNS1_3gpuE0ELNS1_3repE0EEENS1_30default_config_static_selectorELNS0_4arch9wavefront6targetE1EEEvT1_ ; -- Begin function _ZN7rocprim17ROCPRIM_400000_NS6detail17trampoline_kernelINS0_14default_configENS1_25transform_config_selectorIdLb0EEEZNS1_14transform_implILb0ES3_S5_NS0_18transform_iteratorINS0_17counting_iteratorImlEEZNS1_24adjacent_difference_implIS3_Lb1ELb0EPKdPdN6thrust23THRUST_200600_302600_NS4plusIdEEEE10hipError_tPvRmT2_T3_mT4_P12ihipStream_tbEUlmE_dEESD_NS0_8identityIvEEEESI_SL_SM_mSN_SP_bEUlT_E_NS1_11comp_targetILNS1_3genE0ELNS1_11target_archE4294967295ELNS1_3gpuE0ELNS1_3repE0EEENS1_30default_config_static_selectorELNS0_4arch9wavefront6targetE1EEEvT1_
	.globl	_ZN7rocprim17ROCPRIM_400000_NS6detail17trampoline_kernelINS0_14default_configENS1_25transform_config_selectorIdLb0EEEZNS1_14transform_implILb0ES3_S5_NS0_18transform_iteratorINS0_17counting_iteratorImlEEZNS1_24adjacent_difference_implIS3_Lb1ELb0EPKdPdN6thrust23THRUST_200600_302600_NS4plusIdEEEE10hipError_tPvRmT2_T3_mT4_P12ihipStream_tbEUlmE_dEESD_NS0_8identityIvEEEESI_SL_SM_mSN_SP_bEUlT_E_NS1_11comp_targetILNS1_3genE0ELNS1_11target_archE4294967295ELNS1_3gpuE0ELNS1_3repE0EEENS1_30default_config_static_selectorELNS0_4arch9wavefront6targetE1EEEvT1_
	.p2align	8
	.type	_ZN7rocprim17ROCPRIM_400000_NS6detail17trampoline_kernelINS0_14default_configENS1_25transform_config_selectorIdLb0EEEZNS1_14transform_implILb0ES3_S5_NS0_18transform_iteratorINS0_17counting_iteratorImlEEZNS1_24adjacent_difference_implIS3_Lb1ELb0EPKdPdN6thrust23THRUST_200600_302600_NS4plusIdEEEE10hipError_tPvRmT2_T3_mT4_P12ihipStream_tbEUlmE_dEESD_NS0_8identityIvEEEESI_SL_SM_mSN_SP_bEUlT_E_NS1_11comp_targetILNS1_3genE0ELNS1_11target_archE4294967295ELNS1_3gpuE0ELNS1_3repE0EEENS1_30default_config_static_selectorELNS0_4arch9wavefront6targetE1EEEvT1_,@function
_ZN7rocprim17ROCPRIM_400000_NS6detail17trampoline_kernelINS0_14default_configENS1_25transform_config_selectorIdLb0EEEZNS1_14transform_implILb0ES3_S5_NS0_18transform_iteratorINS0_17counting_iteratorImlEEZNS1_24adjacent_difference_implIS3_Lb1ELb0EPKdPdN6thrust23THRUST_200600_302600_NS4plusIdEEEE10hipError_tPvRmT2_T3_mT4_P12ihipStream_tbEUlmE_dEESD_NS0_8identityIvEEEESI_SL_SM_mSN_SP_bEUlT_E_NS1_11comp_targetILNS1_3genE0ELNS1_11target_archE4294967295ELNS1_3gpuE0ELNS1_3repE0EEENS1_30default_config_static_selectorELNS0_4arch9wavefront6targetE1EEEvT1_: ; @_ZN7rocprim17ROCPRIM_400000_NS6detail17trampoline_kernelINS0_14default_configENS1_25transform_config_selectorIdLb0EEEZNS1_14transform_implILb0ES3_S5_NS0_18transform_iteratorINS0_17counting_iteratorImlEEZNS1_24adjacent_difference_implIS3_Lb1ELb0EPKdPdN6thrust23THRUST_200600_302600_NS4plusIdEEEE10hipError_tPvRmT2_T3_mT4_P12ihipStream_tbEUlmE_dEESD_NS0_8identityIvEEEESI_SL_SM_mSN_SP_bEUlT_E_NS1_11comp_targetILNS1_3genE0ELNS1_11target_archE4294967295ELNS1_3gpuE0ELNS1_3repE0EEENS1_30default_config_static_selectorELNS0_4arch9wavefront6targetE1EEEvT1_
; %bb.0:
	.section	.rodata,"a",@progbits
	.p2align	6, 0x0
	.amdhsa_kernel _ZN7rocprim17ROCPRIM_400000_NS6detail17trampoline_kernelINS0_14default_configENS1_25transform_config_selectorIdLb0EEEZNS1_14transform_implILb0ES3_S5_NS0_18transform_iteratorINS0_17counting_iteratorImlEEZNS1_24adjacent_difference_implIS3_Lb1ELb0EPKdPdN6thrust23THRUST_200600_302600_NS4plusIdEEEE10hipError_tPvRmT2_T3_mT4_P12ihipStream_tbEUlmE_dEESD_NS0_8identityIvEEEESI_SL_SM_mSN_SP_bEUlT_E_NS1_11comp_targetILNS1_3genE0ELNS1_11target_archE4294967295ELNS1_3gpuE0ELNS1_3repE0EEENS1_30default_config_static_selectorELNS0_4arch9wavefront6targetE1EEEvT1_
		.amdhsa_group_segment_fixed_size 0
		.amdhsa_private_segment_fixed_size 0
		.amdhsa_kernarg_size 56
		.amdhsa_user_sgpr_count 6
		.amdhsa_user_sgpr_private_segment_buffer 1
		.amdhsa_user_sgpr_dispatch_ptr 0
		.amdhsa_user_sgpr_queue_ptr 0
		.amdhsa_user_sgpr_kernarg_segment_ptr 1
		.amdhsa_user_sgpr_dispatch_id 0
		.amdhsa_user_sgpr_flat_scratch_init 0
		.amdhsa_user_sgpr_kernarg_preload_length 0
		.amdhsa_user_sgpr_kernarg_preload_offset 0
		.amdhsa_user_sgpr_private_segment_size 0
		.amdhsa_uses_dynamic_stack 0
		.amdhsa_system_sgpr_private_segment_wavefront_offset 0
		.amdhsa_system_sgpr_workgroup_id_x 1
		.amdhsa_system_sgpr_workgroup_id_y 0
		.amdhsa_system_sgpr_workgroup_id_z 0
		.amdhsa_system_sgpr_workgroup_info 0
		.amdhsa_system_vgpr_workitem_id 0
		.amdhsa_next_free_vgpr 1
		.amdhsa_next_free_sgpr 0
		.amdhsa_accum_offset 4
		.amdhsa_reserve_vcc 0
		.amdhsa_reserve_flat_scratch 0
		.amdhsa_float_round_mode_32 0
		.amdhsa_float_round_mode_16_64 0
		.amdhsa_float_denorm_mode_32 3
		.amdhsa_float_denorm_mode_16_64 3
		.amdhsa_dx10_clamp 1
		.amdhsa_ieee_mode 1
		.amdhsa_fp16_overflow 0
		.amdhsa_tg_split 0
		.amdhsa_exception_fp_ieee_invalid_op 0
		.amdhsa_exception_fp_denorm_src 0
		.amdhsa_exception_fp_ieee_div_zero 0
		.amdhsa_exception_fp_ieee_overflow 0
		.amdhsa_exception_fp_ieee_underflow 0
		.amdhsa_exception_fp_ieee_inexact 0
		.amdhsa_exception_int_div_zero 0
	.end_amdhsa_kernel
	.section	.text._ZN7rocprim17ROCPRIM_400000_NS6detail17trampoline_kernelINS0_14default_configENS1_25transform_config_selectorIdLb0EEEZNS1_14transform_implILb0ES3_S5_NS0_18transform_iteratorINS0_17counting_iteratorImlEEZNS1_24adjacent_difference_implIS3_Lb1ELb0EPKdPdN6thrust23THRUST_200600_302600_NS4plusIdEEEE10hipError_tPvRmT2_T3_mT4_P12ihipStream_tbEUlmE_dEESD_NS0_8identityIvEEEESI_SL_SM_mSN_SP_bEUlT_E_NS1_11comp_targetILNS1_3genE0ELNS1_11target_archE4294967295ELNS1_3gpuE0ELNS1_3repE0EEENS1_30default_config_static_selectorELNS0_4arch9wavefront6targetE1EEEvT1_,"axG",@progbits,_ZN7rocprim17ROCPRIM_400000_NS6detail17trampoline_kernelINS0_14default_configENS1_25transform_config_selectorIdLb0EEEZNS1_14transform_implILb0ES3_S5_NS0_18transform_iteratorINS0_17counting_iteratorImlEEZNS1_24adjacent_difference_implIS3_Lb1ELb0EPKdPdN6thrust23THRUST_200600_302600_NS4plusIdEEEE10hipError_tPvRmT2_T3_mT4_P12ihipStream_tbEUlmE_dEESD_NS0_8identityIvEEEESI_SL_SM_mSN_SP_bEUlT_E_NS1_11comp_targetILNS1_3genE0ELNS1_11target_archE4294967295ELNS1_3gpuE0ELNS1_3repE0EEENS1_30default_config_static_selectorELNS0_4arch9wavefront6targetE1EEEvT1_,comdat
.Lfunc_end649:
	.size	_ZN7rocprim17ROCPRIM_400000_NS6detail17trampoline_kernelINS0_14default_configENS1_25transform_config_selectorIdLb0EEEZNS1_14transform_implILb0ES3_S5_NS0_18transform_iteratorINS0_17counting_iteratorImlEEZNS1_24adjacent_difference_implIS3_Lb1ELb0EPKdPdN6thrust23THRUST_200600_302600_NS4plusIdEEEE10hipError_tPvRmT2_T3_mT4_P12ihipStream_tbEUlmE_dEESD_NS0_8identityIvEEEESI_SL_SM_mSN_SP_bEUlT_E_NS1_11comp_targetILNS1_3genE0ELNS1_11target_archE4294967295ELNS1_3gpuE0ELNS1_3repE0EEENS1_30default_config_static_selectorELNS0_4arch9wavefront6targetE1EEEvT1_, .Lfunc_end649-_ZN7rocprim17ROCPRIM_400000_NS6detail17trampoline_kernelINS0_14default_configENS1_25transform_config_selectorIdLb0EEEZNS1_14transform_implILb0ES3_S5_NS0_18transform_iteratorINS0_17counting_iteratorImlEEZNS1_24adjacent_difference_implIS3_Lb1ELb0EPKdPdN6thrust23THRUST_200600_302600_NS4plusIdEEEE10hipError_tPvRmT2_T3_mT4_P12ihipStream_tbEUlmE_dEESD_NS0_8identityIvEEEESI_SL_SM_mSN_SP_bEUlT_E_NS1_11comp_targetILNS1_3genE0ELNS1_11target_archE4294967295ELNS1_3gpuE0ELNS1_3repE0EEENS1_30default_config_static_selectorELNS0_4arch9wavefront6targetE1EEEvT1_
                                        ; -- End function
	.section	.AMDGPU.csdata,"",@progbits
; Kernel info:
; codeLenInByte = 0
; NumSgprs: 4
; NumVgprs: 0
; NumAgprs: 0
; TotalNumVgprs: 0
; ScratchSize: 0
; MemoryBound: 0
; FloatMode: 240
; IeeeMode: 1
; LDSByteSize: 0 bytes/workgroup (compile time only)
; SGPRBlocks: 0
; VGPRBlocks: 0
; NumSGPRsForWavesPerEU: 4
; NumVGPRsForWavesPerEU: 1
; AccumOffset: 4
; Occupancy: 8
; WaveLimiterHint : 0
; COMPUTE_PGM_RSRC2:SCRATCH_EN: 0
; COMPUTE_PGM_RSRC2:USER_SGPR: 6
; COMPUTE_PGM_RSRC2:TRAP_HANDLER: 0
; COMPUTE_PGM_RSRC2:TGID_X_EN: 1
; COMPUTE_PGM_RSRC2:TGID_Y_EN: 0
; COMPUTE_PGM_RSRC2:TGID_Z_EN: 0
; COMPUTE_PGM_RSRC2:TIDIG_COMP_CNT: 0
; COMPUTE_PGM_RSRC3_GFX90A:ACCUM_OFFSET: 0
; COMPUTE_PGM_RSRC3_GFX90A:TG_SPLIT: 0
	.section	.text._ZN7rocprim17ROCPRIM_400000_NS6detail17trampoline_kernelINS0_14default_configENS1_25transform_config_selectorIdLb0EEEZNS1_14transform_implILb0ES3_S5_NS0_18transform_iteratorINS0_17counting_iteratorImlEEZNS1_24adjacent_difference_implIS3_Lb1ELb0EPKdPdN6thrust23THRUST_200600_302600_NS4plusIdEEEE10hipError_tPvRmT2_T3_mT4_P12ihipStream_tbEUlmE_dEESD_NS0_8identityIvEEEESI_SL_SM_mSN_SP_bEUlT_E_NS1_11comp_targetILNS1_3genE5ELNS1_11target_archE942ELNS1_3gpuE9ELNS1_3repE0EEENS1_30default_config_static_selectorELNS0_4arch9wavefront6targetE1EEEvT1_,"axG",@progbits,_ZN7rocprim17ROCPRIM_400000_NS6detail17trampoline_kernelINS0_14default_configENS1_25transform_config_selectorIdLb0EEEZNS1_14transform_implILb0ES3_S5_NS0_18transform_iteratorINS0_17counting_iteratorImlEEZNS1_24adjacent_difference_implIS3_Lb1ELb0EPKdPdN6thrust23THRUST_200600_302600_NS4plusIdEEEE10hipError_tPvRmT2_T3_mT4_P12ihipStream_tbEUlmE_dEESD_NS0_8identityIvEEEESI_SL_SM_mSN_SP_bEUlT_E_NS1_11comp_targetILNS1_3genE5ELNS1_11target_archE942ELNS1_3gpuE9ELNS1_3repE0EEENS1_30default_config_static_selectorELNS0_4arch9wavefront6targetE1EEEvT1_,comdat
	.protected	_ZN7rocprim17ROCPRIM_400000_NS6detail17trampoline_kernelINS0_14default_configENS1_25transform_config_selectorIdLb0EEEZNS1_14transform_implILb0ES3_S5_NS0_18transform_iteratorINS0_17counting_iteratorImlEEZNS1_24adjacent_difference_implIS3_Lb1ELb0EPKdPdN6thrust23THRUST_200600_302600_NS4plusIdEEEE10hipError_tPvRmT2_T3_mT4_P12ihipStream_tbEUlmE_dEESD_NS0_8identityIvEEEESI_SL_SM_mSN_SP_bEUlT_E_NS1_11comp_targetILNS1_3genE5ELNS1_11target_archE942ELNS1_3gpuE9ELNS1_3repE0EEENS1_30default_config_static_selectorELNS0_4arch9wavefront6targetE1EEEvT1_ ; -- Begin function _ZN7rocprim17ROCPRIM_400000_NS6detail17trampoline_kernelINS0_14default_configENS1_25transform_config_selectorIdLb0EEEZNS1_14transform_implILb0ES3_S5_NS0_18transform_iteratorINS0_17counting_iteratorImlEEZNS1_24adjacent_difference_implIS3_Lb1ELb0EPKdPdN6thrust23THRUST_200600_302600_NS4plusIdEEEE10hipError_tPvRmT2_T3_mT4_P12ihipStream_tbEUlmE_dEESD_NS0_8identityIvEEEESI_SL_SM_mSN_SP_bEUlT_E_NS1_11comp_targetILNS1_3genE5ELNS1_11target_archE942ELNS1_3gpuE9ELNS1_3repE0EEENS1_30default_config_static_selectorELNS0_4arch9wavefront6targetE1EEEvT1_
	.globl	_ZN7rocprim17ROCPRIM_400000_NS6detail17trampoline_kernelINS0_14default_configENS1_25transform_config_selectorIdLb0EEEZNS1_14transform_implILb0ES3_S5_NS0_18transform_iteratorINS0_17counting_iteratorImlEEZNS1_24adjacent_difference_implIS3_Lb1ELb0EPKdPdN6thrust23THRUST_200600_302600_NS4plusIdEEEE10hipError_tPvRmT2_T3_mT4_P12ihipStream_tbEUlmE_dEESD_NS0_8identityIvEEEESI_SL_SM_mSN_SP_bEUlT_E_NS1_11comp_targetILNS1_3genE5ELNS1_11target_archE942ELNS1_3gpuE9ELNS1_3repE0EEENS1_30default_config_static_selectorELNS0_4arch9wavefront6targetE1EEEvT1_
	.p2align	8
	.type	_ZN7rocprim17ROCPRIM_400000_NS6detail17trampoline_kernelINS0_14default_configENS1_25transform_config_selectorIdLb0EEEZNS1_14transform_implILb0ES3_S5_NS0_18transform_iteratorINS0_17counting_iteratorImlEEZNS1_24adjacent_difference_implIS3_Lb1ELb0EPKdPdN6thrust23THRUST_200600_302600_NS4plusIdEEEE10hipError_tPvRmT2_T3_mT4_P12ihipStream_tbEUlmE_dEESD_NS0_8identityIvEEEESI_SL_SM_mSN_SP_bEUlT_E_NS1_11comp_targetILNS1_3genE5ELNS1_11target_archE942ELNS1_3gpuE9ELNS1_3repE0EEENS1_30default_config_static_selectorELNS0_4arch9wavefront6targetE1EEEvT1_,@function
_ZN7rocprim17ROCPRIM_400000_NS6detail17trampoline_kernelINS0_14default_configENS1_25transform_config_selectorIdLb0EEEZNS1_14transform_implILb0ES3_S5_NS0_18transform_iteratorINS0_17counting_iteratorImlEEZNS1_24adjacent_difference_implIS3_Lb1ELb0EPKdPdN6thrust23THRUST_200600_302600_NS4plusIdEEEE10hipError_tPvRmT2_T3_mT4_P12ihipStream_tbEUlmE_dEESD_NS0_8identityIvEEEESI_SL_SM_mSN_SP_bEUlT_E_NS1_11comp_targetILNS1_3genE5ELNS1_11target_archE942ELNS1_3gpuE9ELNS1_3repE0EEENS1_30default_config_static_selectorELNS0_4arch9wavefront6targetE1EEEvT1_: ; @_ZN7rocprim17ROCPRIM_400000_NS6detail17trampoline_kernelINS0_14default_configENS1_25transform_config_selectorIdLb0EEEZNS1_14transform_implILb0ES3_S5_NS0_18transform_iteratorINS0_17counting_iteratorImlEEZNS1_24adjacent_difference_implIS3_Lb1ELb0EPKdPdN6thrust23THRUST_200600_302600_NS4plusIdEEEE10hipError_tPvRmT2_T3_mT4_P12ihipStream_tbEUlmE_dEESD_NS0_8identityIvEEEESI_SL_SM_mSN_SP_bEUlT_E_NS1_11comp_targetILNS1_3genE5ELNS1_11target_archE942ELNS1_3gpuE9ELNS1_3repE0EEENS1_30default_config_static_selectorELNS0_4arch9wavefront6targetE1EEEvT1_
; %bb.0:
	.section	.rodata,"a",@progbits
	.p2align	6, 0x0
	.amdhsa_kernel _ZN7rocprim17ROCPRIM_400000_NS6detail17trampoline_kernelINS0_14default_configENS1_25transform_config_selectorIdLb0EEEZNS1_14transform_implILb0ES3_S5_NS0_18transform_iteratorINS0_17counting_iteratorImlEEZNS1_24adjacent_difference_implIS3_Lb1ELb0EPKdPdN6thrust23THRUST_200600_302600_NS4plusIdEEEE10hipError_tPvRmT2_T3_mT4_P12ihipStream_tbEUlmE_dEESD_NS0_8identityIvEEEESI_SL_SM_mSN_SP_bEUlT_E_NS1_11comp_targetILNS1_3genE5ELNS1_11target_archE942ELNS1_3gpuE9ELNS1_3repE0EEENS1_30default_config_static_selectorELNS0_4arch9wavefront6targetE1EEEvT1_
		.amdhsa_group_segment_fixed_size 0
		.amdhsa_private_segment_fixed_size 0
		.amdhsa_kernarg_size 56
		.amdhsa_user_sgpr_count 6
		.amdhsa_user_sgpr_private_segment_buffer 1
		.amdhsa_user_sgpr_dispatch_ptr 0
		.amdhsa_user_sgpr_queue_ptr 0
		.amdhsa_user_sgpr_kernarg_segment_ptr 1
		.amdhsa_user_sgpr_dispatch_id 0
		.amdhsa_user_sgpr_flat_scratch_init 0
		.amdhsa_user_sgpr_kernarg_preload_length 0
		.amdhsa_user_sgpr_kernarg_preload_offset 0
		.amdhsa_user_sgpr_private_segment_size 0
		.amdhsa_uses_dynamic_stack 0
		.amdhsa_system_sgpr_private_segment_wavefront_offset 0
		.amdhsa_system_sgpr_workgroup_id_x 1
		.amdhsa_system_sgpr_workgroup_id_y 0
		.amdhsa_system_sgpr_workgroup_id_z 0
		.amdhsa_system_sgpr_workgroup_info 0
		.amdhsa_system_vgpr_workitem_id 0
		.amdhsa_next_free_vgpr 1
		.amdhsa_next_free_sgpr 0
		.amdhsa_accum_offset 4
		.amdhsa_reserve_vcc 0
		.amdhsa_reserve_flat_scratch 0
		.amdhsa_float_round_mode_32 0
		.amdhsa_float_round_mode_16_64 0
		.amdhsa_float_denorm_mode_32 3
		.amdhsa_float_denorm_mode_16_64 3
		.amdhsa_dx10_clamp 1
		.amdhsa_ieee_mode 1
		.amdhsa_fp16_overflow 0
		.amdhsa_tg_split 0
		.amdhsa_exception_fp_ieee_invalid_op 0
		.amdhsa_exception_fp_denorm_src 0
		.amdhsa_exception_fp_ieee_div_zero 0
		.amdhsa_exception_fp_ieee_overflow 0
		.amdhsa_exception_fp_ieee_underflow 0
		.amdhsa_exception_fp_ieee_inexact 0
		.amdhsa_exception_int_div_zero 0
	.end_amdhsa_kernel
	.section	.text._ZN7rocprim17ROCPRIM_400000_NS6detail17trampoline_kernelINS0_14default_configENS1_25transform_config_selectorIdLb0EEEZNS1_14transform_implILb0ES3_S5_NS0_18transform_iteratorINS0_17counting_iteratorImlEEZNS1_24adjacent_difference_implIS3_Lb1ELb0EPKdPdN6thrust23THRUST_200600_302600_NS4plusIdEEEE10hipError_tPvRmT2_T3_mT4_P12ihipStream_tbEUlmE_dEESD_NS0_8identityIvEEEESI_SL_SM_mSN_SP_bEUlT_E_NS1_11comp_targetILNS1_3genE5ELNS1_11target_archE942ELNS1_3gpuE9ELNS1_3repE0EEENS1_30default_config_static_selectorELNS0_4arch9wavefront6targetE1EEEvT1_,"axG",@progbits,_ZN7rocprim17ROCPRIM_400000_NS6detail17trampoline_kernelINS0_14default_configENS1_25transform_config_selectorIdLb0EEEZNS1_14transform_implILb0ES3_S5_NS0_18transform_iteratorINS0_17counting_iteratorImlEEZNS1_24adjacent_difference_implIS3_Lb1ELb0EPKdPdN6thrust23THRUST_200600_302600_NS4plusIdEEEE10hipError_tPvRmT2_T3_mT4_P12ihipStream_tbEUlmE_dEESD_NS0_8identityIvEEEESI_SL_SM_mSN_SP_bEUlT_E_NS1_11comp_targetILNS1_3genE5ELNS1_11target_archE942ELNS1_3gpuE9ELNS1_3repE0EEENS1_30default_config_static_selectorELNS0_4arch9wavefront6targetE1EEEvT1_,comdat
.Lfunc_end650:
	.size	_ZN7rocprim17ROCPRIM_400000_NS6detail17trampoline_kernelINS0_14default_configENS1_25transform_config_selectorIdLb0EEEZNS1_14transform_implILb0ES3_S5_NS0_18transform_iteratorINS0_17counting_iteratorImlEEZNS1_24adjacent_difference_implIS3_Lb1ELb0EPKdPdN6thrust23THRUST_200600_302600_NS4plusIdEEEE10hipError_tPvRmT2_T3_mT4_P12ihipStream_tbEUlmE_dEESD_NS0_8identityIvEEEESI_SL_SM_mSN_SP_bEUlT_E_NS1_11comp_targetILNS1_3genE5ELNS1_11target_archE942ELNS1_3gpuE9ELNS1_3repE0EEENS1_30default_config_static_selectorELNS0_4arch9wavefront6targetE1EEEvT1_, .Lfunc_end650-_ZN7rocprim17ROCPRIM_400000_NS6detail17trampoline_kernelINS0_14default_configENS1_25transform_config_selectorIdLb0EEEZNS1_14transform_implILb0ES3_S5_NS0_18transform_iteratorINS0_17counting_iteratorImlEEZNS1_24adjacent_difference_implIS3_Lb1ELb0EPKdPdN6thrust23THRUST_200600_302600_NS4plusIdEEEE10hipError_tPvRmT2_T3_mT4_P12ihipStream_tbEUlmE_dEESD_NS0_8identityIvEEEESI_SL_SM_mSN_SP_bEUlT_E_NS1_11comp_targetILNS1_3genE5ELNS1_11target_archE942ELNS1_3gpuE9ELNS1_3repE0EEENS1_30default_config_static_selectorELNS0_4arch9wavefront6targetE1EEEvT1_
                                        ; -- End function
	.section	.AMDGPU.csdata,"",@progbits
; Kernel info:
; codeLenInByte = 0
; NumSgprs: 4
; NumVgprs: 0
; NumAgprs: 0
; TotalNumVgprs: 0
; ScratchSize: 0
; MemoryBound: 0
; FloatMode: 240
; IeeeMode: 1
; LDSByteSize: 0 bytes/workgroup (compile time only)
; SGPRBlocks: 0
; VGPRBlocks: 0
; NumSGPRsForWavesPerEU: 4
; NumVGPRsForWavesPerEU: 1
; AccumOffset: 4
; Occupancy: 8
; WaveLimiterHint : 0
; COMPUTE_PGM_RSRC2:SCRATCH_EN: 0
; COMPUTE_PGM_RSRC2:USER_SGPR: 6
; COMPUTE_PGM_RSRC2:TRAP_HANDLER: 0
; COMPUTE_PGM_RSRC2:TGID_X_EN: 1
; COMPUTE_PGM_RSRC2:TGID_Y_EN: 0
; COMPUTE_PGM_RSRC2:TGID_Z_EN: 0
; COMPUTE_PGM_RSRC2:TIDIG_COMP_CNT: 0
; COMPUTE_PGM_RSRC3_GFX90A:ACCUM_OFFSET: 0
; COMPUTE_PGM_RSRC3_GFX90A:TG_SPLIT: 0
	.section	.text._ZN7rocprim17ROCPRIM_400000_NS6detail17trampoline_kernelINS0_14default_configENS1_25transform_config_selectorIdLb0EEEZNS1_14transform_implILb0ES3_S5_NS0_18transform_iteratorINS0_17counting_iteratorImlEEZNS1_24adjacent_difference_implIS3_Lb1ELb0EPKdPdN6thrust23THRUST_200600_302600_NS4plusIdEEEE10hipError_tPvRmT2_T3_mT4_P12ihipStream_tbEUlmE_dEESD_NS0_8identityIvEEEESI_SL_SM_mSN_SP_bEUlT_E_NS1_11comp_targetILNS1_3genE4ELNS1_11target_archE910ELNS1_3gpuE8ELNS1_3repE0EEENS1_30default_config_static_selectorELNS0_4arch9wavefront6targetE1EEEvT1_,"axG",@progbits,_ZN7rocprim17ROCPRIM_400000_NS6detail17trampoline_kernelINS0_14default_configENS1_25transform_config_selectorIdLb0EEEZNS1_14transform_implILb0ES3_S5_NS0_18transform_iteratorINS0_17counting_iteratorImlEEZNS1_24adjacent_difference_implIS3_Lb1ELb0EPKdPdN6thrust23THRUST_200600_302600_NS4plusIdEEEE10hipError_tPvRmT2_T3_mT4_P12ihipStream_tbEUlmE_dEESD_NS0_8identityIvEEEESI_SL_SM_mSN_SP_bEUlT_E_NS1_11comp_targetILNS1_3genE4ELNS1_11target_archE910ELNS1_3gpuE8ELNS1_3repE0EEENS1_30default_config_static_selectorELNS0_4arch9wavefront6targetE1EEEvT1_,comdat
	.protected	_ZN7rocprim17ROCPRIM_400000_NS6detail17trampoline_kernelINS0_14default_configENS1_25transform_config_selectorIdLb0EEEZNS1_14transform_implILb0ES3_S5_NS0_18transform_iteratorINS0_17counting_iteratorImlEEZNS1_24adjacent_difference_implIS3_Lb1ELb0EPKdPdN6thrust23THRUST_200600_302600_NS4plusIdEEEE10hipError_tPvRmT2_T3_mT4_P12ihipStream_tbEUlmE_dEESD_NS0_8identityIvEEEESI_SL_SM_mSN_SP_bEUlT_E_NS1_11comp_targetILNS1_3genE4ELNS1_11target_archE910ELNS1_3gpuE8ELNS1_3repE0EEENS1_30default_config_static_selectorELNS0_4arch9wavefront6targetE1EEEvT1_ ; -- Begin function _ZN7rocprim17ROCPRIM_400000_NS6detail17trampoline_kernelINS0_14default_configENS1_25transform_config_selectorIdLb0EEEZNS1_14transform_implILb0ES3_S5_NS0_18transform_iteratorINS0_17counting_iteratorImlEEZNS1_24adjacent_difference_implIS3_Lb1ELb0EPKdPdN6thrust23THRUST_200600_302600_NS4plusIdEEEE10hipError_tPvRmT2_T3_mT4_P12ihipStream_tbEUlmE_dEESD_NS0_8identityIvEEEESI_SL_SM_mSN_SP_bEUlT_E_NS1_11comp_targetILNS1_3genE4ELNS1_11target_archE910ELNS1_3gpuE8ELNS1_3repE0EEENS1_30default_config_static_selectorELNS0_4arch9wavefront6targetE1EEEvT1_
	.globl	_ZN7rocprim17ROCPRIM_400000_NS6detail17trampoline_kernelINS0_14default_configENS1_25transform_config_selectorIdLb0EEEZNS1_14transform_implILb0ES3_S5_NS0_18transform_iteratorINS0_17counting_iteratorImlEEZNS1_24adjacent_difference_implIS3_Lb1ELb0EPKdPdN6thrust23THRUST_200600_302600_NS4plusIdEEEE10hipError_tPvRmT2_T3_mT4_P12ihipStream_tbEUlmE_dEESD_NS0_8identityIvEEEESI_SL_SM_mSN_SP_bEUlT_E_NS1_11comp_targetILNS1_3genE4ELNS1_11target_archE910ELNS1_3gpuE8ELNS1_3repE0EEENS1_30default_config_static_selectorELNS0_4arch9wavefront6targetE1EEEvT1_
	.p2align	8
	.type	_ZN7rocprim17ROCPRIM_400000_NS6detail17trampoline_kernelINS0_14default_configENS1_25transform_config_selectorIdLb0EEEZNS1_14transform_implILb0ES3_S5_NS0_18transform_iteratorINS0_17counting_iteratorImlEEZNS1_24adjacent_difference_implIS3_Lb1ELb0EPKdPdN6thrust23THRUST_200600_302600_NS4plusIdEEEE10hipError_tPvRmT2_T3_mT4_P12ihipStream_tbEUlmE_dEESD_NS0_8identityIvEEEESI_SL_SM_mSN_SP_bEUlT_E_NS1_11comp_targetILNS1_3genE4ELNS1_11target_archE910ELNS1_3gpuE8ELNS1_3repE0EEENS1_30default_config_static_selectorELNS0_4arch9wavefront6targetE1EEEvT1_,@function
_ZN7rocprim17ROCPRIM_400000_NS6detail17trampoline_kernelINS0_14default_configENS1_25transform_config_selectorIdLb0EEEZNS1_14transform_implILb0ES3_S5_NS0_18transform_iteratorINS0_17counting_iteratorImlEEZNS1_24adjacent_difference_implIS3_Lb1ELb0EPKdPdN6thrust23THRUST_200600_302600_NS4plusIdEEEE10hipError_tPvRmT2_T3_mT4_P12ihipStream_tbEUlmE_dEESD_NS0_8identityIvEEEESI_SL_SM_mSN_SP_bEUlT_E_NS1_11comp_targetILNS1_3genE4ELNS1_11target_archE910ELNS1_3gpuE8ELNS1_3repE0EEENS1_30default_config_static_selectorELNS0_4arch9wavefront6targetE1EEEvT1_: ; @_ZN7rocprim17ROCPRIM_400000_NS6detail17trampoline_kernelINS0_14default_configENS1_25transform_config_selectorIdLb0EEEZNS1_14transform_implILb0ES3_S5_NS0_18transform_iteratorINS0_17counting_iteratorImlEEZNS1_24adjacent_difference_implIS3_Lb1ELb0EPKdPdN6thrust23THRUST_200600_302600_NS4plusIdEEEE10hipError_tPvRmT2_T3_mT4_P12ihipStream_tbEUlmE_dEESD_NS0_8identityIvEEEESI_SL_SM_mSN_SP_bEUlT_E_NS1_11comp_targetILNS1_3genE4ELNS1_11target_archE910ELNS1_3gpuE8ELNS1_3repE0EEENS1_30default_config_static_selectorELNS0_4arch9wavefront6targetE1EEEvT1_
; %bb.0:
	s_load_dwordx4 s[0:3], s[4:5], 0x18
	s_load_dwordx2 s[14:15], s[4:5], 0x28
	s_load_dwordx4 s[8:11], s[4:5], 0x0
	s_load_dword s12, s[4:5], 0x10
	s_waitcnt lgkmcnt(0)
	s_load_dword s3, s[4:5], 0x38
                                        ; kill: killed $sgpr4_sgpr5
	s_lshl_b64 s[4:5], s[0:1], 3
	s_add_u32 s14, s14, s4
	s_addc_u32 s15, s15, s5
	s_lshl_b32 s4, s6, 9
	s_waitcnt lgkmcnt(0)
	s_add_i32 s3, s3, -1
	s_add_u32 s7, s8, s4
	s_addc_u32 s8, s9, 0
	s_add_u32 s16, s7, s0
	s_addc_u32 s17, s8, s1
	s_mov_b32 s5, 0
	s_cmp_lg_u32 s6, s3
	v_lshlrev_b32_e32 v1, 3, v0
	s_cbranch_scc0 .LBB651_2
; %bb.1:
	v_mov_b32_e32 v2, s17
	v_add_co_u32_e32 v3, vcc, s16, v0
	v_addc_co_u32_e32 v5, vcc, 0, v2, vcc
	v_mad_u64_u32 v[2:3], s[0:1], v3, s12, 0
	v_mov_b32_e32 v4, v3
	v_mad_u64_u32 v[4:5], s[0:1], v5, s12, v[4:5]
	v_mov_b32_e32 v3, v4
	v_lshlrev_b64 v[2:3], 3, v[2:3]
	s_mov_b32 s13, s5
	v_mov_b32_e32 v4, s11
	v_add_co_u32_e32 v2, vcc, s10, v2
	v_addc_co_u32_e32 v3, vcc, v4, v3, vcc
	s_lshl_b64 s[0:1], s[12:13], 11
	global_load_dwordx2 v[8:9], v[2:3], off
	v_mov_b32_e32 v4, s1
	v_add_co_u32_e32 v2, vcc, s0, v2
	v_addc_co_u32_e32 v3, vcc, v3, v4, vcc
	global_load_dwordx2 v[4:5], v[2:3], off
	s_lshl_b64 s[6:7], s[4:5], 3
	s_add_u32 s6, s14, s6
	s_addc_u32 s7, s15, s7
	v_mov_b32_e32 v2, s7
	v_add_co_u32_e32 v6, vcc, s6, v1
	v_addc_co_u32_e32 v7, vcc, 0, v2, vcc
	s_waitcnt vmcnt(1)
	global_store_dwordx2 v1, v[8:9], s[6:7]
	s_mov_b64 s[6:7], -1
	s_cbranch_execz .LBB651_3
	s_branch .LBB651_12
.LBB651_2:
	s_mov_b64 s[6:7], 0
                                        ; implicit-def: $vgpr4_vgpr5
                                        ; implicit-def: $vgpr6_vgpr7
.LBB651_3:
	s_sub_i32 s8, s2, s4
	v_cmp_gt_u32_e32 vcc, s8, v0
                                        ; implicit-def: $vgpr2_vgpr3_vgpr4_vgpr5
	s_and_saveexec_b64 s[2:3], vcc
	s_cbranch_execz .LBB651_5
; %bb.4:
	v_mov_b32_e32 v2, s17
	v_add_co_u32_e64 v3, s[0:1], s16, v0
	s_waitcnt vmcnt(1)
	v_addc_co_u32_e64 v5, s[0:1], 0, v2, s[0:1]
	v_mad_u64_u32 v[2:3], s[0:1], v3, s12, 0
	v_mov_b32_e32 v4, v3
	v_mad_u64_u32 v[4:5], s[0:1], v5, s12, v[4:5]
	v_mov_b32_e32 v3, v4
	v_lshlrev_b64 v[2:3], 3, v[2:3]
	v_mov_b32_e32 v4, s11
	v_add_co_u32_e64 v2, s[0:1], s10, v2
	v_addc_co_u32_e64 v3, s[0:1], v4, v3, s[0:1]
	global_load_dwordx2 v[2:3], v[2:3], off
.LBB651_5:
	s_or_b64 exec, exec, s[2:3]
	v_or_b32_e32 v0, 0x100, v0
	v_cmp_gt_u32_e64 s[0:1], s8, v0
	s_and_saveexec_b64 s[8:9], s[0:1]
	s_cbranch_execz .LBB651_7
; %bb.6:
	s_waitcnt vmcnt(1)
	v_mov_b32_e32 v4, s17
	v_add_co_u32_e64 v0, s[2:3], s16, v0
	v_addc_co_u32_e64 v6, s[2:3], 0, v4, s[2:3]
	v_mad_u64_u32 v[4:5], s[2:3], v0, s12, 0
	v_mov_b32_e32 v0, v5
	v_mad_u64_u32 v[6:7], s[2:3], v6, s12, v[0:1]
	v_mov_b32_e32 v5, v6
	v_lshlrev_b64 v[4:5], 3, v[4:5]
	v_mov_b32_e32 v0, s11
	v_add_co_u32_e64 v4, s[2:3], s10, v4
	v_addc_co_u32_e64 v5, s[2:3], v0, v5, s[2:3]
	global_load_dwordx2 v[4:5], v[4:5], off
.LBB651_7:
	s_or_b64 exec, exec, s[8:9]
	s_lshl_b64 s[2:3], s[4:5], 3
	s_add_u32 s2, s14, s2
	s_addc_u32 s3, s15, s3
	v_mov_b32_e32 v0, s3
	v_add_co_u32_e64 v6, s[2:3], s2, v1
	v_addc_co_u32_e64 v7, s[2:3], 0, v0, s[2:3]
	s_and_saveexec_b64 s[2:3], vcc
	s_cbranch_execz .LBB651_9
; %bb.8:
	s_waitcnt vmcnt(0)
	global_store_dwordx2 v[6:7], v[2:3], off
.LBB651_9:
	s_or_b64 exec, exec, s[2:3]
	s_and_saveexec_b64 s[2:3], s[0:1]
; %bb.10:
	s_or_b64 s[6:7], s[6:7], exec
; %bb.11:
	s_or_b64 exec, exec, s[2:3]
.LBB651_12:
	s_and_saveexec_b64 s[0:1], s[6:7]
	s_cbranch_execnz .LBB651_14
; %bb.13:
	s_endpgm
.LBB651_14:
	s_waitcnt vmcnt(0)
	global_store_dwordx2 v[6:7], v[4:5], off offset:2048
	s_endpgm
	.section	.rodata,"a",@progbits
	.p2align	6, 0x0
	.amdhsa_kernel _ZN7rocprim17ROCPRIM_400000_NS6detail17trampoline_kernelINS0_14default_configENS1_25transform_config_selectorIdLb0EEEZNS1_14transform_implILb0ES3_S5_NS0_18transform_iteratorINS0_17counting_iteratorImlEEZNS1_24adjacent_difference_implIS3_Lb1ELb0EPKdPdN6thrust23THRUST_200600_302600_NS4plusIdEEEE10hipError_tPvRmT2_T3_mT4_P12ihipStream_tbEUlmE_dEESD_NS0_8identityIvEEEESI_SL_SM_mSN_SP_bEUlT_E_NS1_11comp_targetILNS1_3genE4ELNS1_11target_archE910ELNS1_3gpuE8ELNS1_3repE0EEENS1_30default_config_static_selectorELNS0_4arch9wavefront6targetE1EEEvT1_
		.amdhsa_group_segment_fixed_size 0
		.amdhsa_private_segment_fixed_size 0
		.amdhsa_kernarg_size 312
		.amdhsa_user_sgpr_count 6
		.amdhsa_user_sgpr_private_segment_buffer 1
		.amdhsa_user_sgpr_dispatch_ptr 0
		.amdhsa_user_sgpr_queue_ptr 0
		.amdhsa_user_sgpr_kernarg_segment_ptr 1
		.amdhsa_user_sgpr_dispatch_id 0
		.amdhsa_user_sgpr_flat_scratch_init 0
		.amdhsa_user_sgpr_kernarg_preload_length 0
		.amdhsa_user_sgpr_kernarg_preload_offset 0
		.amdhsa_user_sgpr_private_segment_size 0
		.amdhsa_uses_dynamic_stack 0
		.amdhsa_system_sgpr_private_segment_wavefront_offset 0
		.amdhsa_system_sgpr_workgroup_id_x 1
		.amdhsa_system_sgpr_workgroup_id_y 0
		.amdhsa_system_sgpr_workgroup_id_z 0
		.amdhsa_system_sgpr_workgroup_info 0
		.amdhsa_system_vgpr_workitem_id 0
		.amdhsa_next_free_vgpr 10
		.amdhsa_next_free_sgpr 18
		.amdhsa_accum_offset 12
		.amdhsa_reserve_vcc 1
		.amdhsa_reserve_flat_scratch 0
		.amdhsa_float_round_mode_32 0
		.amdhsa_float_round_mode_16_64 0
		.amdhsa_float_denorm_mode_32 3
		.amdhsa_float_denorm_mode_16_64 3
		.amdhsa_dx10_clamp 1
		.amdhsa_ieee_mode 1
		.amdhsa_fp16_overflow 0
		.amdhsa_tg_split 0
		.amdhsa_exception_fp_ieee_invalid_op 0
		.amdhsa_exception_fp_denorm_src 0
		.amdhsa_exception_fp_ieee_div_zero 0
		.amdhsa_exception_fp_ieee_overflow 0
		.amdhsa_exception_fp_ieee_underflow 0
		.amdhsa_exception_fp_ieee_inexact 0
		.amdhsa_exception_int_div_zero 0
	.end_amdhsa_kernel
	.section	.text._ZN7rocprim17ROCPRIM_400000_NS6detail17trampoline_kernelINS0_14default_configENS1_25transform_config_selectorIdLb0EEEZNS1_14transform_implILb0ES3_S5_NS0_18transform_iteratorINS0_17counting_iteratorImlEEZNS1_24adjacent_difference_implIS3_Lb1ELb0EPKdPdN6thrust23THRUST_200600_302600_NS4plusIdEEEE10hipError_tPvRmT2_T3_mT4_P12ihipStream_tbEUlmE_dEESD_NS0_8identityIvEEEESI_SL_SM_mSN_SP_bEUlT_E_NS1_11comp_targetILNS1_3genE4ELNS1_11target_archE910ELNS1_3gpuE8ELNS1_3repE0EEENS1_30default_config_static_selectorELNS0_4arch9wavefront6targetE1EEEvT1_,"axG",@progbits,_ZN7rocprim17ROCPRIM_400000_NS6detail17trampoline_kernelINS0_14default_configENS1_25transform_config_selectorIdLb0EEEZNS1_14transform_implILb0ES3_S5_NS0_18transform_iteratorINS0_17counting_iteratorImlEEZNS1_24adjacent_difference_implIS3_Lb1ELb0EPKdPdN6thrust23THRUST_200600_302600_NS4plusIdEEEE10hipError_tPvRmT2_T3_mT4_P12ihipStream_tbEUlmE_dEESD_NS0_8identityIvEEEESI_SL_SM_mSN_SP_bEUlT_E_NS1_11comp_targetILNS1_3genE4ELNS1_11target_archE910ELNS1_3gpuE8ELNS1_3repE0EEENS1_30default_config_static_selectorELNS0_4arch9wavefront6targetE1EEEvT1_,comdat
.Lfunc_end651:
	.size	_ZN7rocprim17ROCPRIM_400000_NS6detail17trampoline_kernelINS0_14default_configENS1_25transform_config_selectorIdLb0EEEZNS1_14transform_implILb0ES3_S5_NS0_18transform_iteratorINS0_17counting_iteratorImlEEZNS1_24adjacent_difference_implIS3_Lb1ELb0EPKdPdN6thrust23THRUST_200600_302600_NS4plusIdEEEE10hipError_tPvRmT2_T3_mT4_P12ihipStream_tbEUlmE_dEESD_NS0_8identityIvEEEESI_SL_SM_mSN_SP_bEUlT_E_NS1_11comp_targetILNS1_3genE4ELNS1_11target_archE910ELNS1_3gpuE8ELNS1_3repE0EEENS1_30default_config_static_selectorELNS0_4arch9wavefront6targetE1EEEvT1_, .Lfunc_end651-_ZN7rocprim17ROCPRIM_400000_NS6detail17trampoline_kernelINS0_14default_configENS1_25transform_config_selectorIdLb0EEEZNS1_14transform_implILb0ES3_S5_NS0_18transform_iteratorINS0_17counting_iteratorImlEEZNS1_24adjacent_difference_implIS3_Lb1ELb0EPKdPdN6thrust23THRUST_200600_302600_NS4plusIdEEEE10hipError_tPvRmT2_T3_mT4_P12ihipStream_tbEUlmE_dEESD_NS0_8identityIvEEEESI_SL_SM_mSN_SP_bEUlT_E_NS1_11comp_targetILNS1_3genE4ELNS1_11target_archE910ELNS1_3gpuE8ELNS1_3repE0EEENS1_30default_config_static_selectorELNS0_4arch9wavefront6targetE1EEEvT1_
                                        ; -- End function
	.section	.AMDGPU.csdata,"",@progbits
; Kernel info:
; codeLenInByte = 556
; NumSgprs: 22
; NumVgprs: 10
; NumAgprs: 0
; TotalNumVgprs: 10
; ScratchSize: 0
; MemoryBound: 0
; FloatMode: 240
; IeeeMode: 1
; LDSByteSize: 0 bytes/workgroup (compile time only)
; SGPRBlocks: 2
; VGPRBlocks: 1
; NumSGPRsForWavesPerEU: 22
; NumVGPRsForWavesPerEU: 10
; AccumOffset: 12
; Occupancy: 8
; WaveLimiterHint : 0
; COMPUTE_PGM_RSRC2:SCRATCH_EN: 0
; COMPUTE_PGM_RSRC2:USER_SGPR: 6
; COMPUTE_PGM_RSRC2:TRAP_HANDLER: 0
; COMPUTE_PGM_RSRC2:TGID_X_EN: 1
; COMPUTE_PGM_RSRC2:TGID_Y_EN: 0
; COMPUTE_PGM_RSRC2:TGID_Z_EN: 0
; COMPUTE_PGM_RSRC2:TIDIG_COMP_CNT: 0
; COMPUTE_PGM_RSRC3_GFX90A:ACCUM_OFFSET: 2
; COMPUTE_PGM_RSRC3_GFX90A:TG_SPLIT: 0
	.section	.text._ZN7rocprim17ROCPRIM_400000_NS6detail17trampoline_kernelINS0_14default_configENS1_25transform_config_selectorIdLb0EEEZNS1_14transform_implILb0ES3_S5_NS0_18transform_iteratorINS0_17counting_iteratorImlEEZNS1_24adjacent_difference_implIS3_Lb1ELb0EPKdPdN6thrust23THRUST_200600_302600_NS4plusIdEEEE10hipError_tPvRmT2_T3_mT4_P12ihipStream_tbEUlmE_dEESD_NS0_8identityIvEEEESI_SL_SM_mSN_SP_bEUlT_E_NS1_11comp_targetILNS1_3genE3ELNS1_11target_archE908ELNS1_3gpuE7ELNS1_3repE0EEENS1_30default_config_static_selectorELNS0_4arch9wavefront6targetE1EEEvT1_,"axG",@progbits,_ZN7rocprim17ROCPRIM_400000_NS6detail17trampoline_kernelINS0_14default_configENS1_25transform_config_selectorIdLb0EEEZNS1_14transform_implILb0ES3_S5_NS0_18transform_iteratorINS0_17counting_iteratorImlEEZNS1_24adjacent_difference_implIS3_Lb1ELb0EPKdPdN6thrust23THRUST_200600_302600_NS4plusIdEEEE10hipError_tPvRmT2_T3_mT4_P12ihipStream_tbEUlmE_dEESD_NS0_8identityIvEEEESI_SL_SM_mSN_SP_bEUlT_E_NS1_11comp_targetILNS1_3genE3ELNS1_11target_archE908ELNS1_3gpuE7ELNS1_3repE0EEENS1_30default_config_static_selectorELNS0_4arch9wavefront6targetE1EEEvT1_,comdat
	.protected	_ZN7rocprim17ROCPRIM_400000_NS6detail17trampoline_kernelINS0_14default_configENS1_25transform_config_selectorIdLb0EEEZNS1_14transform_implILb0ES3_S5_NS0_18transform_iteratorINS0_17counting_iteratorImlEEZNS1_24adjacent_difference_implIS3_Lb1ELb0EPKdPdN6thrust23THRUST_200600_302600_NS4plusIdEEEE10hipError_tPvRmT2_T3_mT4_P12ihipStream_tbEUlmE_dEESD_NS0_8identityIvEEEESI_SL_SM_mSN_SP_bEUlT_E_NS1_11comp_targetILNS1_3genE3ELNS1_11target_archE908ELNS1_3gpuE7ELNS1_3repE0EEENS1_30default_config_static_selectorELNS0_4arch9wavefront6targetE1EEEvT1_ ; -- Begin function _ZN7rocprim17ROCPRIM_400000_NS6detail17trampoline_kernelINS0_14default_configENS1_25transform_config_selectorIdLb0EEEZNS1_14transform_implILb0ES3_S5_NS0_18transform_iteratorINS0_17counting_iteratorImlEEZNS1_24adjacent_difference_implIS3_Lb1ELb0EPKdPdN6thrust23THRUST_200600_302600_NS4plusIdEEEE10hipError_tPvRmT2_T3_mT4_P12ihipStream_tbEUlmE_dEESD_NS0_8identityIvEEEESI_SL_SM_mSN_SP_bEUlT_E_NS1_11comp_targetILNS1_3genE3ELNS1_11target_archE908ELNS1_3gpuE7ELNS1_3repE0EEENS1_30default_config_static_selectorELNS0_4arch9wavefront6targetE1EEEvT1_
	.globl	_ZN7rocprim17ROCPRIM_400000_NS6detail17trampoline_kernelINS0_14default_configENS1_25transform_config_selectorIdLb0EEEZNS1_14transform_implILb0ES3_S5_NS0_18transform_iteratorINS0_17counting_iteratorImlEEZNS1_24adjacent_difference_implIS3_Lb1ELb0EPKdPdN6thrust23THRUST_200600_302600_NS4plusIdEEEE10hipError_tPvRmT2_T3_mT4_P12ihipStream_tbEUlmE_dEESD_NS0_8identityIvEEEESI_SL_SM_mSN_SP_bEUlT_E_NS1_11comp_targetILNS1_3genE3ELNS1_11target_archE908ELNS1_3gpuE7ELNS1_3repE0EEENS1_30default_config_static_selectorELNS0_4arch9wavefront6targetE1EEEvT1_
	.p2align	8
	.type	_ZN7rocprim17ROCPRIM_400000_NS6detail17trampoline_kernelINS0_14default_configENS1_25transform_config_selectorIdLb0EEEZNS1_14transform_implILb0ES3_S5_NS0_18transform_iteratorINS0_17counting_iteratorImlEEZNS1_24adjacent_difference_implIS3_Lb1ELb0EPKdPdN6thrust23THRUST_200600_302600_NS4plusIdEEEE10hipError_tPvRmT2_T3_mT4_P12ihipStream_tbEUlmE_dEESD_NS0_8identityIvEEEESI_SL_SM_mSN_SP_bEUlT_E_NS1_11comp_targetILNS1_3genE3ELNS1_11target_archE908ELNS1_3gpuE7ELNS1_3repE0EEENS1_30default_config_static_selectorELNS0_4arch9wavefront6targetE1EEEvT1_,@function
_ZN7rocprim17ROCPRIM_400000_NS6detail17trampoline_kernelINS0_14default_configENS1_25transform_config_selectorIdLb0EEEZNS1_14transform_implILb0ES3_S5_NS0_18transform_iteratorINS0_17counting_iteratorImlEEZNS1_24adjacent_difference_implIS3_Lb1ELb0EPKdPdN6thrust23THRUST_200600_302600_NS4plusIdEEEE10hipError_tPvRmT2_T3_mT4_P12ihipStream_tbEUlmE_dEESD_NS0_8identityIvEEEESI_SL_SM_mSN_SP_bEUlT_E_NS1_11comp_targetILNS1_3genE3ELNS1_11target_archE908ELNS1_3gpuE7ELNS1_3repE0EEENS1_30default_config_static_selectorELNS0_4arch9wavefront6targetE1EEEvT1_: ; @_ZN7rocprim17ROCPRIM_400000_NS6detail17trampoline_kernelINS0_14default_configENS1_25transform_config_selectorIdLb0EEEZNS1_14transform_implILb0ES3_S5_NS0_18transform_iteratorINS0_17counting_iteratorImlEEZNS1_24adjacent_difference_implIS3_Lb1ELb0EPKdPdN6thrust23THRUST_200600_302600_NS4plusIdEEEE10hipError_tPvRmT2_T3_mT4_P12ihipStream_tbEUlmE_dEESD_NS0_8identityIvEEEESI_SL_SM_mSN_SP_bEUlT_E_NS1_11comp_targetILNS1_3genE3ELNS1_11target_archE908ELNS1_3gpuE7ELNS1_3repE0EEENS1_30default_config_static_selectorELNS0_4arch9wavefront6targetE1EEEvT1_
; %bb.0:
	.section	.rodata,"a",@progbits
	.p2align	6, 0x0
	.amdhsa_kernel _ZN7rocprim17ROCPRIM_400000_NS6detail17trampoline_kernelINS0_14default_configENS1_25transform_config_selectorIdLb0EEEZNS1_14transform_implILb0ES3_S5_NS0_18transform_iteratorINS0_17counting_iteratorImlEEZNS1_24adjacent_difference_implIS3_Lb1ELb0EPKdPdN6thrust23THRUST_200600_302600_NS4plusIdEEEE10hipError_tPvRmT2_T3_mT4_P12ihipStream_tbEUlmE_dEESD_NS0_8identityIvEEEESI_SL_SM_mSN_SP_bEUlT_E_NS1_11comp_targetILNS1_3genE3ELNS1_11target_archE908ELNS1_3gpuE7ELNS1_3repE0EEENS1_30default_config_static_selectorELNS0_4arch9wavefront6targetE1EEEvT1_
		.amdhsa_group_segment_fixed_size 0
		.amdhsa_private_segment_fixed_size 0
		.amdhsa_kernarg_size 56
		.amdhsa_user_sgpr_count 6
		.amdhsa_user_sgpr_private_segment_buffer 1
		.amdhsa_user_sgpr_dispatch_ptr 0
		.amdhsa_user_sgpr_queue_ptr 0
		.amdhsa_user_sgpr_kernarg_segment_ptr 1
		.amdhsa_user_sgpr_dispatch_id 0
		.amdhsa_user_sgpr_flat_scratch_init 0
		.amdhsa_user_sgpr_kernarg_preload_length 0
		.amdhsa_user_sgpr_kernarg_preload_offset 0
		.amdhsa_user_sgpr_private_segment_size 0
		.amdhsa_uses_dynamic_stack 0
		.amdhsa_system_sgpr_private_segment_wavefront_offset 0
		.amdhsa_system_sgpr_workgroup_id_x 1
		.amdhsa_system_sgpr_workgroup_id_y 0
		.amdhsa_system_sgpr_workgroup_id_z 0
		.amdhsa_system_sgpr_workgroup_info 0
		.amdhsa_system_vgpr_workitem_id 0
		.amdhsa_next_free_vgpr 1
		.amdhsa_next_free_sgpr 0
		.amdhsa_accum_offset 4
		.amdhsa_reserve_vcc 0
		.amdhsa_reserve_flat_scratch 0
		.amdhsa_float_round_mode_32 0
		.amdhsa_float_round_mode_16_64 0
		.amdhsa_float_denorm_mode_32 3
		.amdhsa_float_denorm_mode_16_64 3
		.amdhsa_dx10_clamp 1
		.amdhsa_ieee_mode 1
		.amdhsa_fp16_overflow 0
		.amdhsa_tg_split 0
		.amdhsa_exception_fp_ieee_invalid_op 0
		.amdhsa_exception_fp_denorm_src 0
		.amdhsa_exception_fp_ieee_div_zero 0
		.amdhsa_exception_fp_ieee_overflow 0
		.amdhsa_exception_fp_ieee_underflow 0
		.amdhsa_exception_fp_ieee_inexact 0
		.amdhsa_exception_int_div_zero 0
	.end_amdhsa_kernel
	.section	.text._ZN7rocprim17ROCPRIM_400000_NS6detail17trampoline_kernelINS0_14default_configENS1_25transform_config_selectorIdLb0EEEZNS1_14transform_implILb0ES3_S5_NS0_18transform_iteratorINS0_17counting_iteratorImlEEZNS1_24adjacent_difference_implIS3_Lb1ELb0EPKdPdN6thrust23THRUST_200600_302600_NS4plusIdEEEE10hipError_tPvRmT2_T3_mT4_P12ihipStream_tbEUlmE_dEESD_NS0_8identityIvEEEESI_SL_SM_mSN_SP_bEUlT_E_NS1_11comp_targetILNS1_3genE3ELNS1_11target_archE908ELNS1_3gpuE7ELNS1_3repE0EEENS1_30default_config_static_selectorELNS0_4arch9wavefront6targetE1EEEvT1_,"axG",@progbits,_ZN7rocprim17ROCPRIM_400000_NS6detail17trampoline_kernelINS0_14default_configENS1_25transform_config_selectorIdLb0EEEZNS1_14transform_implILb0ES3_S5_NS0_18transform_iteratorINS0_17counting_iteratorImlEEZNS1_24adjacent_difference_implIS3_Lb1ELb0EPKdPdN6thrust23THRUST_200600_302600_NS4plusIdEEEE10hipError_tPvRmT2_T3_mT4_P12ihipStream_tbEUlmE_dEESD_NS0_8identityIvEEEESI_SL_SM_mSN_SP_bEUlT_E_NS1_11comp_targetILNS1_3genE3ELNS1_11target_archE908ELNS1_3gpuE7ELNS1_3repE0EEENS1_30default_config_static_selectorELNS0_4arch9wavefront6targetE1EEEvT1_,comdat
.Lfunc_end652:
	.size	_ZN7rocprim17ROCPRIM_400000_NS6detail17trampoline_kernelINS0_14default_configENS1_25transform_config_selectorIdLb0EEEZNS1_14transform_implILb0ES3_S5_NS0_18transform_iteratorINS0_17counting_iteratorImlEEZNS1_24adjacent_difference_implIS3_Lb1ELb0EPKdPdN6thrust23THRUST_200600_302600_NS4plusIdEEEE10hipError_tPvRmT2_T3_mT4_P12ihipStream_tbEUlmE_dEESD_NS0_8identityIvEEEESI_SL_SM_mSN_SP_bEUlT_E_NS1_11comp_targetILNS1_3genE3ELNS1_11target_archE908ELNS1_3gpuE7ELNS1_3repE0EEENS1_30default_config_static_selectorELNS0_4arch9wavefront6targetE1EEEvT1_, .Lfunc_end652-_ZN7rocprim17ROCPRIM_400000_NS6detail17trampoline_kernelINS0_14default_configENS1_25transform_config_selectorIdLb0EEEZNS1_14transform_implILb0ES3_S5_NS0_18transform_iteratorINS0_17counting_iteratorImlEEZNS1_24adjacent_difference_implIS3_Lb1ELb0EPKdPdN6thrust23THRUST_200600_302600_NS4plusIdEEEE10hipError_tPvRmT2_T3_mT4_P12ihipStream_tbEUlmE_dEESD_NS0_8identityIvEEEESI_SL_SM_mSN_SP_bEUlT_E_NS1_11comp_targetILNS1_3genE3ELNS1_11target_archE908ELNS1_3gpuE7ELNS1_3repE0EEENS1_30default_config_static_selectorELNS0_4arch9wavefront6targetE1EEEvT1_
                                        ; -- End function
	.section	.AMDGPU.csdata,"",@progbits
; Kernel info:
; codeLenInByte = 0
; NumSgprs: 4
; NumVgprs: 0
; NumAgprs: 0
; TotalNumVgprs: 0
; ScratchSize: 0
; MemoryBound: 0
; FloatMode: 240
; IeeeMode: 1
; LDSByteSize: 0 bytes/workgroup (compile time only)
; SGPRBlocks: 0
; VGPRBlocks: 0
; NumSGPRsForWavesPerEU: 4
; NumVGPRsForWavesPerEU: 1
; AccumOffset: 4
; Occupancy: 8
; WaveLimiterHint : 0
; COMPUTE_PGM_RSRC2:SCRATCH_EN: 0
; COMPUTE_PGM_RSRC2:USER_SGPR: 6
; COMPUTE_PGM_RSRC2:TRAP_HANDLER: 0
; COMPUTE_PGM_RSRC2:TGID_X_EN: 1
; COMPUTE_PGM_RSRC2:TGID_Y_EN: 0
; COMPUTE_PGM_RSRC2:TGID_Z_EN: 0
; COMPUTE_PGM_RSRC2:TIDIG_COMP_CNT: 0
; COMPUTE_PGM_RSRC3_GFX90A:ACCUM_OFFSET: 0
; COMPUTE_PGM_RSRC3_GFX90A:TG_SPLIT: 0
	.section	.text._ZN7rocprim17ROCPRIM_400000_NS6detail17trampoline_kernelINS0_14default_configENS1_25transform_config_selectorIdLb0EEEZNS1_14transform_implILb0ES3_S5_NS0_18transform_iteratorINS0_17counting_iteratorImlEEZNS1_24adjacent_difference_implIS3_Lb1ELb0EPKdPdN6thrust23THRUST_200600_302600_NS4plusIdEEEE10hipError_tPvRmT2_T3_mT4_P12ihipStream_tbEUlmE_dEESD_NS0_8identityIvEEEESI_SL_SM_mSN_SP_bEUlT_E_NS1_11comp_targetILNS1_3genE2ELNS1_11target_archE906ELNS1_3gpuE6ELNS1_3repE0EEENS1_30default_config_static_selectorELNS0_4arch9wavefront6targetE1EEEvT1_,"axG",@progbits,_ZN7rocprim17ROCPRIM_400000_NS6detail17trampoline_kernelINS0_14default_configENS1_25transform_config_selectorIdLb0EEEZNS1_14transform_implILb0ES3_S5_NS0_18transform_iteratorINS0_17counting_iteratorImlEEZNS1_24adjacent_difference_implIS3_Lb1ELb0EPKdPdN6thrust23THRUST_200600_302600_NS4plusIdEEEE10hipError_tPvRmT2_T3_mT4_P12ihipStream_tbEUlmE_dEESD_NS0_8identityIvEEEESI_SL_SM_mSN_SP_bEUlT_E_NS1_11comp_targetILNS1_3genE2ELNS1_11target_archE906ELNS1_3gpuE6ELNS1_3repE0EEENS1_30default_config_static_selectorELNS0_4arch9wavefront6targetE1EEEvT1_,comdat
	.protected	_ZN7rocprim17ROCPRIM_400000_NS6detail17trampoline_kernelINS0_14default_configENS1_25transform_config_selectorIdLb0EEEZNS1_14transform_implILb0ES3_S5_NS0_18transform_iteratorINS0_17counting_iteratorImlEEZNS1_24adjacent_difference_implIS3_Lb1ELb0EPKdPdN6thrust23THRUST_200600_302600_NS4plusIdEEEE10hipError_tPvRmT2_T3_mT4_P12ihipStream_tbEUlmE_dEESD_NS0_8identityIvEEEESI_SL_SM_mSN_SP_bEUlT_E_NS1_11comp_targetILNS1_3genE2ELNS1_11target_archE906ELNS1_3gpuE6ELNS1_3repE0EEENS1_30default_config_static_selectorELNS0_4arch9wavefront6targetE1EEEvT1_ ; -- Begin function _ZN7rocprim17ROCPRIM_400000_NS6detail17trampoline_kernelINS0_14default_configENS1_25transform_config_selectorIdLb0EEEZNS1_14transform_implILb0ES3_S5_NS0_18transform_iteratorINS0_17counting_iteratorImlEEZNS1_24adjacent_difference_implIS3_Lb1ELb0EPKdPdN6thrust23THRUST_200600_302600_NS4plusIdEEEE10hipError_tPvRmT2_T3_mT4_P12ihipStream_tbEUlmE_dEESD_NS0_8identityIvEEEESI_SL_SM_mSN_SP_bEUlT_E_NS1_11comp_targetILNS1_3genE2ELNS1_11target_archE906ELNS1_3gpuE6ELNS1_3repE0EEENS1_30default_config_static_selectorELNS0_4arch9wavefront6targetE1EEEvT1_
	.globl	_ZN7rocprim17ROCPRIM_400000_NS6detail17trampoline_kernelINS0_14default_configENS1_25transform_config_selectorIdLb0EEEZNS1_14transform_implILb0ES3_S5_NS0_18transform_iteratorINS0_17counting_iteratorImlEEZNS1_24adjacent_difference_implIS3_Lb1ELb0EPKdPdN6thrust23THRUST_200600_302600_NS4plusIdEEEE10hipError_tPvRmT2_T3_mT4_P12ihipStream_tbEUlmE_dEESD_NS0_8identityIvEEEESI_SL_SM_mSN_SP_bEUlT_E_NS1_11comp_targetILNS1_3genE2ELNS1_11target_archE906ELNS1_3gpuE6ELNS1_3repE0EEENS1_30default_config_static_selectorELNS0_4arch9wavefront6targetE1EEEvT1_
	.p2align	8
	.type	_ZN7rocprim17ROCPRIM_400000_NS6detail17trampoline_kernelINS0_14default_configENS1_25transform_config_selectorIdLb0EEEZNS1_14transform_implILb0ES3_S5_NS0_18transform_iteratorINS0_17counting_iteratorImlEEZNS1_24adjacent_difference_implIS3_Lb1ELb0EPKdPdN6thrust23THRUST_200600_302600_NS4plusIdEEEE10hipError_tPvRmT2_T3_mT4_P12ihipStream_tbEUlmE_dEESD_NS0_8identityIvEEEESI_SL_SM_mSN_SP_bEUlT_E_NS1_11comp_targetILNS1_3genE2ELNS1_11target_archE906ELNS1_3gpuE6ELNS1_3repE0EEENS1_30default_config_static_selectorELNS0_4arch9wavefront6targetE1EEEvT1_,@function
_ZN7rocprim17ROCPRIM_400000_NS6detail17trampoline_kernelINS0_14default_configENS1_25transform_config_selectorIdLb0EEEZNS1_14transform_implILb0ES3_S5_NS0_18transform_iteratorINS0_17counting_iteratorImlEEZNS1_24adjacent_difference_implIS3_Lb1ELb0EPKdPdN6thrust23THRUST_200600_302600_NS4plusIdEEEE10hipError_tPvRmT2_T3_mT4_P12ihipStream_tbEUlmE_dEESD_NS0_8identityIvEEEESI_SL_SM_mSN_SP_bEUlT_E_NS1_11comp_targetILNS1_3genE2ELNS1_11target_archE906ELNS1_3gpuE6ELNS1_3repE0EEENS1_30default_config_static_selectorELNS0_4arch9wavefront6targetE1EEEvT1_: ; @_ZN7rocprim17ROCPRIM_400000_NS6detail17trampoline_kernelINS0_14default_configENS1_25transform_config_selectorIdLb0EEEZNS1_14transform_implILb0ES3_S5_NS0_18transform_iteratorINS0_17counting_iteratorImlEEZNS1_24adjacent_difference_implIS3_Lb1ELb0EPKdPdN6thrust23THRUST_200600_302600_NS4plusIdEEEE10hipError_tPvRmT2_T3_mT4_P12ihipStream_tbEUlmE_dEESD_NS0_8identityIvEEEESI_SL_SM_mSN_SP_bEUlT_E_NS1_11comp_targetILNS1_3genE2ELNS1_11target_archE906ELNS1_3gpuE6ELNS1_3repE0EEENS1_30default_config_static_selectorELNS0_4arch9wavefront6targetE1EEEvT1_
; %bb.0:
	.section	.rodata,"a",@progbits
	.p2align	6, 0x0
	.amdhsa_kernel _ZN7rocprim17ROCPRIM_400000_NS6detail17trampoline_kernelINS0_14default_configENS1_25transform_config_selectorIdLb0EEEZNS1_14transform_implILb0ES3_S5_NS0_18transform_iteratorINS0_17counting_iteratorImlEEZNS1_24adjacent_difference_implIS3_Lb1ELb0EPKdPdN6thrust23THRUST_200600_302600_NS4plusIdEEEE10hipError_tPvRmT2_T3_mT4_P12ihipStream_tbEUlmE_dEESD_NS0_8identityIvEEEESI_SL_SM_mSN_SP_bEUlT_E_NS1_11comp_targetILNS1_3genE2ELNS1_11target_archE906ELNS1_3gpuE6ELNS1_3repE0EEENS1_30default_config_static_selectorELNS0_4arch9wavefront6targetE1EEEvT1_
		.amdhsa_group_segment_fixed_size 0
		.amdhsa_private_segment_fixed_size 0
		.amdhsa_kernarg_size 56
		.amdhsa_user_sgpr_count 6
		.amdhsa_user_sgpr_private_segment_buffer 1
		.amdhsa_user_sgpr_dispatch_ptr 0
		.amdhsa_user_sgpr_queue_ptr 0
		.amdhsa_user_sgpr_kernarg_segment_ptr 1
		.amdhsa_user_sgpr_dispatch_id 0
		.amdhsa_user_sgpr_flat_scratch_init 0
		.amdhsa_user_sgpr_kernarg_preload_length 0
		.amdhsa_user_sgpr_kernarg_preload_offset 0
		.amdhsa_user_sgpr_private_segment_size 0
		.amdhsa_uses_dynamic_stack 0
		.amdhsa_system_sgpr_private_segment_wavefront_offset 0
		.amdhsa_system_sgpr_workgroup_id_x 1
		.amdhsa_system_sgpr_workgroup_id_y 0
		.amdhsa_system_sgpr_workgroup_id_z 0
		.amdhsa_system_sgpr_workgroup_info 0
		.amdhsa_system_vgpr_workitem_id 0
		.amdhsa_next_free_vgpr 1
		.amdhsa_next_free_sgpr 0
		.amdhsa_accum_offset 4
		.amdhsa_reserve_vcc 0
		.amdhsa_reserve_flat_scratch 0
		.amdhsa_float_round_mode_32 0
		.amdhsa_float_round_mode_16_64 0
		.amdhsa_float_denorm_mode_32 3
		.amdhsa_float_denorm_mode_16_64 3
		.amdhsa_dx10_clamp 1
		.amdhsa_ieee_mode 1
		.amdhsa_fp16_overflow 0
		.amdhsa_tg_split 0
		.amdhsa_exception_fp_ieee_invalid_op 0
		.amdhsa_exception_fp_denorm_src 0
		.amdhsa_exception_fp_ieee_div_zero 0
		.amdhsa_exception_fp_ieee_overflow 0
		.amdhsa_exception_fp_ieee_underflow 0
		.amdhsa_exception_fp_ieee_inexact 0
		.amdhsa_exception_int_div_zero 0
	.end_amdhsa_kernel
	.section	.text._ZN7rocprim17ROCPRIM_400000_NS6detail17trampoline_kernelINS0_14default_configENS1_25transform_config_selectorIdLb0EEEZNS1_14transform_implILb0ES3_S5_NS0_18transform_iteratorINS0_17counting_iteratorImlEEZNS1_24adjacent_difference_implIS3_Lb1ELb0EPKdPdN6thrust23THRUST_200600_302600_NS4plusIdEEEE10hipError_tPvRmT2_T3_mT4_P12ihipStream_tbEUlmE_dEESD_NS0_8identityIvEEEESI_SL_SM_mSN_SP_bEUlT_E_NS1_11comp_targetILNS1_3genE2ELNS1_11target_archE906ELNS1_3gpuE6ELNS1_3repE0EEENS1_30default_config_static_selectorELNS0_4arch9wavefront6targetE1EEEvT1_,"axG",@progbits,_ZN7rocprim17ROCPRIM_400000_NS6detail17trampoline_kernelINS0_14default_configENS1_25transform_config_selectorIdLb0EEEZNS1_14transform_implILb0ES3_S5_NS0_18transform_iteratorINS0_17counting_iteratorImlEEZNS1_24adjacent_difference_implIS3_Lb1ELb0EPKdPdN6thrust23THRUST_200600_302600_NS4plusIdEEEE10hipError_tPvRmT2_T3_mT4_P12ihipStream_tbEUlmE_dEESD_NS0_8identityIvEEEESI_SL_SM_mSN_SP_bEUlT_E_NS1_11comp_targetILNS1_3genE2ELNS1_11target_archE906ELNS1_3gpuE6ELNS1_3repE0EEENS1_30default_config_static_selectorELNS0_4arch9wavefront6targetE1EEEvT1_,comdat
.Lfunc_end653:
	.size	_ZN7rocprim17ROCPRIM_400000_NS6detail17trampoline_kernelINS0_14default_configENS1_25transform_config_selectorIdLb0EEEZNS1_14transform_implILb0ES3_S5_NS0_18transform_iteratorINS0_17counting_iteratorImlEEZNS1_24adjacent_difference_implIS3_Lb1ELb0EPKdPdN6thrust23THRUST_200600_302600_NS4plusIdEEEE10hipError_tPvRmT2_T3_mT4_P12ihipStream_tbEUlmE_dEESD_NS0_8identityIvEEEESI_SL_SM_mSN_SP_bEUlT_E_NS1_11comp_targetILNS1_3genE2ELNS1_11target_archE906ELNS1_3gpuE6ELNS1_3repE0EEENS1_30default_config_static_selectorELNS0_4arch9wavefront6targetE1EEEvT1_, .Lfunc_end653-_ZN7rocprim17ROCPRIM_400000_NS6detail17trampoline_kernelINS0_14default_configENS1_25transform_config_selectorIdLb0EEEZNS1_14transform_implILb0ES3_S5_NS0_18transform_iteratorINS0_17counting_iteratorImlEEZNS1_24adjacent_difference_implIS3_Lb1ELb0EPKdPdN6thrust23THRUST_200600_302600_NS4plusIdEEEE10hipError_tPvRmT2_T3_mT4_P12ihipStream_tbEUlmE_dEESD_NS0_8identityIvEEEESI_SL_SM_mSN_SP_bEUlT_E_NS1_11comp_targetILNS1_3genE2ELNS1_11target_archE906ELNS1_3gpuE6ELNS1_3repE0EEENS1_30default_config_static_selectorELNS0_4arch9wavefront6targetE1EEEvT1_
                                        ; -- End function
	.section	.AMDGPU.csdata,"",@progbits
; Kernel info:
; codeLenInByte = 0
; NumSgprs: 4
; NumVgprs: 0
; NumAgprs: 0
; TotalNumVgprs: 0
; ScratchSize: 0
; MemoryBound: 0
; FloatMode: 240
; IeeeMode: 1
; LDSByteSize: 0 bytes/workgroup (compile time only)
; SGPRBlocks: 0
; VGPRBlocks: 0
; NumSGPRsForWavesPerEU: 4
; NumVGPRsForWavesPerEU: 1
; AccumOffset: 4
; Occupancy: 8
; WaveLimiterHint : 0
; COMPUTE_PGM_RSRC2:SCRATCH_EN: 0
; COMPUTE_PGM_RSRC2:USER_SGPR: 6
; COMPUTE_PGM_RSRC2:TRAP_HANDLER: 0
; COMPUTE_PGM_RSRC2:TGID_X_EN: 1
; COMPUTE_PGM_RSRC2:TGID_Y_EN: 0
; COMPUTE_PGM_RSRC2:TGID_Z_EN: 0
; COMPUTE_PGM_RSRC2:TIDIG_COMP_CNT: 0
; COMPUTE_PGM_RSRC3_GFX90A:ACCUM_OFFSET: 0
; COMPUTE_PGM_RSRC3_GFX90A:TG_SPLIT: 0
	.section	.text._ZN7rocprim17ROCPRIM_400000_NS6detail17trampoline_kernelINS0_14default_configENS1_25transform_config_selectorIdLb0EEEZNS1_14transform_implILb0ES3_S5_NS0_18transform_iteratorINS0_17counting_iteratorImlEEZNS1_24adjacent_difference_implIS3_Lb1ELb0EPKdPdN6thrust23THRUST_200600_302600_NS4plusIdEEEE10hipError_tPvRmT2_T3_mT4_P12ihipStream_tbEUlmE_dEESD_NS0_8identityIvEEEESI_SL_SM_mSN_SP_bEUlT_E_NS1_11comp_targetILNS1_3genE10ELNS1_11target_archE1201ELNS1_3gpuE5ELNS1_3repE0EEENS1_30default_config_static_selectorELNS0_4arch9wavefront6targetE1EEEvT1_,"axG",@progbits,_ZN7rocprim17ROCPRIM_400000_NS6detail17trampoline_kernelINS0_14default_configENS1_25transform_config_selectorIdLb0EEEZNS1_14transform_implILb0ES3_S5_NS0_18transform_iteratorINS0_17counting_iteratorImlEEZNS1_24adjacent_difference_implIS3_Lb1ELb0EPKdPdN6thrust23THRUST_200600_302600_NS4plusIdEEEE10hipError_tPvRmT2_T3_mT4_P12ihipStream_tbEUlmE_dEESD_NS0_8identityIvEEEESI_SL_SM_mSN_SP_bEUlT_E_NS1_11comp_targetILNS1_3genE10ELNS1_11target_archE1201ELNS1_3gpuE5ELNS1_3repE0EEENS1_30default_config_static_selectorELNS0_4arch9wavefront6targetE1EEEvT1_,comdat
	.protected	_ZN7rocprim17ROCPRIM_400000_NS6detail17trampoline_kernelINS0_14default_configENS1_25transform_config_selectorIdLb0EEEZNS1_14transform_implILb0ES3_S5_NS0_18transform_iteratorINS0_17counting_iteratorImlEEZNS1_24adjacent_difference_implIS3_Lb1ELb0EPKdPdN6thrust23THRUST_200600_302600_NS4plusIdEEEE10hipError_tPvRmT2_T3_mT4_P12ihipStream_tbEUlmE_dEESD_NS0_8identityIvEEEESI_SL_SM_mSN_SP_bEUlT_E_NS1_11comp_targetILNS1_3genE10ELNS1_11target_archE1201ELNS1_3gpuE5ELNS1_3repE0EEENS1_30default_config_static_selectorELNS0_4arch9wavefront6targetE1EEEvT1_ ; -- Begin function _ZN7rocprim17ROCPRIM_400000_NS6detail17trampoline_kernelINS0_14default_configENS1_25transform_config_selectorIdLb0EEEZNS1_14transform_implILb0ES3_S5_NS0_18transform_iteratorINS0_17counting_iteratorImlEEZNS1_24adjacent_difference_implIS3_Lb1ELb0EPKdPdN6thrust23THRUST_200600_302600_NS4plusIdEEEE10hipError_tPvRmT2_T3_mT4_P12ihipStream_tbEUlmE_dEESD_NS0_8identityIvEEEESI_SL_SM_mSN_SP_bEUlT_E_NS1_11comp_targetILNS1_3genE10ELNS1_11target_archE1201ELNS1_3gpuE5ELNS1_3repE0EEENS1_30default_config_static_selectorELNS0_4arch9wavefront6targetE1EEEvT1_
	.globl	_ZN7rocprim17ROCPRIM_400000_NS6detail17trampoline_kernelINS0_14default_configENS1_25transform_config_selectorIdLb0EEEZNS1_14transform_implILb0ES3_S5_NS0_18transform_iteratorINS0_17counting_iteratorImlEEZNS1_24adjacent_difference_implIS3_Lb1ELb0EPKdPdN6thrust23THRUST_200600_302600_NS4plusIdEEEE10hipError_tPvRmT2_T3_mT4_P12ihipStream_tbEUlmE_dEESD_NS0_8identityIvEEEESI_SL_SM_mSN_SP_bEUlT_E_NS1_11comp_targetILNS1_3genE10ELNS1_11target_archE1201ELNS1_3gpuE5ELNS1_3repE0EEENS1_30default_config_static_selectorELNS0_4arch9wavefront6targetE1EEEvT1_
	.p2align	8
	.type	_ZN7rocprim17ROCPRIM_400000_NS6detail17trampoline_kernelINS0_14default_configENS1_25transform_config_selectorIdLb0EEEZNS1_14transform_implILb0ES3_S5_NS0_18transform_iteratorINS0_17counting_iteratorImlEEZNS1_24adjacent_difference_implIS3_Lb1ELb0EPKdPdN6thrust23THRUST_200600_302600_NS4plusIdEEEE10hipError_tPvRmT2_T3_mT4_P12ihipStream_tbEUlmE_dEESD_NS0_8identityIvEEEESI_SL_SM_mSN_SP_bEUlT_E_NS1_11comp_targetILNS1_3genE10ELNS1_11target_archE1201ELNS1_3gpuE5ELNS1_3repE0EEENS1_30default_config_static_selectorELNS0_4arch9wavefront6targetE1EEEvT1_,@function
_ZN7rocprim17ROCPRIM_400000_NS6detail17trampoline_kernelINS0_14default_configENS1_25transform_config_selectorIdLb0EEEZNS1_14transform_implILb0ES3_S5_NS0_18transform_iteratorINS0_17counting_iteratorImlEEZNS1_24adjacent_difference_implIS3_Lb1ELb0EPKdPdN6thrust23THRUST_200600_302600_NS4plusIdEEEE10hipError_tPvRmT2_T3_mT4_P12ihipStream_tbEUlmE_dEESD_NS0_8identityIvEEEESI_SL_SM_mSN_SP_bEUlT_E_NS1_11comp_targetILNS1_3genE10ELNS1_11target_archE1201ELNS1_3gpuE5ELNS1_3repE0EEENS1_30default_config_static_selectorELNS0_4arch9wavefront6targetE1EEEvT1_: ; @_ZN7rocprim17ROCPRIM_400000_NS6detail17trampoline_kernelINS0_14default_configENS1_25transform_config_selectorIdLb0EEEZNS1_14transform_implILb0ES3_S5_NS0_18transform_iteratorINS0_17counting_iteratorImlEEZNS1_24adjacent_difference_implIS3_Lb1ELb0EPKdPdN6thrust23THRUST_200600_302600_NS4plusIdEEEE10hipError_tPvRmT2_T3_mT4_P12ihipStream_tbEUlmE_dEESD_NS0_8identityIvEEEESI_SL_SM_mSN_SP_bEUlT_E_NS1_11comp_targetILNS1_3genE10ELNS1_11target_archE1201ELNS1_3gpuE5ELNS1_3repE0EEENS1_30default_config_static_selectorELNS0_4arch9wavefront6targetE1EEEvT1_
; %bb.0:
	.section	.rodata,"a",@progbits
	.p2align	6, 0x0
	.amdhsa_kernel _ZN7rocprim17ROCPRIM_400000_NS6detail17trampoline_kernelINS0_14default_configENS1_25transform_config_selectorIdLb0EEEZNS1_14transform_implILb0ES3_S5_NS0_18transform_iteratorINS0_17counting_iteratorImlEEZNS1_24adjacent_difference_implIS3_Lb1ELb0EPKdPdN6thrust23THRUST_200600_302600_NS4plusIdEEEE10hipError_tPvRmT2_T3_mT4_P12ihipStream_tbEUlmE_dEESD_NS0_8identityIvEEEESI_SL_SM_mSN_SP_bEUlT_E_NS1_11comp_targetILNS1_3genE10ELNS1_11target_archE1201ELNS1_3gpuE5ELNS1_3repE0EEENS1_30default_config_static_selectorELNS0_4arch9wavefront6targetE1EEEvT1_
		.amdhsa_group_segment_fixed_size 0
		.amdhsa_private_segment_fixed_size 0
		.amdhsa_kernarg_size 56
		.amdhsa_user_sgpr_count 6
		.amdhsa_user_sgpr_private_segment_buffer 1
		.amdhsa_user_sgpr_dispatch_ptr 0
		.amdhsa_user_sgpr_queue_ptr 0
		.amdhsa_user_sgpr_kernarg_segment_ptr 1
		.amdhsa_user_sgpr_dispatch_id 0
		.amdhsa_user_sgpr_flat_scratch_init 0
		.amdhsa_user_sgpr_kernarg_preload_length 0
		.amdhsa_user_sgpr_kernarg_preload_offset 0
		.amdhsa_user_sgpr_private_segment_size 0
		.amdhsa_uses_dynamic_stack 0
		.amdhsa_system_sgpr_private_segment_wavefront_offset 0
		.amdhsa_system_sgpr_workgroup_id_x 1
		.amdhsa_system_sgpr_workgroup_id_y 0
		.amdhsa_system_sgpr_workgroup_id_z 0
		.amdhsa_system_sgpr_workgroup_info 0
		.amdhsa_system_vgpr_workitem_id 0
		.amdhsa_next_free_vgpr 1
		.amdhsa_next_free_sgpr 0
		.amdhsa_accum_offset 4
		.amdhsa_reserve_vcc 0
		.amdhsa_reserve_flat_scratch 0
		.amdhsa_float_round_mode_32 0
		.amdhsa_float_round_mode_16_64 0
		.amdhsa_float_denorm_mode_32 3
		.amdhsa_float_denorm_mode_16_64 3
		.amdhsa_dx10_clamp 1
		.amdhsa_ieee_mode 1
		.amdhsa_fp16_overflow 0
		.amdhsa_tg_split 0
		.amdhsa_exception_fp_ieee_invalid_op 0
		.amdhsa_exception_fp_denorm_src 0
		.amdhsa_exception_fp_ieee_div_zero 0
		.amdhsa_exception_fp_ieee_overflow 0
		.amdhsa_exception_fp_ieee_underflow 0
		.amdhsa_exception_fp_ieee_inexact 0
		.amdhsa_exception_int_div_zero 0
	.end_amdhsa_kernel
	.section	.text._ZN7rocprim17ROCPRIM_400000_NS6detail17trampoline_kernelINS0_14default_configENS1_25transform_config_selectorIdLb0EEEZNS1_14transform_implILb0ES3_S5_NS0_18transform_iteratorINS0_17counting_iteratorImlEEZNS1_24adjacent_difference_implIS3_Lb1ELb0EPKdPdN6thrust23THRUST_200600_302600_NS4plusIdEEEE10hipError_tPvRmT2_T3_mT4_P12ihipStream_tbEUlmE_dEESD_NS0_8identityIvEEEESI_SL_SM_mSN_SP_bEUlT_E_NS1_11comp_targetILNS1_3genE10ELNS1_11target_archE1201ELNS1_3gpuE5ELNS1_3repE0EEENS1_30default_config_static_selectorELNS0_4arch9wavefront6targetE1EEEvT1_,"axG",@progbits,_ZN7rocprim17ROCPRIM_400000_NS6detail17trampoline_kernelINS0_14default_configENS1_25transform_config_selectorIdLb0EEEZNS1_14transform_implILb0ES3_S5_NS0_18transform_iteratorINS0_17counting_iteratorImlEEZNS1_24adjacent_difference_implIS3_Lb1ELb0EPKdPdN6thrust23THRUST_200600_302600_NS4plusIdEEEE10hipError_tPvRmT2_T3_mT4_P12ihipStream_tbEUlmE_dEESD_NS0_8identityIvEEEESI_SL_SM_mSN_SP_bEUlT_E_NS1_11comp_targetILNS1_3genE10ELNS1_11target_archE1201ELNS1_3gpuE5ELNS1_3repE0EEENS1_30default_config_static_selectorELNS0_4arch9wavefront6targetE1EEEvT1_,comdat
.Lfunc_end654:
	.size	_ZN7rocprim17ROCPRIM_400000_NS6detail17trampoline_kernelINS0_14default_configENS1_25transform_config_selectorIdLb0EEEZNS1_14transform_implILb0ES3_S5_NS0_18transform_iteratorINS0_17counting_iteratorImlEEZNS1_24adjacent_difference_implIS3_Lb1ELb0EPKdPdN6thrust23THRUST_200600_302600_NS4plusIdEEEE10hipError_tPvRmT2_T3_mT4_P12ihipStream_tbEUlmE_dEESD_NS0_8identityIvEEEESI_SL_SM_mSN_SP_bEUlT_E_NS1_11comp_targetILNS1_3genE10ELNS1_11target_archE1201ELNS1_3gpuE5ELNS1_3repE0EEENS1_30default_config_static_selectorELNS0_4arch9wavefront6targetE1EEEvT1_, .Lfunc_end654-_ZN7rocprim17ROCPRIM_400000_NS6detail17trampoline_kernelINS0_14default_configENS1_25transform_config_selectorIdLb0EEEZNS1_14transform_implILb0ES3_S5_NS0_18transform_iteratorINS0_17counting_iteratorImlEEZNS1_24adjacent_difference_implIS3_Lb1ELb0EPKdPdN6thrust23THRUST_200600_302600_NS4plusIdEEEE10hipError_tPvRmT2_T3_mT4_P12ihipStream_tbEUlmE_dEESD_NS0_8identityIvEEEESI_SL_SM_mSN_SP_bEUlT_E_NS1_11comp_targetILNS1_3genE10ELNS1_11target_archE1201ELNS1_3gpuE5ELNS1_3repE0EEENS1_30default_config_static_selectorELNS0_4arch9wavefront6targetE1EEEvT1_
                                        ; -- End function
	.section	.AMDGPU.csdata,"",@progbits
; Kernel info:
; codeLenInByte = 0
; NumSgprs: 4
; NumVgprs: 0
; NumAgprs: 0
; TotalNumVgprs: 0
; ScratchSize: 0
; MemoryBound: 0
; FloatMode: 240
; IeeeMode: 1
; LDSByteSize: 0 bytes/workgroup (compile time only)
; SGPRBlocks: 0
; VGPRBlocks: 0
; NumSGPRsForWavesPerEU: 4
; NumVGPRsForWavesPerEU: 1
; AccumOffset: 4
; Occupancy: 8
; WaveLimiterHint : 0
; COMPUTE_PGM_RSRC2:SCRATCH_EN: 0
; COMPUTE_PGM_RSRC2:USER_SGPR: 6
; COMPUTE_PGM_RSRC2:TRAP_HANDLER: 0
; COMPUTE_PGM_RSRC2:TGID_X_EN: 1
; COMPUTE_PGM_RSRC2:TGID_Y_EN: 0
; COMPUTE_PGM_RSRC2:TGID_Z_EN: 0
; COMPUTE_PGM_RSRC2:TIDIG_COMP_CNT: 0
; COMPUTE_PGM_RSRC3_GFX90A:ACCUM_OFFSET: 0
; COMPUTE_PGM_RSRC3_GFX90A:TG_SPLIT: 0
	.section	.text._ZN7rocprim17ROCPRIM_400000_NS6detail17trampoline_kernelINS0_14default_configENS1_25transform_config_selectorIdLb0EEEZNS1_14transform_implILb0ES3_S5_NS0_18transform_iteratorINS0_17counting_iteratorImlEEZNS1_24adjacent_difference_implIS3_Lb1ELb0EPKdPdN6thrust23THRUST_200600_302600_NS4plusIdEEEE10hipError_tPvRmT2_T3_mT4_P12ihipStream_tbEUlmE_dEESD_NS0_8identityIvEEEESI_SL_SM_mSN_SP_bEUlT_E_NS1_11comp_targetILNS1_3genE10ELNS1_11target_archE1200ELNS1_3gpuE4ELNS1_3repE0EEENS1_30default_config_static_selectorELNS0_4arch9wavefront6targetE1EEEvT1_,"axG",@progbits,_ZN7rocprim17ROCPRIM_400000_NS6detail17trampoline_kernelINS0_14default_configENS1_25transform_config_selectorIdLb0EEEZNS1_14transform_implILb0ES3_S5_NS0_18transform_iteratorINS0_17counting_iteratorImlEEZNS1_24adjacent_difference_implIS3_Lb1ELb0EPKdPdN6thrust23THRUST_200600_302600_NS4plusIdEEEE10hipError_tPvRmT2_T3_mT4_P12ihipStream_tbEUlmE_dEESD_NS0_8identityIvEEEESI_SL_SM_mSN_SP_bEUlT_E_NS1_11comp_targetILNS1_3genE10ELNS1_11target_archE1200ELNS1_3gpuE4ELNS1_3repE0EEENS1_30default_config_static_selectorELNS0_4arch9wavefront6targetE1EEEvT1_,comdat
	.protected	_ZN7rocprim17ROCPRIM_400000_NS6detail17trampoline_kernelINS0_14default_configENS1_25transform_config_selectorIdLb0EEEZNS1_14transform_implILb0ES3_S5_NS0_18transform_iteratorINS0_17counting_iteratorImlEEZNS1_24adjacent_difference_implIS3_Lb1ELb0EPKdPdN6thrust23THRUST_200600_302600_NS4plusIdEEEE10hipError_tPvRmT2_T3_mT4_P12ihipStream_tbEUlmE_dEESD_NS0_8identityIvEEEESI_SL_SM_mSN_SP_bEUlT_E_NS1_11comp_targetILNS1_3genE10ELNS1_11target_archE1200ELNS1_3gpuE4ELNS1_3repE0EEENS1_30default_config_static_selectorELNS0_4arch9wavefront6targetE1EEEvT1_ ; -- Begin function _ZN7rocprim17ROCPRIM_400000_NS6detail17trampoline_kernelINS0_14default_configENS1_25transform_config_selectorIdLb0EEEZNS1_14transform_implILb0ES3_S5_NS0_18transform_iteratorINS0_17counting_iteratorImlEEZNS1_24adjacent_difference_implIS3_Lb1ELb0EPKdPdN6thrust23THRUST_200600_302600_NS4plusIdEEEE10hipError_tPvRmT2_T3_mT4_P12ihipStream_tbEUlmE_dEESD_NS0_8identityIvEEEESI_SL_SM_mSN_SP_bEUlT_E_NS1_11comp_targetILNS1_3genE10ELNS1_11target_archE1200ELNS1_3gpuE4ELNS1_3repE0EEENS1_30default_config_static_selectorELNS0_4arch9wavefront6targetE1EEEvT1_
	.globl	_ZN7rocprim17ROCPRIM_400000_NS6detail17trampoline_kernelINS0_14default_configENS1_25transform_config_selectorIdLb0EEEZNS1_14transform_implILb0ES3_S5_NS0_18transform_iteratorINS0_17counting_iteratorImlEEZNS1_24adjacent_difference_implIS3_Lb1ELb0EPKdPdN6thrust23THRUST_200600_302600_NS4plusIdEEEE10hipError_tPvRmT2_T3_mT4_P12ihipStream_tbEUlmE_dEESD_NS0_8identityIvEEEESI_SL_SM_mSN_SP_bEUlT_E_NS1_11comp_targetILNS1_3genE10ELNS1_11target_archE1200ELNS1_3gpuE4ELNS1_3repE0EEENS1_30default_config_static_selectorELNS0_4arch9wavefront6targetE1EEEvT1_
	.p2align	8
	.type	_ZN7rocprim17ROCPRIM_400000_NS6detail17trampoline_kernelINS0_14default_configENS1_25transform_config_selectorIdLb0EEEZNS1_14transform_implILb0ES3_S5_NS0_18transform_iteratorINS0_17counting_iteratorImlEEZNS1_24adjacent_difference_implIS3_Lb1ELb0EPKdPdN6thrust23THRUST_200600_302600_NS4plusIdEEEE10hipError_tPvRmT2_T3_mT4_P12ihipStream_tbEUlmE_dEESD_NS0_8identityIvEEEESI_SL_SM_mSN_SP_bEUlT_E_NS1_11comp_targetILNS1_3genE10ELNS1_11target_archE1200ELNS1_3gpuE4ELNS1_3repE0EEENS1_30default_config_static_selectorELNS0_4arch9wavefront6targetE1EEEvT1_,@function
_ZN7rocprim17ROCPRIM_400000_NS6detail17trampoline_kernelINS0_14default_configENS1_25transform_config_selectorIdLb0EEEZNS1_14transform_implILb0ES3_S5_NS0_18transform_iteratorINS0_17counting_iteratorImlEEZNS1_24adjacent_difference_implIS3_Lb1ELb0EPKdPdN6thrust23THRUST_200600_302600_NS4plusIdEEEE10hipError_tPvRmT2_T3_mT4_P12ihipStream_tbEUlmE_dEESD_NS0_8identityIvEEEESI_SL_SM_mSN_SP_bEUlT_E_NS1_11comp_targetILNS1_3genE10ELNS1_11target_archE1200ELNS1_3gpuE4ELNS1_3repE0EEENS1_30default_config_static_selectorELNS0_4arch9wavefront6targetE1EEEvT1_: ; @_ZN7rocprim17ROCPRIM_400000_NS6detail17trampoline_kernelINS0_14default_configENS1_25transform_config_selectorIdLb0EEEZNS1_14transform_implILb0ES3_S5_NS0_18transform_iteratorINS0_17counting_iteratorImlEEZNS1_24adjacent_difference_implIS3_Lb1ELb0EPKdPdN6thrust23THRUST_200600_302600_NS4plusIdEEEE10hipError_tPvRmT2_T3_mT4_P12ihipStream_tbEUlmE_dEESD_NS0_8identityIvEEEESI_SL_SM_mSN_SP_bEUlT_E_NS1_11comp_targetILNS1_3genE10ELNS1_11target_archE1200ELNS1_3gpuE4ELNS1_3repE0EEENS1_30default_config_static_selectorELNS0_4arch9wavefront6targetE1EEEvT1_
; %bb.0:
	.section	.rodata,"a",@progbits
	.p2align	6, 0x0
	.amdhsa_kernel _ZN7rocprim17ROCPRIM_400000_NS6detail17trampoline_kernelINS0_14default_configENS1_25transform_config_selectorIdLb0EEEZNS1_14transform_implILb0ES3_S5_NS0_18transform_iteratorINS0_17counting_iteratorImlEEZNS1_24adjacent_difference_implIS3_Lb1ELb0EPKdPdN6thrust23THRUST_200600_302600_NS4plusIdEEEE10hipError_tPvRmT2_T3_mT4_P12ihipStream_tbEUlmE_dEESD_NS0_8identityIvEEEESI_SL_SM_mSN_SP_bEUlT_E_NS1_11comp_targetILNS1_3genE10ELNS1_11target_archE1200ELNS1_3gpuE4ELNS1_3repE0EEENS1_30default_config_static_selectorELNS0_4arch9wavefront6targetE1EEEvT1_
		.amdhsa_group_segment_fixed_size 0
		.amdhsa_private_segment_fixed_size 0
		.amdhsa_kernarg_size 56
		.amdhsa_user_sgpr_count 6
		.amdhsa_user_sgpr_private_segment_buffer 1
		.amdhsa_user_sgpr_dispatch_ptr 0
		.amdhsa_user_sgpr_queue_ptr 0
		.amdhsa_user_sgpr_kernarg_segment_ptr 1
		.amdhsa_user_sgpr_dispatch_id 0
		.amdhsa_user_sgpr_flat_scratch_init 0
		.amdhsa_user_sgpr_kernarg_preload_length 0
		.amdhsa_user_sgpr_kernarg_preload_offset 0
		.amdhsa_user_sgpr_private_segment_size 0
		.amdhsa_uses_dynamic_stack 0
		.amdhsa_system_sgpr_private_segment_wavefront_offset 0
		.amdhsa_system_sgpr_workgroup_id_x 1
		.amdhsa_system_sgpr_workgroup_id_y 0
		.amdhsa_system_sgpr_workgroup_id_z 0
		.amdhsa_system_sgpr_workgroup_info 0
		.amdhsa_system_vgpr_workitem_id 0
		.amdhsa_next_free_vgpr 1
		.amdhsa_next_free_sgpr 0
		.amdhsa_accum_offset 4
		.amdhsa_reserve_vcc 0
		.amdhsa_reserve_flat_scratch 0
		.amdhsa_float_round_mode_32 0
		.amdhsa_float_round_mode_16_64 0
		.amdhsa_float_denorm_mode_32 3
		.amdhsa_float_denorm_mode_16_64 3
		.amdhsa_dx10_clamp 1
		.amdhsa_ieee_mode 1
		.amdhsa_fp16_overflow 0
		.amdhsa_tg_split 0
		.amdhsa_exception_fp_ieee_invalid_op 0
		.amdhsa_exception_fp_denorm_src 0
		.amdhsa_exception_fp_ieee_div_zero 0
		.amdhsa_exception_fp_ieee_overflow 0
		.amdhsa_exception_fp_ieee_underflow 0
		.amdhsa_exception_fp_ieee_inexact 0
		.amdhsa_exception_int_div_zero 0
	.end_amdhsa_kernel
	.section	.text._ZN7rocprim17ROCPRIM_400000_NS6detail17trampoline_kernelINS0_14default_configENS1_25transform_config_selectorIdLb0EEEZNS1_14transform_implILb0ES3_S5_NS0_18transform_iteratorINS0_17counting_iteratorImlEEZNS1_24adjacent_difference_implIS3_Lb1ELb0EPKdPdN6thrust23THRUST_200600_302600_NS4plusIdEEEE10hipError_tPvRmT2_T3_mT4_P12ihipStream_tbEUlmE_dEESD_NS0_8identityIvEEEESI_SL_SM_mSN_SP_bEUlT_E_NS1_11comp_targetILNS1_3genE10ELNS1_11target_archE1200ELNS1_3gpuE4ELNS1_3repE0EEENS1_30default_config_static_selectorELNS0_4arch9wavefront6targetE1EEEvT1_,"axG",@progbits,_ZN7rocprim17ROCPRIM_400000_NS6detail17trampoline_kernelINS0_14default_configENS1_25transform_config_selectorIdLb0EEEZNS1_14transform_implILb0ES3_S5_NS0_18transform_iteratorINS0_17counting_iteratorImlEEZNS1_24adjacent_difference_implIS3_Lb1ELb0EPKdPdN6thrust23THRUST_200600_302600_NS4plusIdEEEE10hipError_tPvRmT2_T3_mT4_P12ihipStream_tbEUlmE_dEESD_NS0_8identityIvEEEESI_SL_SM_mSN_SP_bEUlT_E_NS1_11comp_targetILNS1_3genE10ELNS1_11target_archE1200ELNS1_3gpuE4ELNS1_3repE0EEENS1_30default_config_static_selectorELNS0_4arch9wavefront6targetE1EEEvT1_,comdat
.Lfunc_end655:
	.size	_ZN7rocprim17ROCPRIM_400000_NS6detail17trampoline_kernelINS0_14default_configENS1_25transform_config_selectorIdLb0EEEZNS1_14transform_implILb0ES3_S5_NS0_18transform_iteratorINS0_17counting_iteratorImlEEZNS1_24adjacent_difference_implIS3_Lb1ELb0EPKdPdN6thrust23THRUST_200600_302600_NS4plusIdEEEE10hipError_tPvRmT2_T3_mT4_P12ihipStream_tbEUlmE_dEESD_NS0_8identityIvEEEESI_SL_SM_mSN_SP_bEUlT_E_NS1_11comp_targetILNS1_3genE10ELNS1_11target_archE1200ELNS1_3gpuE4ELNS1_3repE0EEENS1_30default_config_static_selectorELNS0_4arch9wavefront6targetE1EEEvT1_, .Lfunc_end655-_ZN7rocprim17ROCPRIM_400000_NS6detail17trampoline_kernelINS0_14default_configENS1_25transform_config_selectorIdLb0EEEZNS1_14transform_implILb0ES3_S5_NS0_18transform_iteratorINS0_17counting_iteratorImlEEZNS1_24adjacent_difference_implIS3_Lb1ELb0EPKdPdN6thrust23THRUST_200600_302600_NS4plusIdEEEE10hipError_tPvRmT2_T3_mT4_P12ihipStream_tbEUlmE_dEESD_NS0_8identityIvEEEESI_SL_SM_mSN_SP_bEUlT_E_NS1_11comp_targetILNS1_3genE10ELNS1_11target_archE1200ELNS1_3gpuE4ELNS1_3repE0EEENS1_30default_config_static_selectorELNS0_4arch9wavefront6targetE1EEEvT1_
                                        ; -- End function
	.section	.AMDGPU.csdata,"",@progbits
; Kernel info:
; codeLenInByte = 0
; NumSgprs: 4
; NumVgprs: 0
; NumAgprs: 0
; TotalNumVgprs: 0
; ScratchSize: 0
; MemoryBound: 0
; FloatMode: 240
; IeeeMode: 1
; LDSByteSize: 0 bytes/workgroup (compile time only)
; SGPRBlocks: 0
; VGPRBlocks: 0
; NumSGPRsForWavesPerEU: 4
; NumVGPRsForWavesPerEU: 1
; AccumOffset: 4
; Occupancy: 8
; WaveLimiterHint : 0
; COMPUTE_PGM_RSRC2:SCRATCH_EN: 0
; COMPUTE_PGM_RSRC2:USER_SGPR: 6
; COMPUTE_PGM_RSRC2:TRAP_HANDLER: 0
; COMPUTE_PGM_RSRC2:TGID_X_EN: 1
; COMPUTE_PGM_RSRC2:TGID_Y_EN: 0
; COMPUTE_PGM_RSRC2:TGID_Z_EN: 0
; COMPUTE_PGM_RSRC2:TIDIG_COMP_CNT: 0
; COMPUTE_PGM_RSRC3_GFX90A:ACCUM_OFFSET: 0
; COMPUTE_PGM_RSRC3_GFX90A:TG_SPLIT: 0
	.section	.text._ZN7rocprim17ROCPRIM_400000_NS6detail17trampoline_kernelINS0_14default_configENS1_25transform_config_selectorIdLb0EEEZNS1_14transform_implILb0ES3_S5_NS0_18transform_iteratorINS0_17counting_iteratorImlEEZNS1_24adjacent_difference_implIS3_Lb1ELb0EPKdPdN6thrust23THRUST_200600_302600_NS4plusIdEEEE10hipError_tPvRmT2_T3_mT4_P12ihipStream_tbEUlmE_dEESD_NS0_8identityIvEEEESI_SL_SM_mSN_SP_bEUlT_E_NS1_11comp_targetILNS1_3genE9ELNS1_11target_archE1100ELNS1_3gpuE3ELNS1_3repE0EEENS1_30default_config_static_selectorELNS0_4arch9wavefront6targetE1EEEvT1_,"axG",@progbits,_ZN7rocprim17ROCPRIM_400000_NS6detail17trampoline_kernelINS0_14default_configENS1_25transform_config_selectorIdLb0EEEZNS1_14transform_implILb0ES3_S5_NS0_18transform_iteratorINS0_17counting_iteratorImlEEZNS1_24adjacent_difference_implIS3_Lb1ELb0EPKdPdN6thrust23THRUST_200600_302600_NS4plusIdEEEE10hipError_tPvRmT2_T3_mT4_P12ihipStream_tbEUlmE_dEESD_NS0_8identityIvEEEESI_SL_SM_mSN_SP_bEUlT_E_NS1_11comp_targetILNS1_3genE9ELNS1_11target_archE1100ELNS1_3gpuE3ELNS1_3repE0EEENS1_30default_config_static_selectorELNS0_4arch9wavefront6targetE1EEEvT1_,comdat
	.protected	_ZN7rocprim17ROCPRIM_400000_NS6detail17trampoline_kernelINS0_14default_configENS1_25transform_config_selectorIdLb0EEEZNS1_14transform_implILb0ES3_S5_NS0_18transform_iteratorINS0_17counting_iteratorImlEEZNS1_24adjacent_difference_implIS3_Lb1ELb0EPKdPdN6thrust23THRUST_200600_302600_NS4plusIdEEEE10hipError_tPvRmT2_T3_mT4_P12ihipStream_tbEUlmE_dEESD_NS0_8identityIvEEEESI_SL_SM_mSN_SP_bEUlT_E_NS1_11comp_targetILNS1_3genE9ELNS1_11target_archE1100ELNS1_3gpuE3ELNS1_3repE0EEENS1_30default_config_static_selectorELNS0_4arch9wavefront6targetE1EEEvT1_ ; -- Begin function _ZN7rocprim17ROCPRIM_400000_NS6detail17trampoline_kernelINS0_14default_configENS1_25transform_config_selectorIdLb0EEEZNS1_14transform_implILb0ES3_S5_NS0_18transform_iteratorINS0_17counting_iteratorImlEEZNS1_24adjacent_difference_implIS3_Lb1ELb0EPKdPdN6thrust23THRUST_200600_302600_NS4plusIdEEEE10hipError_tPvRmT2_T3_mT4_P12ihipStream_tbEUlmE_dEESD_NS0_8identityIvEEEESI_SL_SM_mSN_SP_bEUlT_E_NS1_11comp_targetILNS1_3genE9ELNS1_11target_archE1100ELNS1_3gpuE3ELNS1_3repE0EEENS1_30default_config_static_selectorELNS0_4arch9wavefront6targetE1EEEvT1_
	.globl	_ZN7rocprim17ROCPRIM_400000_NS6detail17trampoline_kernelINS0_14default_configENS1_25transform_config_selectorIdLb0EEEZNS1_14transform_implILb0ES3_S5_NS0_18transform_iteratorINS0_17counting_iteratorImlEEZNS1_24adjacent_difference_implIS3_Lb1ELb0EPKdPdN6thrust23THRUST_200600_302600_NS4plusIdEEEE10hipError_tPvRmT2_T3_mT4_P12ihipStream_tbEUlmE_dEESD_NS0_8identityIvEEEESI_SL_SM_mSN_SP_bEUlT_E_NS1_11comp_targetILNS1_3genE9ELNS1_11target_archE1100ELNS1_3gpuE3ELNS1_3repE0EEENS1_30default_config_static_selectorELNS0_4arch9wavefront6targetE1EEEvT1_
	.p2align	8
	.type	_ZN7rocprim17ROCPRIM_400000_NS6detail17trampoline_kernelINS0_14default_configENS1_25transform_config_selectorIdLb0EEEZNS1_14transform_implILb0ES3_S5_NS0_18transform_iteratorINS0_17counting_iteratorImlEEZNS1_24adjacent_difference_implIS3_Lb1ELb0EPKdPdN6thrust23THRUST_200600_302600_NS4plusIdEEEE10hipError_tPvRmT2_T3_mT4_P12ihipStream_tbEUlmE_dEESD_NS0_8identityIvEEEESI_SL_SM_mSN_SP_bEUlT_E_NS1_11comp_targetILNS1_3genE9ELNS1_11target_archE1100ELNS1_3gpuE3ELNS1_3repE0EEENS1_30default_config_static_selectorELNS0_4arch9wavefront6targetE1EEEvT1_,@function
_ZN7rocprim17ROCPRIM_400000_NS6detail17trampoline_kernelINS0_14default_configENS1_25transform_config_selectorIdLb0EEEZNS1_14transform_implILb0ES3_S5_NS0_18transform_iteratorINS0_17counting_iteratorImlEEZNS1_24adjacent_difference_implIS3_Lb1ELb0EPKdPdN6thrust23THRUST_200600_302600_NS4plusIdEEEE10hipError_tPvRmT2_T3_mT4_P12ihipStream_tbEUlmE_dEESD_NS0_8identityIvEEEESI_SL_SM_mSN_SP_bEUlT_E_NS1_11comp_targetILNS1_3genE9ELNS1_11target_archE1100ELNS1_3gpuE3ELNS1_3repE0EEENS1_30default_config_static_selectorELNS0_4arch9wavefront6targetE1EEEvT1_: ; @_ZN7rocprim17ROCPRIM_400000_NS6detail17trampoline_kernelINS0_14default_configENS1_25transform_config_selectorIdLb0EEEZNS1_14transform_implILb0ES3_S5_NS0_18transform_iteratorINS0_17counting_iteratorImlEEZNS1_24adjacent_difference_implIS3_Lb1ELb0EPKdPdN6thrust23THRUST_200600_302600_NS4plusIdEEEE10hipError_tPvRmT2_T3_mT4_P12ihipStream_tbEUlmE_dEESD_NS0_8identityIvEEEESI_SL_SM_mSN_SP_bEUlT_E_NS1_11comp_targetILNS1_3genE9ELNS1_11target_archE1100ELNS1_3gpuE3ELNS1_3repE0EEENS1_30default_config_static_selectorELNS0_4arch9wavefront6targetE1EEEvT1_
; %bb.0:
	.section	.rodata,"a",@progbits
	.p2align	6, 0x0
	.amdhsa_kernel _ZN7rocprim17ROCPRIM_400000_NS6detail17trampoline_kernelINS0_14default_configENS1_25transform_config_selectorIdLb0EEEZNS1_14transform_implILb0ES3_S5_NS0_18transform_iteratorINS0_17counting_iteratorImlEEZNS1_24adjacent_difference_implIS3_Lb1ELb0EPKdPdN6thrust23THRUST_200600_302600_NS4plusIdEEEE10hipError_tPvRmT2_T3_mT4_P12ihipStream_tbEUlmE_dEESD_NS0_8identityIvEEEESI_SL_SM_mSN_SP_bEUlT_E_NS1_11comp_targetILNS1_3genE9ELNS1_11target_archE1100ELNS1_3gpuE3ELNS1_3repE0EEENS1_30default_config_static_selectorELNS0_4arch9wavefront6targetE1EEEvT1_
		.amdhsa_group_segment_fixed_size 0
		.amdhsa_private_segment_fixed_size 0
		.amdhsa_kernarg_size 56
		.amdhsa_user_sgpr_count 6
		.amdhsa_user_sgpr_private_segment_buffer 1
		.amdhsa_user_sgpr_dispatch_ptr 0
		.amdhsa_user_sgpr_queue_ptr 0
		.amdhsa_user_sgpr_kernarg_segment_ptr 1
		.amdhsa_user_sgpr_dispatch_id 0
		.amdhsa_user_sgpr_flat_scratch_init 0
		.amdhsa_user_sgpr_kernarg_preload_length 0
		.amdhsa_user_sgpr_kernarg_preload_offset 0
		.amdhsa_user_sgpr_private_segment_size 0
		.amdhsa_uses_dynamic_stack 0
		.amdhsa_system_sgpr_private_segment_wavefront_offset 0
		.amdhsa_system_sgpr_workgroup_id_x 1
		.amdhsa_system_sgpr_workgroup_id_y 0
		.amdhsa_system_sgpr_workgroup_id_z 0
		.amdhsa_system_sgpr_workgroup_info 0
		.amdhsa_system_vgpr_workitem_id 0
		.amdhsa_next_free_vgpr 1
		.amdhsa_next_free_sgpr 0
		.amdhsa_accum_offset 4
		.amdhsa_reserve_vcc 0
		.amdhsa_reserve_flat_scratch 0
		.amdhsa_float_round_mode_32 0
		.amdhsa_float_round_mode_16_64 0
		.amdhsa_float_denorm_mode_32 3
		.amdhsa_float_denorm_mode_16_64 3
		.amdhsa_dx10_clamp 1
		.amdhsa_ieee_mode 1
		.amdhsa_fp16_overflow 0
		.amdhsa_tg_split 0
		.amdhsa_exception_fp_ieee_invalid_op 0
		.amdhsa_exception_fp_denorm_src 0
		.amdhsa_exception_fp_ieee_div_zero 0
		.amdhsa_exception_fp_ieee_overflow 0
		.amdhsa_exception_fp_ieee_underflow 0
		.amdhsa_exception_fp_ieee_inexact 0
		.amdhsa_exception_int_div_zero 0
	.end_amdhsa_kernel
	.section	.text._ZN7rocprim17ROCPRIM_400000_NS6detail17trampoline_kernelINS0_14default_configENS1_25transform_config_selectorIdLb0EEEZNS1_14transform_implILb0ES3_S5_NS0_18transform_iteratorINS0_17counting_iteratorImlEEZNS1_24adjacent_difference_implIS3_Lb1ELb0EPKdPdN6thrust23THRUST_200600_302600_NS4plusIdEEEE10hipError_tPvRmT2_T3_mT4_P12ihipStream_tbEUlmE_dEESD_NS0_8identityIvEEEESI_SL_SM_mSN_SP_bEUlT_E_NS1_11comp_targetILNS1_3genE9ELNS1_11target_archE1100ELNS1_3gpuE3ELNS1_3repE0EEENS1_30default_config_static_selectorELNS0_4arch9wavefront6targetE1EEEvT1_,"axG",@progbits,_ZN7rocprim17ROCPRIM_400000_NS6detail17trampoline_kernelINS0_14default_configENS1_25transform_config_selectorIdLb0EEEZNS1_14transform_implILb0ES3_S5_NS0_18transform_iteratorINS0_17counting_iteratorImlEEZNS1_24adjacent_difference_implIS3_Lb1ELb0EPKdPdN6thrust23THRUST_200600_302600_NS4plusIdEEEE10hipError_tPvRmT2_T3_mT4_P12ihipStream_tbEUlmE_dEESD_NS0_8identityIvEEEESI_SL_SM_mSN_SP_bEUlT_E_NS1_11comp_targetILNS1_3genE9ELNS1_11target_archE1100ELNS1_3gpuE3ELNS1_3repE0EEENS1_30default_config_static_selectorELNS0_4arch9wavefront6targetE1EEEvT1_,comdat
.Lfunc_end656:
	.size	_ZN7rocprim17ROCPRIM_400000_NS6detail17trampoline_kernelINS0_14default_configENS1_25transform_config_selectorIdLb0EEEZNS1_14transform_implILb0ES3_S5_NS0_18transform_iteratorINS0_17counting_iteratorImlEEZNS1_24adjacent_difference_implIS3_Lb1ELb0EPKdPdN6thrust23THRUST_200600_302600_NS4plusIdEEEE10hipError_tPvRmT2_T3_mT4_P12ihipStream_tbEUlmE_dEESD_NS0_8identityIvEEEESI_SL_SM_mSN_SP_bEUlT_E_NS1_11comp_targetILNS1_3genE9ELNS1_11target_archE1100ELNS1_3gpuE3ELNS1_3repE0EEENS1_30default_config_static_selectorELNS0_4arch9wavefront6targetE1EEEvT1_, .Lfunc_end656-_ZN7rocprim17ROCPRIM_400000_NS6detail17trampoline_kernelINS0_14default_configENS1_25transform_config_selectorIdLb0EEEZNS1_14transform_implILb0ES3_S5_NS0_18transform_iteratorINS0_17counting_iteratorImlEEZNS1_24adjacent_difference_implIS3_Lb1ELb0EPKdPdN6thrust23THRUST_200600_302600_NS4plusIdEEEE10hipError_tPvRmT2_T3_mT4_P12ihipStream_tbEUlmE_dEESD_NS0_8identityIvEEEESI_SL_SM_mSN_SP_bEUlT_E_NS1_11comp_targetILNS1_3genE9ELNS1_11target_archE1100ELNS1_3gpuE3ELNS1_3repE0EEENS1_30default_config_static_selectorELNS0_4arch9wavefront6targetE1EEEvT1_
                                        ; -- End function
	.section	.AMDGPU.csdata,"",@progbits
; Kernel info:
; codeLenInByte = 0
; NumSgprs: 4
; NumVgprs: 0
; NumAgprs: 0
; TotalNumVgprs: 0
; ScratchSize: 0
; MemoryBound: 0
; FloatMode: 240
; IeeeMode: 1
; LDSByteSize: 0 bytes/workgroup (compile time only)
; SGPRBlocks: 0
; VGPRBlocks: 0
; NumSGPRsForWavesPerEU: 4
; NumVGPRsForWavesPerEU: 1
; AccumOffset: 4
; Occupancy: 8
; WaveLimiterHint : 0
; COMPUTE_PGM_RSRC2:SCRATCH_EN: 0
; COMPUTE_PGM_RSRC2:USER_SGPR: 6
; COMPUTE_PGM_RSRC2:TRAP_HANDLER: 0
; COMPUTE_PGM_RSRC2:TGID_X_EN: 1
; COMPUTE_PGM_RSRC2:TGID_Y_EN: 0
; COMPUTE_PGM_RSRC2:TGID_Z_EN: 0
; COMPUTE_PGM_RSRC2:TIDIG_COMP_CNT: 0
; COMPUTE_PGM_RSRC3_GFX90A:ACCUM_OFFSET: 0
; COMPUTE_PGM_RSRC3_GFX90A:TG_SPLIT: 0
	.section	.text._ZN7rocprim17ROCPRIM_400000_NS6detail17trampoline_kernelINS0_14default_configENS1_25transform_config_selectorIdLb0EEEZNS1_14transform_implILb0ES3_S5_NS0_18transform_iteratorINS0_17counting_iteratorImlEEZNS1_24adjacent_difference_implIS3_Lb1ELb0EPKdPdN6thrust23THRUST_200600_302600_NS4plusIdEEEE10hipError_tPvRmT2_T3_mT4_P12ihipStream_tbEUlmE_dEESD_NS0_8identityIvEEEESI_SL_SM_mSN_SP_bEUlT_E_NS1_11comp_targetILNS1_3genE8ELNS1_11target_archE1030ELNS1_3gpuE2ELNS1_3repE0EEENS1_30default_config_static_selectorELNS0_4arch9wavefront6targetE1EEEvT1_,"axG",@progbits,_ZN7rocprim17ROCPRIM_400000_NS6detail17trampoline_kernelINS0_14default_configENS1_25transform_config_selectorIdLb0EEEZNS1_14transform_implILb0ES3_S5_NS0_18transform_iteratorINS0_17counting_iteratorImlEEZNS1_24adjacent_difference_implIS3_Lb1ELb0EPKdPdN6thrust23THRUST_200600_302600_NS4plusIdEEEE10hipError_tPvRmT2_T3_mT4_P12ihipStream_tbEUlmE_dEESD_NS0_8identityIvEEEESI_SL_SM_mSN_SP_bEUlT_E_NS1_11comp_targetILNS1_3genE8ELNS1_11target_archE1030ELNS1_3gpuE2ELNS1_3repE0EEENS1_30default_config_static_selectorELNS0_4arch9wavefront6targetE1EEEvT1_,comdat
	.protected	_ZN7rocprim17ROCPRIM_400000_NS6detail17trampoline_kernelINS0_14default_configENS1_25transform_config_selectorIdLb0EEEZNS1_14transform_implILb0ES3_S5_NS0_18transform_iteratorINS0_17counting_iteratorImlEEZNS1_24adjacent_difference_implIS3_Lb1ELb0EPKdPdN6thrust23THRUST_200600_302600_NS4plusIdEEEE10hipError_tPvRmT2_T3_mT4_P12ihipStream_tbEUlmE_dEESD_NS0_8identityIvEEEESI_SL_SM_mSN_SP_bEUlT_E_NS1_11comp_targetILNS1_3genE8ELNS1_11target_archE1030ELNS1_3gpuE2ELNS1_3repE0EEENS1_30default_config_static_selectorELNS0_4arch9wavefront6targetE1EEEvT1_ ; -- Begin function _ZN7rocprim17ROCPRIM_400000_NS6detail17trampoline_kernelINS0_14default_configENS1_25transform_config_selectorIdLb0EEEZNS1_14transform_implILb0ES3_S5_NS0_18transform_iteratorINS0_17counting_iteratorImlEEZNS1_24adjacent_difference_implIS3_Lb1ELb0EPKdPdN6thrust23THRUST_200600_302600_NS4plusIdEEEE10hipError_tPvRmT2_T3_mT4_P12ihipStream_tbEUlmE_dEESD_NS0_8identityIvEEEESI_SL_SM_mSN_SP_bEUlT_E_NS1_11comp_targetILNS1_3genE8ELNS1_11target_archE1030ELNS1_3gpuE2ELNS1_3repE0EEENS1_30default_config_static_selectorELNS0_4arch9wavefront6targetE1EEEvT1_
	.globl	_ZN7rocprim17ROCPRIM_400000_NS6detail17trampoline_kernelINS0_14default_configENS1_25transform_config_selectorIdLb0EEEZNS1_14transform_implILb0ES3_S5_NS0_18transform_iteratorINS0_17counting_iteratorImlEEZNS1_24adjacent_difference_implIS3_Lb1ELb0EPKdPdN6thrust23THRUST_200600_302600_NS4plusIdEEEE10hipError_tPvRmT2_T3_mT4_P12ihipStream_tbEUlmE_dEESD_NS0_8identityIvEEEESI_SL_SM_mSN_SP_bEUlT_E_NS1_11comp_targetILNS1_3genE8ELNS1_11target_archE1030ELNS1_3gpuE2ELNS1_3repE0EEENS1_30default_config_static_selectorELNS0_4arch9wavefront6targetE1EEEvT1_
	.p2align	8
	.type	_ZN7rocprim17ROCPRIM_400000_NS6detail17trampoline_kernelINS0_14default_configENS1_25transform_config_selectorIdLb0EEEZNS1_14transform_implILb0ES3_S5_NS0_18transform_iteratorINS0_17counting_iteratorImlEEZNS1_24adjacent_difference_implIS3_Lb1ELb0EPKdPdN6thrust23THRUST_200600_302600_NS4plusIdEEEE10hipError_tPvRmT2_T3_mT4_P12ihipStream_tbEUlmE_dEESD_NS0_8identityIvEEEESI_SL_SM_mSN_SP_bEUlT_E_NS1_11comp_targetILNS1_3genE8ELNS1_11target_archE1030ELNS1_3gpuE2ELNS1_3repE0EEENS1_30default_config_static_selectorELNS0_4arch9wavefront6targetE1EEEvT1_,@function
_ZN7rocprim17ROCPRIM_400000_NS6detail17trampoline_kernelINS0_14default_configENS1_25transform_config_selectorIdLb0EEEZNS1_14transform_implILb0ES3_S5_NS0_18transform_iteratorINS0_17counting_iteratorImlEEZNS1_24adjacent_difference_implIS3_Lb1ELb0EPKdPdN6thrust23THRUST_200600_302600_NS4plusIdEEEE10hipError_tPvRmT2_T3_mT4_P12ihipStream_tbEUlmE_dEESD_NS0_8identityIvEEEESI_SL_SM_mSN_SP_bEUlT_E_NS1_11comp_targetILNS1_3genE8ELNS1_11target_archE1030ELNS1_3gpuE2ELNS1_3repE0EEENS1_30default_config_static_selectorELNS0_4arch9wavefront6targetE1EEEvT1_: ; @_ZN7rocprim17ROCPRIM_400000_NS6detail17trampoline_kernelINS0_14default_configENS1_25transform_config_selectorIdLb0EEEZNS1_14transform_implILb0ES3_S5_NS0_18transform_iteratorINS0_17counting_iteratorImlEEZNS1_24adjacent_difference_implIS3_Lb1ELb0EPKdPdN6thrust23THRUST_200600_302600_NS4plusIdEEEE10hipError_tPvRmT2_T3_mT4_P12ihipStream_tbEUlmE_dEESD_NS0_8identityIvEEEESI_SL_SM_mSN_SP_bEUlT_E_NS1_11comp_targetILNS1_3genE8ELNS1_11target_archE1030ELNS1_3gpuE2ELNS1_3repE0EEENS1_30default_config_static_selectorELNS0_4arch9wavefront6targetE1EEEvT1_
; %bb.0:
	.section	.rodata,"a",@progbits
	.p2align	6, 0x0
	.amdhsa_kernel _ZN7rocprim17ROCPRIM_400000_NS6detail17trampoline_kernelINS0_14default_configENS1_25transform_config_selectorIdLb0EEEZNS1_14transform_implILb0ES3_S5_NS0_18transform_iteratorINS0_17counting_iteratorImlEEZNS1_24adjacent_difference_implIS3_Lb1ELb0EPKdPdN6thrust23THRUST_200600_302600_NS4plusIdEEEE10hipError_tPvRmT2_T3_mT4_P12ihipStream_tbEUlmE_dEESD_NS0_8identityIvEEEESI_SL_SM_mSN_SP_bEUlT_E_NS1_11comp_targetILNS1_3genE8ELNS1_11target_archE1030ELNS1_3gpuE2ELNS1_3repE0EEENS1_30default_config_static_selectorELNS0_4arch9wavefront6targetE1EEEvT1_
		.amdhsa_group_segment_fixed_size 0
		.amdhsa_private_segment_fixed_size 0
		.amdhsa_kernarg_size 56
		.amdhsa_user_sgpr_count 6
		.amdhsa_user_sgpr_private_segment_buffer 1
		.amdhsa_user_sgpr_dispatch_ptr 0
		.amdhsa_user_sgpr_queue_ptr 0
		.amdhsa_user_sgpr_kernarg_segment_ptr 1
		.amdhsa_user_sgpr_dispatch_id 0
		.amdhsa_user_sgpr_flat_scratch_init 0
		.amdhsa_user_sgpr_kernarg_preload_length 0
		.amdhsa_user_sgpr_kernarg_preload_offset 0
		.amdhsa_user_sgpr_private_segment_size 0
		.amdhsa_uses_dynamic_stack 0
		.amdhsa_system_sgpr_private_segment_wavefront_offset 0
		.amdhsa_system_sgpr_workgroup_id_x 1
		.amdhsa_system_sgpr_workgroup_id_y 0
		.amdhsa_system_sgpr_workgroup_id_z 0
		.amdhsa_system_sgpr_workgroup_info 0
		.amdhsa_system_vgpr_workitem_id 0
		.amdhsa_next_free_vgpr 1
		.amdhsa_next_free_sgpr 0
		.amdhsa_accum_offset 4
		.amdhsa_reserve_vcc 0
		.amdhsa_reserve_flat_scratch 0
		.amdhsa_float_round_mode_32 0
		.amdhsa_float_round_mode_16_64 0
		.amdhsa_float_denorm_mode_32 3
		.amdhsa_float_denorm_mode_16_64 3
		.amdhsa_dx10_clamp 1
		.amdhsa_ieee_mode 1
		.amdhsa_fp16_overflow 0
		.amdhsa_tg_split 0
		.amdhsa_exception_fp_ieee_invalid_op 0
		.amdhsa_exception_fp_denorm_src 0
		.amdhsa_exception_fp_ieee_div_zero 0
		.amdhsa_exception_fp_ieee_overflow 0
		.amdhsa_exception_fp_ieee_underflow 0
		.amdhsa_exception_fp_ieee_inexact 0
		.amdhsa_exception_int_div_zero 0
	.end_amdhsa_kernel
	.section	.text._ZN7rocprim17ROCPRIM_400000_NS6detail17trampoline_kernelINS0_14default_configENS1_25transform_config_selectorIdLb0EEEZNS1_14transform_implILb0ES3_S5_NS0_18transform_iteratorINS0_17counting_iteratorImlEEZNS1_24adjacent_difference_implIS3_Lb1ELb0EPKdPdN6thrust23THRUST_200600_302600_NS4plusIdEEEE10hipError_tPvRmT2_T3_mT4_P12ihipStream_tbEUlmE_dEESD_NS0_8identityIvEEEESI_SL_SM_mSN_SP_bEUlT_E_NS1_11comp_targetILNS1_3genE8ELNS1_11target_archE1030ELNS1_3gpuE2ELNS1_3repE0EEENS1_30default_config_static_selectorELNS0_4arch9wavefront6targetE1EEEvT1_,"axG",@progbits,_ZN7rocprim17ROCPRIM_400000_NS6detail17trampoline_kernelINS0_14default_configENS1_25transform_config_selectorIdLb0EEEZNS1_14transform_implILb0ES3_S5_NS0_18transform_iteratorINS0_17counting_iteratorImlEEZNS1_24adjacent_difference_implIS3_Lb1ELb0EPKdPdN6thrust23THRUST_200600_302600_NS4plusIdEEEE10hipError_tPvRmT2_T3_mT4_P12ihipStream_tbEUlmE_dEESD_NS0_8identityIvEEEESI_SL_SM_mSN_SP_bEUlT_E_NS1_11comp_targetILNS1_3genE8ELNS1_11target_archE1030ELNS1_3gpuE2ELNS1_3repE0EEENS1_30default_config_static_selectorELNS0_4arch9wavefront6targetE1EEEvT1_,comdat
.Lfunc_end657:
	.size	_ZN7rocprim17ROCPRIM_400000_NS6detail17trampoline_kernelINS0_14default_configENS1_25transform_config_selectorIdLb0EEEZNS1_14transform_implILb0ES3_S5_NS0_18transform_iteratorINS0_17counting_iteratorImlEEZNS1_24adjacent_difference_implIS3_Lb1ELb0EPKdPdN6thrust23THRUST_200600_302600_NS4plusIdEEEE10hipError_tPvRmT2_T3_mT4_P12ihipStream_tbEUlmE_dEESD_NS0_8identityIvEEEESI_SL_SM_mSN_SP_bEUlT_E_NS1_11comp_targetILNS1_3genE8ELNS1_11target_archE1030ELNS1_3gpuE2ELNS1_3repE0EEENS1_30default_config_static_selectorELNS0_4arch9wavefront6targetE1EEEvT1_, .Lfunc_end657-_ZN7rocprim17ROCPRIM_400000_NS6detail17trampoline_kernelINS0_14default_configENS1_25transform_config_selectorIdLb0EEEZNS1_14transform_implILb0ES3_S5_NS0_18transform_iteratorINS0_17counting_iteratorImlEEZNS1_24adjacent_difference_implIS3_Lb1ELb0EPKdPdN6thrust23THRUST_200600_302600_NS4plusIdEEEE10hipError_tPvRmT2_T3_mT4_P12ihipStream_tbEUlmE_dEESD_NS0_8identityIvEEEESI_SL_SM_mSN_SP_bEUlT_E_NS1_11comp_targetILNS1_3genE8ELNS1_11target_archE1030ELNS1_3gpuE2ELNS1_3repE0EEENS1_30default_config_static_selectorELNS0_4arch9wavefront6targetE1EEEvT1_
                                        ; -- End function
	.section	.AMDGPU.csdata,"",@progbits
; Kernel info:
; codeLenInByte = 0
; NumSgprs: 4
; NumVgprs: 0
; NumAgprs: 0
; TotalNumVgprs: 0
; ScratchSize: 0
; MemoryBound: 0
; FloatMode: 240
; IeeeMode: 1
; LDSByteSize: 0 bytes/workgroup (compile time only)
; SGPRBlocks: 0
; VGPRBlocks: 0
; NumSGPRsForWavesPerEU: 4
; NumVGPRsForWavesPerEU: 1
; AccumOffset: 4
; Occupancy: 8
; WaveLimiterHint : 0
; COMPUTE_PGM_RSRC2:SCRATCH_EN: 0
; COMPUTE_PGM_RSRC2:USER_SGPR: 6
; COMPUTE_PGM_RSRC2:TRAP_HANDLER: 0
; COMPUTE_PGM_RSRC2:TGID_X_EN: 1
; COMPUTE_PGM_RSRC2:TGID_Y_EN: 0
; COMPUTE_PGM_RSRC2:TGID_Z_EN: 0
; COMPUTE_PGM_RSRC2:TIDIG_COMP_CNT: 0
; COMPUTE_PGM_RSRC3_GFX90A:ACCUM_OFFSET: 0
; COMPUTE_PGM_RSRC3_GFX90A:TG_SPLIT: 0
	.section	.text._ZN7rocprim17ROCPRIM_400000_NS6detail17trampoline_kernelINS0_14default_configENS1_35adjacent_difference_config_selectorILb1EdEEZNS1_24adjacent_difference_implIS3_Lb1ELb0EPKdPdN6thrust23THRUST_200600_302600_NS4plusIdEEEE10hipError_tPvRmT2_T3_mT4_P12ihipStream_tbEUlT_E_NS1_11comp_targetILNS1_3genE0ELNS1_11target_archE4294967295ELNS1_3gpuE0ELNS1_3repE0EEENS1_30default_config_static_selectorELNS0_4arch9wavefront6targetE1EEEvT1_,"axG",@progbits,_ZN7rocprim17ROCPRIM_400000_NS6detail17trampoline_kernelINS0_14default_configENS1_35adjacent_difference_config_selectorILb1EdEEZNS1_24adjacent_difference_implIS3_Lb1ELb0EPKdPdN6thrust23THRUST_200600_302600_NS4plusIdEEEE10hipError_tPvRmT2_T3_mT4_P12ihipStream_tbEUlT_E_NS1_11comp_targetILNS1_3genE0ELNS1_11target_archE4294967295ELNS1_3gpuE0ELNS1_3repE0EEENS1_30default_config_static_selectorELNS0_4arch9wavefront6targetE1EEEvT1_,comdat
	.protected	_ZN7rocprim17ROCPRIM_400000_NS6detail17trampoline_kernelINS0_14default_configENS1_35adjacent_difference_config_selectorILb1EdEEZNS1_24adjacent_difference_implIS3_Lb1ELb0EPKdPdN6thrust23THRUST_200600_302600_NS4plusIdEEEE10hipError_tPvRmT2_T3_mT4_P12ihipStream_tbEUlT_E_NS1_11comp_targetILNS1_3genE0ELNS1_11target_archE4294967295ELNS1_3gpuE0ELNS1_3repE0EEENS1_30default_config_static_selectorELNS0_4arch9wavefront6targetE1EEEvT1_ ; -- Begin function _ZN7rocprim17ROCPRIM_400000_NS6detail17trampoline_kernelINS0_14default_configENS1_35adjacent_difference_config_selectorILb1EdEEZNS1_24adjacent_difference_implIS3_Lb1ELb0EPKdPdN6thrust23THRUST_200600_302600_NS4plusIdEEEE10hipError_tPvRmT2_T3_mT4_P12ihipStream_tbEUlT_E_NS1_11comp_targetILNS1_3genE0ELNS1_11target_archE4294967295ELNS1_3gpuE0ELNS1_3repE0EEENS1_30default_config_static_selectorELNS0_4arch9wavefront6targetE1EEEvT1_
	.globl	_ZN7rocprim17ROCPRIM_400000_NS6detail17trampoline_kernelINS0_14default_configENS1_35adjacent_difference_config_selectorILb1EdEEZNS1_24adjacent_difference_implIS3_Lb1ELb0EPKdPdN6thrust23THRUST_200600_302600_NS4plusIdEEEE10hipError_tPvRmT2_T3_mT4_P12ihipStream_tbEUlT_E_NS1_11comp_targetILNS1_3genE0ELNS1_11target_archE4294967295ELNS1_3gpuE0ELNS1_3repE0EEENS1_30default_config_static_selectorELNS0_4arch9wavefront6targetE1EEEvT1_
	.p2align	8
	.type	_ZN7rocprim17ROCPRIM_400000_NS6detail17trampoline_kernelINS0_14default_configENS1_35adjacent_difference_config_selectorILb1EdEEZNS1_24adjacent_difference_implIS3_Lb1ELb0EPKdPdN6thrust23THRUST_200600_302600_NS4plusIdEEEE10hipError_tPvRmT2_T3_mT4_P12ihipStream_tbEUlT_E_NS1_11comp_targetILNS1_3genE0ELNS1_11target_archE4294967295ELNS1_3gpuE0ELNS1_3repE0EEENS1_30default_config_static_selectorELNS0_4arch9wavefront6targetE1EEEvT1_,@function
_ZN7rocprim17ROCPRIM_400000_NS6detail17trampoline_kernelINS0_14default_configENS1_35adjacent_difference_config_selectorILb1EdEEZNS1_24adjacent_difference_implIS3_Lb1ELb0EPKdPdN6thrust23THRUST_200600_302600_NS4plusIdEEEE10hipError_tPvRmT2_T3_mT4_P12ihipStream_tbEUlT_E_NS1_11comp_targetILNS1_3genE0ELNS1_11target_archE4294967295ELNS1_3gpuE0ELNS1_3repE0EEENS1_30default_config_static_selectorELNS0_4arch9wavefront6targetE1EEEvT1_: ; @_ZN7rocprim17ROCPRIM_400000_NS6detail17trampoline_kernelINS0_14default_configENS1_35adjacent_difference_config_selectorILb1EdEEZNS1_24adjacent_difference_implIS3_Lb1ELb0EPKdPdN6thrust23THRUST_200600_302600_NS4plusIdEEEE10hipError_tPvRmT2_T3_mT4_P12ihipStream_tbEUlT_E_NS1_11comp_targetILNS1_3genE0ELNS1_11target_archE4294967295ELNS1_3gpuE0ELNS1_3repE0EEENS1_30default_config_static_selectorELNS0_4arch9wavefront6targetE1EEEvT1_
; %bb.0:
	.section	.rodata,"a",@progbits
	.p2align	6, 0x0
	.amdhsa_kernel _ZN7rocprim17ROCPRIM_400000_NS6detail17trampoline_kernelINS0_14default_configENS1_35adjacent_difference_config_selectorILb1EdEEZNS1_24adjacent_difference_implIS3_Lb1ELb0EPKdPdN6thrust23THRUST_200600_302600_NS4plusIdEEEE10hipError_tPvRmT2_T3_mT4_P12ihipStream_tbEUlT_E_NS1_11comp_targetILNS1_3genE0ELNS1_11target_archE4294967295ELNS1_3gpuE0ELNS1_3repE0EEENS1_30default_config_static_selectorELNS0_4arch9wavefront6targetE1EEEvT1_
		.amdhsa_group_segment_fixed_size 0
		.amdhsa_private_segment_fixed_size 0
		.amdhsa_kernarg_size 56
		.amdhsa_user_sgpr_count 6
		.amdhsa_user_sgpr_private_segment_buffer 1
		.amdhsa_user_sgpr_dispatch_ptr 0
		.amdhsa_user_sgpr_queue_ptr 0
		.amdhsa_user_sgpr_kernarg_segment_ptr 1
		.amdhsa_user_sgpr_dispatch_id 0
		.amdhsa_user_sgpr_flat_scratch_init 0
		.amdhsa_user_sgpr_kernarg_preload_length 0
		.amdhsa_user_sgpr_kernarg_preload_offset 0
		.amdhsa_user_sgpr_private_segment_size 0
		.amdhsa_uses_dynamic_stack 0
		.amdhsa_system_sgpr_private_segment_wavefront_offset 0
		.amdhsa_system_sgpr_workgroup_id_x 1
		.amdhsa_system_sgpr_workgroup_id_y 0
		.amdhsa_system_sgpr_workgroup_id_z 0
		.amdhsa_system_sgpr_workgroup_info 0
		.amdhsa_system_vgpr_workitem_id 0
		.amdhsa_next_free_vgpr 1
		.amdhsa_next_free_sgpr 0
		.amdhsa_accum_offset 4
		.amdhsa_reserve_vcc 0
		.amdhsa_reserve_flat_scratch 0
		.amdhsa_float_round_mode_32 0
		.amdhsa_float_round_mode_16_64 0
		.amdhsa_float_denorm_mode_32 3
		.amdhsa_float_denorm_mode_16_64 3
		.amdhsa_dx10_clamp 1
		.amdhsa_ieee_mode 1
		.amdhsa_fp16_overflow 0
		.amdhsa_tg_split 0
		.amdhsa_exception_fp_ieee_invalid_op 0
		.amdhsa_exception_fp_denorm_src 0
		.amdhsa_exception_fp_ieee_div_zero 0
		.amdhsa_exception_fp_ieee_overflow 0
		.amdhsa_exception_fp_ieee_underflow 0
		.amdhsa_exception_fp_ieee_inexact 0
		.amdhsa_exception_int_div_zero 0
	.end_amdhsa_kernel
	.section	.text._ZN7rocprim17ROCPRIM_400000_NS6detail17trampoline_kernelINS0_14default_configENS1_35adjacent_difference_config_selectorILb1EdEEZNS1_24adjacent_difference_implIS3_Lb1ELb0EPKdPdN6thrust23THRUST_200600_302600_NS4plusIdEEEE10hipError_tPvRmT2_T3_mT4_P12ihipStream_tbEUlT_E_NS1_11comp_targetILNS1_3genE0ELNS1_11target_archE4294967295ELNS1_3gpuE0ELNS1_3repE0EEENS1_30default_config_static_selectorELNS0_4arch9wavefront6targetE1EEEvT1_,"axG",@progbits,_ZN7rocprim17ROCPRIM_400000_NS6detail17trampoline_kernelINS0_14default_configENS1_35adjacent_difference_config_selectorILb1EdEEZNS1_24adjacent_difference_implIS3_Lb1ELb0EPKdPdN6thrust23THRUST_200600_302600_NS4plusIdEEEE10hipError_tPvRmT2_T3_mT4_P12ihipStream_tbEUlT_E_NS1_11comp_targetILNS1_3genE0ELNS1_11target_archE4294967295ELNS1_3gpuE0ELNS1_3repE0EEENS1_30default_config_static_selectorELNS0_4arch9wavefront6targetE1EEEvT1_,comdat
.Lfunc_end658:
	.size	_ZN7rocprim17ROCPRIM_400000_NS6detail17trampoline_kernelINS0_14default_configENS1_35adjacent_difference_config_selectorILb1EdEEZNS1_24adjacent_difference_implIS3_Lb1ELb0EPKdPdN6thrust23THRUST_200600_302600_NS4plusIdEEEE10hipError_tPvRmT2_T3_mT4_P12ihipStream_tbEUlT_E_NS1_11comp_targetILNS1_3genE0ELNS1_11target_archE4294967295ELNS1_3gpuE0ELNS1_3repE0EEENS1_30default_config_static_selectorELNS0_4arch9wavefront6targetE1EEEvT1_, .Lfunc_end658-_ZN7rocprim17ROCPRIM_400000_NS6detail17trampoline_kernelINS0_14default_configENS1_35adjacent_difference_config_selectorILb1EdEEZNS1_24adjacent_difference_implIS3_Lb1ELb0EPKdPdN6thrust23THRUST_200600_302600_NS4plusIdEEEE10hipError_tPvRmT2_T3_mT4_P12ihipStream_tbEUlT_E_NS1_11comp_targetILNS1_3genE0ELNS1_11target_archE4294967295ELNS1_3gpuE0ELNS1_3repE0EEENS1_30default_config_static_selectorELNS0_4arch9wavefront6targetE1EEEvT1_
                                        ; -- End function
	.section	.AMDGPU.csdata,"",@progbits
; Kernel info:
; codeLenInByte = 0
; NumSgprs: 4
; NumVgprs: 0
; NumAgprs: 0
; TotalNumVgprs: 0
; ScratchSize: 0
; MemoryBound: 0
; FloatMode: 240
; IeeeMode: 1
; LDSByteSize: 0 bytes/workgroup (compile time only)
; SGPRBlocks: 0
; VGPRBlocks: 0
; NumSGPRsForWavesPerEU: 4
; NumVGPRsForWavesPerEU: 1
; AccumOffset: 4
; Occupancy: 8
; WaveLimiterHint : 0
; COMPUTE_PGM_RSRC2:SCRATCH_EN: 0
; COMPUTE_PGM_RSRC2:USER_SGPR: 6
; COMPUTE_PGM_RSRC2:TRAP_HANDLER: 0
; COMPUTE_PGM_RSRC2:TGID_X_EN: 1
; COMPUTE_PGM_RSRC2:TGID_Y_EN: 0
; COMPUTE_PGM_RSRC2:TGID_Z_EN: 0
; COMPUTE_PGM_RSRC2:TIDIG_COMP_CNT: 0
; COMPUTE_PGM_RSRC3_GFX90A:ACCUM_OFFSET: 0
; COMPUTE_PGM_RSRC3_GFX90A:TG_SPLIT: 0
	.section	.text._ZN7rocprim17ROCPRIM_400000_NS6detail17trampoline_kernelINS0_14default_configENS1_35adjacent_difference_config_selectorILb1EdEEZNS1_24adjacent_difference_implIS3_Lb1ELb0EPKdPdN6thrust23THRUST_200600_302600_NS4plusIdEEEE10hipError_tPvRmT2_T3_mT4_P12ihipStream_tbEUlT_E_NS1_11comp_targetILNS1_3genE10ELNS1_11target_archE1201ELNS1_3gpuE5ELNS1_3repE0EEENS1_30default_config_static_selectorELNS0_4arch9wavefront6targetE1EEEvT1_,"axG",@progbits,_ZN7rocprim17ROCPRIM_400000_NS6detail17trampoline_kernelINS0_14default_configENS1_35adjacent_difference_config_selectorILb1EdEEZNS1_24adjacent_difference_implIS3_Lb1ELb0EPKdPdN6thrust23THRUST_200600_302600_NS4plusIdEEEE10hipError_tPvRmT2_T3_mT4_P12ihipStream_tbEUlT_E_NS1_11comp_targetILNS1_3genE10ELNS1_11target_archE1201ELNS1_3gpuE5ELNS1_3repE0EEENS1_30default_config_static_selectorELNS0_4arch9wavefront6targetE1EEEvT1_,comdat
	.protected	_ZN7rocprim17ROCPRIM_400000_NS6detail17trampoline_kernelINS0_14default_configENS1_35adjacent_difference_config_selectorILb1EdEEZNS1_24adjacent_difference_implIS3_Lb1ELb0EPKdPdN6thrust23THRUST_200600_302600_NS4plusIdEEEE10hipError_tPvRmT2_T3_mT4_P12ihipStream_tbEUlT_E_NS1_11comp_targetILNS1_3genE10ELNS1_11target_archE1201ELNS1_3gpuE5ELNS1_3repE0EEENS1_30default_config_static_selectorELNS0_4arch9wavefront6targetE1EEEvT1_ ; -- Begin function _ZN7rocprim17ROCPRIM_400000_NS6detail17trampoline_kernelINS0_14default_configENS1_35adjacent_difference_config_selectorILb1EdEEZNS1_24adjacent_difference_implIS3_Lb1ELb0EPKdPdN6thrust23THRUST_200600_302600_NS4plusIdEEEE10hipError_tPvRmT2_T3_mT4_P12ihipStream_tbEUlT_E_NS1_11comp_targetILNS1_3genE10ELNS1_11target_archE1201ELNS1_3gpuE5ELNS1_3repE0EEENS1_30default_config_static_selectorELNS0_4arch9wavefront6targetE1EEEvT1_
	.globl	_ZN7rocprim17ROCPRIM_400000_NS6detail17trampoline_kernelINS0_14default_configENS1_35adjacent_difference_config_selectorILb1EdEEZNS1_24adjacent_difference_implIS3_Lb1ELb0EPKdPdN6thrust23THRUST_200600_302600_NS4plusIdEEEE10hipError_tPvRmT2_T3_mT4_P12ihipStream_tbEUlT_E_NS1_11comp_targetILNS1_3genE10ELNS1_11target_archE1201ELNS1_3gpuE5ELNS1_3repE0EEENS1_30default_config_static_selectorELNS0_4arch9wavefront6targetE1EEEvT1_
	.p2align	8
	.type	_ZN7rocprim17ROCPRIM_400000_NS6detail17trampoline_kernelINS0_14default_configENS1_35adjacent_difference_config_selectorILb1EdEEZNS1_24adjacent_difference_implIS3_Lb1ELb0EPKdPdN6thrust23THRUST_200600_302600_NS4plusIdEEEE10hipError_tPvRmT2_T3_mT4_P12ihipStream_tbEUlT_E_NS1_11comp_targetILNS1_3genE10ELNS1_11target_archE1201ELNS1_3gpuE5ELNS1_3repE0EEENS1_30default_config_static_selectorELNS0_4arch9wavefront6targetE1EEEvT1_,@function
_ZN7rocprim17ROCPRIM_400000_NS6detail17trampoline_kernelINS0_14default_configENS1_35adjacent_difference_config_selectorILb1EdEEZNS1_24adjacent_difference_implIS3_Lb1ELb0EPKdPdN6thrust23THRUST_200600_302600_NS4plusIdEEEE10hipError_tPvRmT2_T3_mT4_P12ihipStream_tbEUlT_E_NS1_11comp_targetILNS1_3genE10ELNS1_11target_archE1201ELNS1_3gpuE5ELNS1_3repE0EEENS1_30default_config_static_selectorELNS0_4arch9wavefront6targetE1EEEvT1_: ; @_ZN7rocprim17ROCPRIM_400000_NS6detail17trampoline_kernelINS0_14default_configENS1_35adjacent_difference_config_selectorILb1EdEEZNS1_24adjacent_difference_implIS3_Lb1ELb0EPKdPdN6thrust23THRUST_200600_302600_NS4plusIdEEEE10hipError_tPvRmT2_T3_mT4_P12ihipStream_tbEUlT_E_NS1_11comp_targetILNS1_3genE10ELNS1_11target_archE1201ELNS1_3gpuE5ELNS1_3repE0EEENS1_30default_config_static_selectorELNS0_4arch9wavefront6targetE1EEEvT1_
; %bb.0:
	.section	.rodata,"a",@progbits
	.p2align	6, 0x0
	.amdhsa_kernel _ZN7rocprim17ROCPRIM_400000_NS6detail17trampoline_kernelINS0_14default_configENS1_35adjacent_difference_config_selectorILb1EdEEZNS1_24adjacent_difference_implIS3_Lb1ELb0EPKdPdN6thrust23THRUST_200600_302600_NS4plusIdEEEE10hipError_tPvRmT2_T3_mT4_P12ihipStream_tbEUlT_E_NS1_11comp_targetILNS1_3genE10ELNS1_11target_archE1201ELNS1_3gpuE5ELNS1_3repE0EEENS1_30default_config_static_selectorELNS0_4arch9wavefront6targetE1EEEvT1_
		.amdhsa_group_segment_fixed_size 0
		.amdhsa_private_segment_fixed_size 0
		.amdhsa_kernarg_size 56
		.amdhsa_user_sgpr_count 6
		.amdhsa_user_sgpr_private_segment_buffer 1
		.amdhsa_user_sgpr_dispatch_ptr 0
		.amdhsa_user_sgpr_queue_ptr 0
		.amdhsa_user_sgpr_kernarg_segment_ptr 1
		.amdhsa_user_sgpr_dispatch_id 0
		.amdhsa_user_sgpr_flat_scratch_init 0
		.amdhsa_user_sgpr_kernarg_preload_length 0
		.amdhsa_user_sgpr_kernarg_preload_offset 0
		.amdhsa_user_sgpr_private_segment_size 0
		.amdhsa_uses_dynamic_stack 0
		.amdhsa_system_sgpr_private_segment_wavefront_offset 0
		.amdhsa_system_sgpr_workgroup_id_x 1
		.amdhsa_system_sgpr_workgroup_id_y 0
		.amdhsa_system_sgpr_workgroup_id_z 0
		.amdhsa_system_sgpr_workgroup_info 0
		.amdhsa_system_vgpr_workitem_id 0
		.amdhsa_next_free_vgpr 1
		.amdhsa_next_free_sgpr 0
		.amdhsa_accum_offset 4
		.amdhsa_reserve_vcc 0
		.amdhsa_reserve_flat_scratch 0
		.amdhsa_float_round_mode_32 0
		.amdhsa_float_round_mode_16_64 0
		.amdhsa_float_denorm_mode_32 3
		.amdhsa_float_denorm_mode_16_64 3
		.amdhsa_dx10_clamp 1
		.amdhsa_ieee_mode 1
		.amdhsa_fp16_overflow 0
		.amdhsa_tg_split 0
		.amdhsa_exception_fp_ieee_invalid_op 0
		.amdhsa_exception_fp_denorm_src 0
		.amdhsa_exception_fp_ieee_div_zero 0
		.amdhsa_exception_fp_ieee_overflow 0
		.amdhsa_exception_fp_ieee_underflow 0
		.amdhsa_exception_fp_ieee_inexact 0
		.amdhsa_exception_int_div_zero 0
	.end_amdhsa_kernel
	.section	.text._ZN7rocprim17ROCPRIM_400000_NS6detail17trampoline_kernelINS0_14default_configENS1_35adjacent_difference_config_selectorILb1EdEEZNS1_24adjacent_difference_implIS3_Lb1ELb0EPKdPdN6thrust23THRUST_200600_302600_NS4plusIdEEEE10hipError_tPvRmT2_T3_mT4_P12ihipStream_tbEUlT_E_NS1_11comp_targetILNS1_3genE10ELNS1_11target_archE1201ELNS1_3gpuE5ELNS1_3repE0EEENS1_30default_config_static_selectorELNS0_4arch9wavefront6targetE1EEEvT1_,"axG",@progbits,_ZN7rocprim17ROCPRIM_400000_NS6detail17trampoline_kernelINS0_14default_configENS1_35adjacent_difference_config_selectorILb1EdEEZNS1_24adjacent_difference_implIS3_Lb1ELb0EPKdPdN6thrust23THRUST_200600_302600_NS4plusIdEEEE10hipError_tPvRmT2_T3_mT4_P12ihipStream_tbEUlT_E_NS1_11comp_targetILNS1_3genE10ELNS1_11target_archE1201ELNS1_3gpuE5ELNS1_3repE0EEENS1_30default_config_static_selectorELNS0_4arch9wavefront6targetE1EEEvT1_,comdat
.Lfunc_end659:
	.size	_ZN7rocprim17ROCPRIM_400000_NS6detail17trampoline_kernelINS0_14default_configENS1_35adjacent_difference_config_selectorILb1EdEEZNS1_24adjacent_difference_implIS3_Lb1ELb0EPKdPdN6thrust23THRUST_200600_302600_NS4plusIdEEEE10hipError_tPvRmT2_T3_mT4_P12ihipStream_tbEUlT_E_NS1_11comp_targetILNS1_3genE10ELNS1_11target_archE1201ELNS1_3gpuE5ELNS1_3repE0EEENS1_30default_config_static_selectorELNS0_4arch9wavefront6targetE1EEEvT1_, .Lfunc_end659-_ZN7rocprim17ROCPRIM_400000_NS6detail17trampoline_kernelINS0_14default_configENS1_35adjacent_difference_config_selectorILb1EdEEZNS1_24adjacent_difference_implIS3_Lb1ELb0EPKdPdN6thrust23THRUST_200600_302600_NS4plusIdEEEE10hipError_tPvRmT2_T3_mT4_P12ihipStream_tbEUlT_E_NS1_11comp_targetILNS1_3genE10ELNS1_11target_archE1201ELNS1_3gpuE5ELNS1_3repE0EEENS1_30default_config_static_selectorELNS0_4arch9wavefront6targetE1EEEvT1_
                                        ; -- End function
	.section	.AMDGPU.csdata,"",@progbits
; Kernel info:
; codeLenInByte = 0
; NumSgprs: 4
; NumVgprs: 0
; NumAgprs: 0
; TotalNumVgprs: 0
; ScratchSize: 0
; MemoryBound: 0
; FloatMode: 240
; IeeeMode: 1
; LDSByteSize: 0 bytes/workgroup (compile time only)
; SGPRBlocks: 0
; VGPRBlocks: 0
; NumSGPRsForWavesPerEU: 4
; NumVGPRsForWavesPerEU: 1
; AccumOffset: 4
; Occupancy: 8
; WaveLimiterHint : 0
; COMPUTE_PGM_RSRC2:SCRATCH_EN: 0
; COMPUTE_PGM_RSRC2:USER_SGPR: 6
; COMPUTE_PGM_RSRC2:TRAP_HANDLER: 0
; COMPUTE_PGM_RSRC2:TGID_X_EN: 1
; COMPUTE_PGM_RSRC2:TGID_Y_EN: 0
; COMPUTE_PGM_RSRC2:TGID_Z_EN: 0
; COMPUTE_PGM_RSRC2:TIDIG_COMP_CNT: 0
; COMPUTE_PGM_RSRC3_GFX90A:ACCUM_OFFSET: 0
; COMPUTE_PGM_RSRC3_GFX90A:TG_SPLIT: 0
	.section	.text._ZN7rocprim17ROCPRIM_400000_NS6detail17trampoline_kernelINS0_14default_configENS1_35adjacent_difference_config_selectorILb1EdEEZNS1_24adjacent_difference_implIS3_Lb1ELb0EPKdPdN6thrust23THRUST_200600_302600_NS4plusIdEEEE10hipError_tPvRmT2_T3_mT4_P12ihipStream_tbEUlT_E_NS1_11comp_targetILNS1_3genE5ELNS1_11target_archE942ELNS1_3gpuE9ELNS1_3repE0EEENS1_30default_config_static_selectorELNS0_4arch9wavefront6targetE1EEEvT1_,"axG",@progbits,_ZN7rocprim17ROCPRIM_400000_NS6detail17trampoline_kernelINS0_14default_configENS1_35adjacent_difference_config_selectorILb1EdEEZNS1_24adjacent_difference_implIS3_Lb1ELb0EPKdPdN6thrust23THRUST_200600_302600_NS4plusIdEEEE10hipError_tPvRmT2_T3_mT4_P12ihipStream_tbEUlT_E_NS1_11comp_targetILNS1_3genE5ELNS1_11target_archE942ELNS1_3gpuE9ELNS1_3repE0EEENS1_30default_config_static_selectorELNS0_4arch9wavefront6targetE1EEEvT1_,comdat
	.protected	_ZN7rocprim17ROCPRIM_400000_NS6detail17trampoline_kernelINS0_14default_configENS1_35adjacent_difference_config_selectorILb1EdEEZNS1_24adjacent_difference_implIS3_Lb1ELb0EPKdPdN6thrust23THRUST_200600_302600_NS4plusIdEEEE10hipError_tPvRmT2_T3_mT4_P12ihipStream_tbEUlT_E_NS1_11comp_targetILNS1_3genE5ELNS1_11target_archE942ELNS1_3gpuE9ELNS1_3repE0EEENS1_30default_config_static_selectorELNS0_4arch9wavefront6targetE1EEEvT1_ ; -- Begin function _ZN7rocprim17ROCPRIM_400000_NS6detail17trampoline_kernelINS0_14default_configENS1_35adjacent_difference_config_selectorILb1EdEEZNS1_24adjacent_difference_implIS3_Lb1ELb0EPKdPdN6thrust23THRUST_200600_302600_NS4plusIdEEEE10hipError_tPvRmT2_T3_mT4_P12ihipStream_tbEUlT_E_NS1_11comp_targetILNS1_3genE5ELNS1_11target_archE942ELNS1_3gpuE9ELNS1_3repE0EEENS1_30default_config_static_selectorELNS0_4arch9wavefront6targetE1EEEvT1_
	.globl	_ZN7rocprim17ROCPRIM_400000_NS6detail17trampoline_kernelINS0_14default_configENS1_35adjacent_difference_config_selectorILb1EdEEZNS1_24adjacent_difference_implIS3_Lb1ELb0EPKdPdN6thrust23THRUST_200600_302600_NS4plusIdEEEE10hipError_tPvRmT2_T3_mT4_P12ihipStream_tbEUlT_E_NS1_11comp_targetILNS1_3genE5ELNS1_11target_archE942ELNS1_3gpuE9ELNS1_3repE0EEENS1_30default_config_static_selectorELNS0_4arch9wavefront6targetE1EEEvT1_
	.p2align	8
	.type	_ZN7rocprim17ROCPRIM_400000_NS6detail17trampoline_kernelINS0_14default_configENS1_35adjacent_difference_config_selectorILb1EdEEZNS1_24adjacent_difference_implIS3_Lb1ELb0EPKdPdN6thrust23THRUST_200600_302600_NS4plusIdEEEE10hipError_tPvRmT2_T3_mT4_P12ihipStream_tbEUlT_E_NS1_11comp_targetILNS1_3genE5ELNS1_11target_archE942ELNS1_3gpuE9ELNS1_3repE0EEENS1_30default_config_static_selectorELNS0_4arch9wavefront6targetE1EEEvT1_,@function
_ZN7rocprim17ROCPRIM_400000_NS6detail17trampoline_kernelINS0_14default_configENS1_35adjacent_difference_config_selectorILb1EdEEZNS1_24adjacent_difference_implIS3_Lb1ELb0EPKdPdN6thrust23THRUST_200600_302600_NS4plusIdEEEE10hipError_tPvRmT2_T3_mT4_P12ihipStream_tbEUlT_E_NS1_11comp_targetILNS1_3genE5ELNS1_11target_archE942ELNS1_3gpuE9ELNS1_3repE0EEENS1_30default_config_static_selectorELNS0_4arch9wavefront6targetE1EEEvT1_: ; @_ZN7rocprim17ROCPRIM_400000_NS6detail17trampoline_kernelINS0_14default_configENS1_35adjacent_difference_config_selectorILb1EdEEZNS1_24adjacent_difference_implIS3_Lb1ELb0EPKdPdN6thrust23THRUST_200600_302600_NS4plusIdEEEE10hipError_tPvRmT2_T3_mT4_P12ihipStream_tbEUlT_E_NS1_11comp_targetILNS1_3genE5ELNS1_11target_archE942ELNS1_3gpuE9ELNS1_3repE0EEENS1_30default_config_static_selectorELNS0_4arch9wavefront6targetE1EEEvT1_
; %bb.0:
	.section	.rodata,"a",@progbits
	.p2align	6, 0x0
	.amdhsa_kernel _ZN7rocprim17ROCPRIM_400000_NS6detail17trampoline_kernelINS0_14default_configENS1_35adjacent_difference_config_selectorILb1EdEEZNS1_24adjacent_difference_implIS3_Lb1ELb0EPKdPdN6thrust23THRUST_200600_302600_NS4plusIdEEEE10hipError_tPvRmT2_T3_mT4_P12ihipStream_tbEUlT_E_NS1_11comp_targetILNS1_3genE5ELNS1_11target_archE942ELNS1_3gpuE9ELNS1_3repE0EEENS1_30default_config_static_selectorELNS0_4arch9wavefront6targetE1EEEvT1_
		.amdhsa_group_segment_fixed_size 0
		.amdhsa_private_segment_fixed_size 0
		.amdhsa_kernarg_size 56
		.amdhsa_user_sgpr_count 6
		.amdhsa_user_sgpr_private_segment_buffer 1
		.amdhsa_user_sgpr_dispatch_ptr 0
		.amdhsa_user_sgpr_queue_ptr 0
		.amdhsa_user_sgpr_kernarg_segment_ptr 1
		.amdhsa_user_sgpr_dispatch_id 0
		.amdhsa_user_sgpr_flat_scratch_init 0
		.amdhsa_user_sgpr_kernarg_preload_length 0
		.amdhsa_user_sgpr_kernarg_preload_offset 0
		.amdhsa_user_sgpr_private_segment_size 0
		.amdhsa_uses_dynamic_stack 0
		.amdhsa_system_sgpr_private_segment_wavefront_offset 0
		.amdhsa_system_sgpr_workgroup_id_x 1
		.amdhsa_system_sgpr_workgroup_id_y 0
		.amdhsa_system_sgpr_workgroup_id_z 0
		.amdhsa_system_sgpr_workgroup_info 0
		.amdhsa_system_vgpr_workitem_id 0
		.amdhsa_next_free_vgpr 1
		.amdhsa_next_free_sgpr 0
		.amdhsa_accum_offset 4
		.amdhsa_reserve_vcc 0
		.amdhsa_reserve_flat_scratch 0
		.amdhsa_float_round_mode_32 0
		.amdhsa_float_round_mode_16_64 0
		.amdhsa_float_denorm_mode_32 3
		.amdhsa_float_denorm_mode_16_64 3
		.amdhsa_dx10_clamp 1
		.amdhsa_ieee_mode 1
		.amdhsa_fp16_overflow 0
		.amdhsa_tg_split 0
		.amdhsa_exception_fp_ieee_invalid_op 0
		.amdhsa_exception_fp_denorm_src 0
		.amdhsa_exception_fp_ieee_div_zero 0
		.amdhsa_exception_fp_ieee_overflow 0
		.amdhsa_exception_fp_ieee_underflow 0
		.amdhsa_exception_fp_ieee_inexact 0
		.amdhsa_exception_int_div_zero 0
	.end_amdhsa_kernel
	.section	.text._ZN7rocprim17ROCPRIM_400000_NS6detail17trampoline_kernelINS0_14default_configENS1_35adjacent_difference_config_selectorILb1EdEEZNS1_24adjacent_difference_implIS3_Lb1ELb0EPKdPdN6thrust23THRUST_200600_302600_NS4plusIdEEEE10hipError_tPvRmT2_T3_mT4_P12ihipStream_tbEUlT_E_NS1_11comp_targetILNS1_3genE5ELNS1_11target_archE942ELNS1_3gpuE9ELNS1_3repE0EEENS1_30default_config_static_selectorELNS0_4arch9wavefront6targetE1EEEvT1_,"axG",@progbits,_ZN7rocprim17ROCPRIM_400000_NS6detail17trampoline_kernelINS0_14default_configENS1_35adjacent_difference_config_selectorILb1EdEEZNS1_24adjacent_difference_implIS3_Lb1ELb0EPKdPdN6thrust23THRUST_200600_302600_NS4plusIdEEEE10hipError_tPvRmT2_T3_mT4_P12ihipStream_tbEUlT_E_NS1_11comp_targetILNS1_3genE5ELNS1_11target_archE942ELNS1_3gpuE9ELNS1_3repE0EEENS1_30default_config_static_selectorELNS0_4arch9wavefront6targetE1EEEvT1_,comdat
.Lfunc_end660:
	.size	_ZN7rocprim17ROCPRIM_400000_NS6detail17trampoline_kernelINS0_14default_configENS1_35adjacent_difference_config_selectorILb1EdEEZNS1_24adjacent_difference_implIS3_Lb1ELb0EPKdPdN6thrust23THRUST_200600_302600_NS4plusIdEEEE10hipError_tPvRmT2_T3_mT4_P12ihipStream_tbEUlT_E_NS1_11comp_targetILNS1_3genE5ELNS1_11target_archE942ELNS1_3gpuE9ELNS1_3repE0EEENS1_30default_config_static_selectorELNS0_4arch9wavefront6targetE1EEEvT1_, .Lfunc_end660-_ZN7rocprim17ROCPRIM_400000_NS6detail17trampoline_kernelINS0_14default_configENS1_35adjacent_difference_config_selectorILb1EdEEZNS1_24adjacent_difference_implIS3_Lb1ELb0EPKdPdN6thrust23THRUST_200600_302600_NS4plusIdEEEE10hipError_tPvRmT2_T3_mT4_P12ihipStream_tbEUlT_E_NS1_11comp_targetILNS1_3genE5ELNS1_11target_archE942ELNS1_3gpuE9ELNS1_3repE0EEENS1_30default_config_static_selectorELNS0_4arch9wavefront6targetE1EEEvT1_
                                        ; -- End function
	.section	.AMDGPU.csdata,"",@progbits
; Kernel info:
; codeLenInByte = 0
; NumSgprs: 4
; NumVgprs: 0
; NumAgprs: 0
; TotalNumVgprs: 0
; ScratchSize: 0
; MemoryBound: 0
; FloatMode: 240
; IeeeMode: 1
; LDSByteSize: 0 bytes/workgroup (compile time only)
; SGPRBlocks: 0
; VGPRBlocks: 0
; NumSGPRsForWavesPerEU: 4
; NumVGPRsForWavesPerEU: 1
; AccumOffset: 4
; Occupancy: 8
; WaveLimiterHint : 0
; COMPUTE_PGM_RSRC2:SCRATCH_EN: 0
; COMPUTE_PGM_RSRC2:USER_SGPR: 6
; COMPUTE_PGM_RSRC2:TRAP_HANDLER: 0
; COMPUTE_PGM_RSRC2:TGID_X_EN: 1
; COMPUTE_PGM_RSRC2:TGID_Y_EN: 0
; COMPUTE_PGM_RSRC2:TGID_Z_EN: 0
; COMPUTE_PGM_RSRC2:TIDIG_COMP_CNT: 0
; COMPUTE_PGM_RSRC3_GFX90A:ACCUM_OFFSET: 0
; COMPUTE_PGM_RSRC3_GFX90A:TG_SPLIT: 0
	.section	.text._ZN7rocprim17ROCPRIM_400000_NS6detail17trampoline_kernelINS0_14default_configENS1_35adjacent_difference_config_selectorILb1EdEEZNS1_24adjacent_difference_implIS3_Lb1ELb0EPKdPdN6thrust23THRUST_200600_302600_NS4plusIdEEEE10hipError_tPvRmT2_T3_mT4_P12ihipStream_tbEUlT_E_NS1_11comp_targetILNS1_3genE4ELNS1_11target_archE910ELNS1_3gpuE8ELNS1_3repE0EEENS1_30default_config_static_selectorELNS0_4arch9wavefront6targetE1EEEvT1_,"axG",@progbits,_ZN7rocprim17ROCPRIM_400000_NS6detail17trampoline_kernelINS0_14default_configENS1_35adjacent_difference_config_selectorILb1EdEEZNS1_24adjacent_difference_implIS3_Lb1ELb0EPKdPdN6thrust23THRUST_200600_302600_NS4plusIdEEEE10hipError_tPvRmT2_T3_mT4_P12ihipStream_tbEUlT_E_NS1_11comp_targetILNS1_3genE4ELNS1_11target_archE910ELNS1_3gpuE8ELNS1_3repE0EEENS1_30default_config_static_selectorELNS0_4arch9wavefront6targetE1EEEvT1_,comdat
	.protected	_ZN7rocprim17ROCPRIM_400000_NS6detail17trampoline_kernelINS0_14default_configENS1_35adjacent_difference_config_selectorILb1EdEEZNS1_24adjacent_difference_implIS3_Lb1ELb0EPKdPdN6thrust23THRUST_200600_302600_NS4plusIdEEEE10hipError_tPvRmT2_T3_mT4_P12ihipStream_tbEUlT_E_NS1_11comp_targetILNS1_3genE4ELNS1_11target_archE910ELNS1_3gpuE8ELNS1_3repE0EEENS1_30default_config_static_selectorELNS0_4arch9wavefront6targetE1EEEvT1_ ; -- Begin function _ZN7rocprim17ROCPRIM_400000_NS6detail17trampoline_kernelINS0_14default_configENS1_35adjacent_difference_config_selectorILb1EdEEZNS1_24adjacent_difference_implIS3_Lb1ELb0EPKdPdN6thrust23THRUST_200600_302600_NS4plusIdEEEE10hipError_tPvRmT2_T3_mT4_P12ihipStream_tbEUlT_E_NS1_11comp_targetILNS1_3genE4ELNS1_11target_archE910ELNS1_3gpuE8ELNS1_3repE0EEENS1_30default_config_static_selectorELNS0_4arch9wavefront6targetE1EEEvT1_
	.globl	_ZN7rocprim17ROCPRIM_400000_NS6detail17trampoline_kernelINS0_14default_configENS1_35adjacent_difference_config_selectorILb1EdEEZNS1_24adjacent_difference_implIS3_Lb1ELb0EPKdPdN6thrust23THRUST_200600_302600_NS4plusIdEEEE10hipError_tPvRmT2_T3_mT4_P12ihipStream_tbEUlT_E_NS1_11comp_targetILNS1_3genE4ELNS1_11target_archE910ELNS1_3gpuE8ELNS1_3repE0EEENS1_30default_config_static_selectorELNS0_4arch9wavefront6targetE1EEEvT1_
	.p2align	8
	.type	_ZN7rocprim17ROCPRIM_400000_NS6detail17trampoline_kernelINS0_14default_configENS1_35adjacent_difference_config_selectorILb1EdEEZNS1_24adjacent_difference_implIS3_Lb1ELb0EPKdPdN6thrust23THRUST_200600_302600_NS4plusIdEEEE10hipError_tPvRmT2_T3_mT4_P12ihipStream_tbEUlT_E_NS1_11comp_targetILNS1_3genE4ELNS1_11target_archE910ELNS1_3gpuE8ELNS1_3repE0EEENS1_30default_config_static_selectorELNS0_4arch9wavefront6targetE1EEEvT1_,@function
_ZN7rocprim17ROCPRIM_400000_NS6detail17trampoline_kernelINS0_14default_configENS1_35adjacent_difference_config_selectorILb1EdEEZNS1_24adjacent_difference_implIS3_Lb1ELb0EPKdPdN6thrust23THRUST_200600_302600_NS4plusIdEEEE10hipError_tPvRmT2_T3_mT4_P12ihipStream_tbEUlT_E_NS1_11comp_targetILNS1_3genE4ELNS1_11target_archE910ELNS1_3gpuE8ELNS1_3repE0EEENS1_30default_config_static_selectorELNS0_4arch9wavefront6targetE1EEEvT1_: ; @_ZN7rocprim17ROCPRIM_400000_NS6detail17trampoline_kernelINS0_14default_configENS1_35adjacent_difference_config_selectorILb1EdEEZNS1_24adjacent_difference_implIS3_Lb1ELb0EPKdPdN6thrust23THRUST_200600_302600_NS4plusIdEEEE10hipError_tPvRmT2_T3_mT4_P12ihipStream_tbEUlT_E_NS1_11comp_targetILNS1_3genE4ELNS1_11target_archE910ELNS1_3gpuE8ELNS1_3repE0EEENS1_30default_config_static_selectorELNS0_4arch9wavefront6targetE1EEEvT1_
; %bb.0:
	s_load_dwordx8 s[8:15], s[4:5], 0x0
	s_load_dwordx4 s[16:19], s[4:5], 0x28
	s_mov_b32 s21, 0
	s_mov_b64 s[22:23], -1
	s_waitcnt lgkmcnt(0)
	s_lshl_b64 s[10:11], s[10:11], 3
	s_add_u32 s26, s8, s10
	s_addc_u32 s27, s9, s11
	s_lshl_b32 s4, s6, 10
	s_lshr_b64 s[0:1], s[14:15], 10
	s_and_b32 s20, s14, 0x3ff
	s_cmp_lg_u64 s[20:21], 0
	s_cselect_b64 s[2:3], -1, 0
	v_cndmask_b32_e64 v1, 0, 1, s[2:3]
	v_readfirstlane_b32 s2, v1
	s_add_u32 s2, s0, s2
	s_addc_u32 s3, s1, 0
	s_add_u32 s8, s18, s6
	s_addc_u32 s9, s19, 0
	s_mov_b32 s20, s6
	s_add_u32 s6, s2, -1
	s_addc_u32 s7, s3, -1
	v_pk_mov_b32 v[2:3], s[6:7], s[6:7] op_sel:[0,1]
	v_cmp_ge_u64_e64 s[0:1], s[8:9], v[2:3]
	s_and_b64 vcc, exec, s[0:1]
	s_cbranch_vccz .LBB661_6
; %bb.1:
	s_lshl_b32 s5, s6, 10
	s_sub_i32 s15, s14, s5
	s_mov_b32 s5, s21
	s_lshl_b64 s[22:23], s[4:5], 3
	s_add_u32 s22, s26, s22
	s_addc_u32 s23, s27, s23
	v_cmp_gt_u32_e32 vcc, s15, v0
                                        ; implicit-def: $vgpr2_vgpr3_vgpr4_vgpr5
	s_and_saveexec_b64 s[24:25], vcc
	s_cbranch_execz .LBB661_3
; %bb.2:
	v_lshlrev_b32_e32 v1, 3, v0
	global_load_dwordx2 v[2:3], v1, s[22:23]
.LBB661_3:
	s_or_b64 exec, exec, s[24:25]
	v_or_b32_e32 v1, 0x200, v0
	v_cmp_gt_u32_e32 vcc, s15, v1
	s_and_saveexec_b64 s[24:25], vcc
	s_cbranch_execz .LBB661_5
; %bb.4:
	v_lshlrev_b32_e32 v4, 3, v1
	global_load_dwordx2 v[4:5], v4, s[22:23]
.LBB661_5:
	s_or_b64 exec, exec, s[24:25]
	v_lshrrev_b32_e32 v6, 2, v0
	v_lshrrev_b32_e32 v1, 2, v1
	v_and_b32_e32 v6, 0x78, v6
	v_lshlrev_b32_e32 v7, 3, v0
	v_and_b32_e32 v1, 0xf8, v1
	v_add_u32_e32 v6, v6, v7
	v_add_u32_e32 v1, v1, v7
	s_mov_b64 s[22:23], 0
	s_waitcnt vmcnt(0)
	ds_write_b64 v6, v[2:3]
	ds_write_b64 v1, v[4:5] offset:4096
	s_waitcnt lgkmcnt(0)
	s_barrier
.LBB661_6:
	s_and_b64 vcc, exec, s[22:23]
	v_lshlrev_b32_e32 v1, 3, v0
	s_cbranch_vccz .LBB661_8
; %bb.7:
	s_mov_b32 s5, 0
	s_lshl_b64 s[22:23], s[4:5], 3
	s_add_u32 s22, s26, s22
	s_addc_u32 s23, s27, s23
	v_mov_b32_e32 v2, s23
	v_add_co_u32_e32 v3, vcc, s22, v1
	v_addc_co_u32_e32 v4, vcc, 0, v2, vcc
	v_add_co_u32_e32 v2, vcc, 0x1000, v3
	v_addc_co_u32_e32 v3, vcc, 0, v4, vcc
	global_load_dwordx2 v[4:5], v1, s[22:23]
	global_load_dwordx2 v[6:7], v[2:3], off
	v_lshrrev_b32_e32 v2, 2, v0
	v_or_b32_e32 v3, 0x200, v0
	v_and_b32_e32 v2, 0x78, v2
	v_lshrrev_b32_e32 v3, 2, v3
	v_add_u32_e32 v2, v2, v1
	v_and_b32_e32 v3, 0xf8, v3
	v_add_u32_e32 v3, v3, v1
	s_waitcnt vmcnt(1)
	ds_write_b64 v2, v[4:5]
	s_waitcnt vmcnt(0)
	ds_write_b64 v3, v[6:7] offset:4096
	s_waitcnt lgkmcnt(0)
	s_barrier
.LBB661_8:
	v_lshlrev_b32_e32 v2, 1, v0
	v_lshrrev_b32_e32 v3, 4, v0
	v_add_lshl_u32 v2, v3, v2, 3
	ds_read2_b64 v[2:5], v2 offset1:1
	s_cmp_eq_u64 s[8:9], 0
	s_waitcnt lgkmcnt(0)
	s_barrier
	s_cbranch_scc1 .LBB661_13
; %bb.9:
	s_lshl_b64 s[18:19], s[18:19], 3
	s_add_u32 s5, s16, s18
	s_addc_u32 s15, s17, s19
	s_lshl_b64 s[16:17], s[20:21], 3
	s_add_u32 s5, s5, s16
	s_addc_u32 s15, s15, s17
	s_add_u32 s16, s5, -8
	s_addc_u32 s17, s15, -1
	s_load_dwordx2 s[16:17], s[16:17], 0x0
	s_cmp_eq_u64 s[8:9], s[6:7]
	s_cbranch_scc1 .LBB661_14
; %bb.10:
	v_cmp_ne_u32_e32 vcc, 0, v0
	s_waitcnt lgkmcnt(0)
	v_pk_mov_b32 v[6:7], s[16:17], s[16:17] op_sel:[0,1]
	ds_write_b64 v1, v[4:5]
	s_waitcnt lgkmcnt(0)
	s_barrier
	s_and_saveexec_b64 s[18:19], vcc
	s_cbranch_execz .LBB661_12
; %bb.11:
	v_add_u32_e32 v6, -8, v1
	ds_read_b64 v[6:7], v6
.LBB661_12:
	s_or_b64 exec, exec, s[18:19]
	v_add_f64 v[10:11], v[2:3], v[4:5]
	s_waitcnt lgkmcnt(0)
	v_add_f64 v[6:7], v[2:3], v[6:7]
	s_branch .LBB661_18
.LBB661_13:
                                        ; implicit-def: $vgpr10_vgpr11
                                        ; implicit-def: $vgpr6_vgpr7_vgpr8_vgpr9
	s_branch .LBB661_19
.LBB661_14:
                                        ; implicit-def: $vgpr10_vgpr11
                                        ; implicit-def: $vgpr6_vgpr7_vgpr8_vgpr9
	s_cbranch_execz .LBB661_18
; %bb.15:
	v_cmp_ne_u32_e32 vcc, 0, v0
	s_waitcnt lgkmcnt(0)
	v_pk_mov_b32 v[6:7], s[16:17], s[16:17] op_sel:[0,1]
	ds_write_b64 v1, v[4:5]
	s_waitcnt lgkmcnt(0)
	s_barrier
	s_and_saveexec_b64 s[16:17], vcc
	s_cbranch_execz .LBB661_17
; %bb.16:
	v_add_u32_e32 v6, -8, v1
	ds_read_b64 v[6:7], v6
.LBB661_17:
	s_or_b64 exec, exec, s[16:17]
	s_lshl_b32 s5, s8, 10
	v_lshlrev_b32_e32 v12, 1, v0
	s_sub_i32 s5, s14, s5
	v_or_b32_e32 v10, 1, v12
	v_add_f64 v[8:9], v[2:3], v[4:5]
	v_cmp_gt_u32_e32 vcc, s5, v10
	v_cndmask_b32_e32 v11, v5, v9, vcc
	v_cndmask_b32_e32 v10, v4, v8, vcc
	s_waitcnt lgkmcnt(0)
	v_add_f64 v[6:7], v[2:3], v[6:7]
	v_cmp_gt_u32_e32 vcc, s5, v12
	v_cndmask_b32_e32 v7, v3, v7, vcc
	v_cndmask_b32_e32 v6, v2, v6, vcc
.LBB661_18:
	s_cbranch_execnz .LBB661_27
.LBB661_19:
	s_cmp_eq_u64 s[2:3], 1
	v_add_f64 v[10:11], v[2:3], v[4:5]
	v_cmp_ne_u32_e32 vcc, 0, v0
	s_cbranch_scc1 .LBB661_23
; %bb.20:
	v_pk_mov_b32 v[6:7], v[2:3], v[2:3] op_sel:[0,1]
	ds_write_b64 v1, v[4:5]
	s_waitcnt lgkmcnt(0)
	s_barrier
	s_and_saveexec_b64 s[2:3], vcc
	s_cbranch_execz .LBB661_22
; %bb.21:
	v_add_u32_e32 v6, -8, v1
	ds_read_b64 v[6:7], v6
	s_waitcnt lgkmcnt(0)
	v_add_f64 v[6:7], v[2:3], v[6:7]
.LBB661_22:
	s_or_b64 exec, exec, s[2:3]
	s_cbranch_execz .LBB661_24
	s_branch .LBB661_27
.LBB661_23:
                                        ; implicit-def: $vgpr6_vgpr7_vgpr8_vgpr9
.LBB661_24:
	v_lshlrev_b32_e32 v6, 1, v0
	v_or_b32_e32 v7, 1, v6
	v_cmp_gt_u32_e32 vcc, s14, v7
	v_cndmask_b32_e32 v11, v5, v11, vcc
	v_cndmask_b32_e32 v10, v4, v10, vcc
	v_cmp_ne_u32_e32 vcc, 0, v0
	v_cmp_gt_u32_e64 s[2:3], s14, v6
	s_and_b64 s[8:9], vcc, s[2:3]
	ds_write_b64 v1, v[4:5]
	s_waitcnt lgkmcnt(0)
	s_barrier
	s_and_saveexec_b64 s[2:3], s[8:9]
	s_cbranch_execz .LBB661_26
; %bb.25:
	v_add_u32_e32 v4, -8, v1
	ds_read_b64 v[4:5], v4
	s_waitcnt lgkmcnt(0)
	v_add_f64 v[2:3], v[2:3], v[4:5]
.LBB661_26:
	s_or_b64 exec, exec, s[2:3]
	v_pk_mov_b32 v[6:7], v[2:3], v[2:3] op_sel:[0,1]
.LBB661_27:
	s_add_u32 s7, s12, s10
	s_addc_u32 s8, s13, s11
	s_and_b64 vcc, exec, s[0:1]
	v_lshrrev_b32_e32 v8, 1, v0
	s_waitcnt lgkmcnt(0)
	s_barrier
	s_cbranch_vccz .LBB661_31
; %bb.28:
	v_and_b32_e32 v2, 0xf8, v8
	v_lshl_add_u32 v2, v0, 4, v2
	v_or_b32_e32 v9, 0x200, v0
	s_lshl_b32 s0, s6, 10
	s_mov_b32 s5, 0
	ds_write2_b64 v2, v[6:7], v[10:11] offset1:1
	v_lshrrev_b32_e32 v2, 5, v9
	s_sub_i32 s2, s14, s0
	s_lshl_b64 s[0:1], s[4:5], 3
	v_add_lshl_u32 v2, v2, v0, 3
	s_add_u32 s0, s7, s0
	s_waitcnt lgkmcnt(0)
	s_barrier
	ds_read_b64 v[2:3], v2 offset:4096
	s_addc_u32 s1, s8, s1
	v_mov_b32_e32 v5, s1
	v_add_co_u32_e32 v4, vcc, s0, v1
	v_addc_co_u32_e32 v5, vcc, 0, v5, vcc
	v_cmp_gt_u32_e32 vcc, s2, v0
	s_and_saveexec_b64 s[0:1], vcc
	s_cbranch_execz .LBB661_30
; %bb.29:
	v_lshrrev_b32_e32 v12, 5, v0
	v_add_lshl_u32 v12, v12, v0, 3
	ds_read_b64 v[12:13], v12
	s_waitcnt lgkmcnt(0)
	global_store_dwordx2 v[4:5], v[12:13], off
.LBB661_30:
	s_or_b64 exec, exec, s[0:1]
	v_cmp_gt_u32_e64 s[0:1], s2, v9
	s_branch .LBB661_33
.LBB661_31:
	s_mov_b64 s[0:1], 0
                                        ; implicit-def: $vgpr2_vgpr3
                                        ; implicit-def: $vgpr4_vgpr5
	s_cbranch_execz .LBB661_33
; %bb.32:
	s_waitcnt lgkmcnt(0)
	v_and_b32_e32 v2, 0xf8, v8
	v_lshl_add_u32 v2, v0, 4, v2
	s_mov_b32 s5, 0
	ds_write2_b64 v2, v[6:7], v[10:11] offset1:1
	v_lshrrev_b32_e32 v2, 5, v0
	v_or_b32_e32 v3, 0x200, v0
	s_lshl_b64 s[2:3], s[4:5], 3
	v_add_lshl_u32 v2, v2, v0, 3
	v_lshrrev_b32_e32 v3, 5, v3
	s_add_u32 s2, s7, s2
	s_waitcnt lgkmcnt(0)
	s_barrier
	v_add_lshl_u32 v0, v3, v0, 3
	ds_read_b64 v[6:7], v2
	ds_read_b64 v[2:3], v0 offset:4096
	s_addc_u32 s3, s8, s3
	v_mov_b32_e32 v0, s3
	v_add_co_u32_e32 v4, vcc, s2, v1
	v_addc_co_u32_e32 v5, vcc, 0, v0, vcc
	s_or_b64 s[0:1], s[0:1], exec
	s_waitcnt lgkmcnt(1)
	global_store_dwordx2 v1, v[6:7], s[2:3]
.LBB661_33:
	s_and_saveexec_b64 s[2:3], s[0:1]
	s_cbranch_execnz .LBB661_35
; %bb.34:
	s_endpgm
.LBB661_35:
	v_add_co_u32_e32 v0, vcc, 0x1000, v4
	v_addc_co_u32_e32 v1, vcc, 0, v5, vcc
	s_waitcnt lgkmcnt(0)
	global_store_dwordx2 v[0:1], v[2:3], off
	s_endpgm
	.section	.rodata,"a",@progbits
	.p2align	6, 0x0
	.amdhsa_kernel _ZN7rocprim17ROCPRIM_400000_NS6detail17trampoline_kernelINS0_14default_configENS1_35adjacent_difference_config_selectorILb1EdEEZNS1_24adjacent_difference_implIS3_Lb1ELb0EPKdPdN6thrust23THRUST_200600_302600_NS4plusIdEEEE10hipError_tPvRmT2_T3_mT4_P12ihipStream_tbEUlT_E_NS1_11comp_targetILNS1_3genE4ELNS1_11target_archE910ELNS1_3gpuE8ELNS1_3repE0EEENS1_30default_config_static_selectorELNS0_4arch9wavefront6targetE1EEEvT1_
		.amdhsa_group_segment_fixed_size 8448
		.amdhsa_private_segment_fixed_size 0
		.amdhsa_kernarg_size 56
		.amdhsa_user_sgpr_count 6
		.amdhsa_user_sgpr_private_segment_buffer 1
		.amdhsa_user_sgpr_dispatch_ptr 0
		.amdhsa_user_sgpr_queue_ptr 0
		.amdhsa_user_sgpr_kernarg_segment_ptr 1
		.amdhsa_user_sgpr_dispatch_id 0
		.amdhsa_user_sgpr_flat_scratch_init 0
		.amdhsa_user_sgpr_kernarg_preload_length 0
		.amdhsa_user_sgpr_kernarg_preload_offset 0
		.amdhsa_user_sgpr_private_segment_size 0
		.amdhsa_uses_dynamic_stack 0
		.amdhsa_system_sgpr_private_segment_wavefront_offset 0
		.amdhsa_system_sgpr_workgroup_id_x 1
		.amdhsa_system_sgpr_workgroup_id_y 0
		.amdhsa_system_sgpr_workgroup_id_z 0
		.amdhsa_system_sgpr_workgroup_info 0
		.amdhsa_system_vgpr_workitem_id 0
		.amdhsa_next_free_vgpr 14
		.amdhsa_next_free_sgpr 28
		.amdhsa_accum_offset 16
		.amdhsa_reserve_vcc 1
		.amdhsa_reserve_flat_scratch 0
		.amdhsa_float_round_mode_32 0
		.amdhsa_float_round_mode_16_64 0
		.amdhsa_float_denorm_mode_32 3
		.amdhsa_float_denorm_mode_16_64 3
		.amdhsa_dx10_clamp 1
		.amdhsa_ieee_mode 1
		.amdhsa_fp16_overflow 0
		.amdhsa_tg_split 0
		.amdhsa_exception_fp_ieee_invalid_op 0
		.amdhsa_exception_fp_denorm_src 0
		.amdhsa_exception_fp_ieee_div_zero 0
		.amdhsa_exception_fp_ieee_overflow 0
		.amdhsa_exception_fp_ieee_underflow 0
		.amdhsa_exception_fp_ieee_inexact 0
		.amdhsa_exception_int_div_zero 0
	.end_amdhsa_kernel
	.section	.text._ZN7rocprim17ROCPRIM_400000_NS6detail17trampoline_kernelINS0_14default_configENS1_35adjacent_difference_config_selectorILb1EdEEZNS1_24adjacent_difference_implIS3_Lb1ELb0EPKdPdN6thrust23THRUST_200600_302600_NS4plusIdEEEE10hipError_tPvRmT2_T3_mT4_P12ihipStream_tbEUlT_E_NS1_11comp_targetILNS1_3genE4ELNS1_11target_archE910ELNS1_3gpuE8ELNS1_3repE0EEENS1_30default_config_static_selectorELNS0_4arch9wavefront6targetE1EEEvT1_,"axG",@progbits,_ZN7rocprim17ROCPRIM_400000_NS6detail17trampoline_kernelINS0_14default_configENS1_35adjacent_difference_config_selectorILb1EdEEZNS1_24adjacent_difference_implIS3_Lb1ELb0EPKdPdN6thrust23THRUST_200600_302600_NS4plusIdEEEE10hipError_tPvRmT2_T3_mT4_P12ihipStream_tbEUlT_E_NS1_11comp_targetILNS1_3genE4ELNS1_11target_archE910ELNS1_3gpuE8ELNS1_3repE0EEENS1_30default_config_static_selectorELNS0_4arch9wavefront6targetE1EEEvT1_,comdat
.Lfunc_end661:
	.size	_ZN7rocprim17ROCPRIM_400000_NS6detail17trampoline_kernelINS0_14default_configENS1_35adjacent_difference_config_selectorILb1EdEEZNS1_24adjacent_difference_implIS3_Lb1ELb0EPKdPdN6thrust23THRUST_200600_302600_NS4plusIdEEEE10hipError_tPvRmT2_T3_mT4_P12ihipStream_tbEUlT_E_NS1_11comp_targetILNS1_3genE4ELNS1_11target_archE910ELNS1_3gpuE8ELNS1_3repE0EEENS1_30default_config_static_selectorELNS0_4arch9wavefront6targetE1EEEvT1_, .Lfunc_end661-_ZN7rocprim17ROCPRIM_400000_NS6detail17trampoline_kernelINS0_14default_configENS1_35adjacent_difference_config_selectorILb1EdEEZNS1_24adjacent_difference_implIS3_Lb1ELb0EPKdPdN6thrust23THRUST_200600_302600_NS4plusIdEEEE10hipError_tPvRmT2_T3_mT4_P12ihipStream_tbEUlT_E_NS1_11comp_targetILNS1_3genE4ELNS1_11target_archE910ELNS1_3gpuE8ELNS1_3repE0EEENS1_30default_config_static_selectorELNS0_4arch9wavefront6targetE1EEEvT1_
                                        ; -- End function
	.section	.AMDGPU.csdata,"",@progbits
; Kernel info:
; codeLenInByte = 1264
; NumSgprs: 32
; NumVgprs: 14
; NumAgprs: 0
; TotalNumVgprs: 14
; ScratchSize: 0
; MemoryBound: 0
; FloatMode: 240
; IeeeMode: 1
; LDSByteSize: 8448 bytes/workgroup (compile time only)
; SGPRBlocks: 3
; VGPRBlocks: 1
; NumSGPRsForWavesPerEU: 32
; NumVGPRsForWavesPerEU: 14
; AccumOffset: 16
; Occupancy: 8
; WaveLimiterHint : 1
; COMPUTE_PGM_RSRC2:SCRATCH_EN: 0
; COMPUTE_PGM_RSRC2:USER_SGPR: 6
; COMPUTE_PGM_RSRC2:TRAP_HANDLER: 0
; COMPUTE_PGM_RSRC2:TGID_X_EN: 1
; COMPUTE_PGM_RSRC2:TGID_Y_EN: 0
; COMPUTE_PGM_RSRC2:TGID_Z_EN: 0
; COMPUTE_PGM_RSRC2:TIDIG_COMP_CNT: 0
; COMPUTE_PGM_RSRC3_GFX90A:ACCUM_OFFSET: 3
; COMPUTE_PGM_RSRC3_GFX90A:TG_SPLIT: 0
	.section	.text._ZN7rocprim17ROCPRIM_400000_NS6detail17trampoline_kernelINS0_14default_configENS1_35adjacent_difference_config_selectorILb1EdEEZNS1_24adjacent_difference_implIS3_Lb1ELb0EPKdPdN6thrust23THRUST_200600_302600_NS4plusIdEEEE10hipError_tPvRmT2_T3_mT4_P12ihipStream_tbEUlT_E_NS1_11comp_targetILNS1_3genE3ELNS1_11target_archE908ELNS1_3gpuE7ELNS1_3repE0EEENS1_30default_config_static_selectorELNS0_4arch9wavefront6targetE1EEEvT1_,"axG",@progbits,_ZN7rocprim17ROCPRIM_400000_NS6detail17trampoline_kernelINS0_14default_configENS1_35adjacent_difference_config_selectorILb1EdEEZNS1_24adjacent_difference_implIS3_Lb1ELb0EPKdPdN6thrust23THRUST_200600_302600_NS4plusIdEEEE10hipError_tPvRmT2_T3_mT4_P12ihipStream_tbEUlT_E_NS1_11comp_targetILNS1_3genE3ELNS1_11target_archE908ELNS1_3gpuE7ELNS1_3repE0EEENS1_30default_config_static_selectorELNS0_4arch9wavefront6targetE1EEEvT1_,comdat
	.protected	_ZN7rocprim17ROCPRIM_400000_NS6detail17trampoline_kernelINS0_14default_configENS1_35adjacent_difference_config_selectorILb1EdEEZNS1_24adjacent_difference_implIS3_Lb1ELb0EPKdPdN6thrust23THRUST_200600_302600_NS4plusIdEEEE10hipError_tPvRmT2_T3_mT4_P12ihipStream_tbEUlT_E_NS1_11comp_targetILNS1_3genE3ELNS1_11target_archE908ELNS1_3gpuE7ELNS1_3repE0EEENS1_30default_config_static_selectorELNS0_4arch9wavefront6targetE1EEEvT1_ ; -- Begin function _ZN7rocprim17ROCPRIM_400000_NS6detail17trampoline_kernelINS0_14default_configENS1_35adjacent_difference_config_selectorILb1EdEEZNS1_24adjacent_difference_implIS3_Lb1ELb0EPKdPdN6thrust23THRUST_200600_302600_NS4plusIdEEEE10hipError_tPvRmT2_T3_mT4_P12ihipStream_tbEUlT_E_NS1_11comp_targetILNS1_3genE3ELNS1_11target_archE908ELNS1_3gpuE7ELNS1_3repE0EEENS1_30default_config_static_selectorELNS0_4arch9wavefront6targetE1EEEvT1_
	.globl	_ZN7rocprim17ROCPRIM_400000_NS6detail17trampoline_kernelINS0_14default_configENS1_35adjacent_difference_config_selectorILb1EdEEZNS1_24adjacent_difference_implIS3_Lb1ELb0EPKdPdN6thrust23THRUST_200600_302600_NS4plusIdEEEE10hipError_tPvRmT2_T3_mT4_P12ihipStream_tbEUlT_E_NS1_11comp_targetILNS1_3genE3ELNS1_11target_archE908ELNS1_3gpuE7ELNS1_3repE0EEENS1_30default_config_static_selectorELNS0_4arch9wavefront6targetE1EEEvT1_
	.p2align	8
	.type	_ZN7rocprim17ROCPRIM_400000_NS6detail17trampoline_kernelINS0_14default_configENS1_35adjacent_difference_config_selectorILb1EdEEZNS1_24adjacent_difference_implIS3_Lb1ELb0EPKdPdN6thrust23THRUST_200600_302600_NS4plusIdEEEE10hipError_tPvRmT2_T3_mT4_P12ihipStream_tbEUlT_E_NS1_11comp_targetILNS1_3genE3ELNS1_11target_archE908ELNS1_3gpuE7ELNS1_3repE0EEENS1_30default_config_static_selectorELNS0_4arch9wavefront6targetE1EEEvT1_,@function
_ZN7rocprim17ROCPRIM_400000_NS6detail17trampoline_kernelINS0_14default_configENS1_35adjacent_difference_config_selectorILb1EdEEZNS1_24adjacent_difference_implIS3_Lb1ELb0EPKdPdN6thrust23THRUST_200600_302600_NS4plusIdEEEE10hipError_tPvRmT2_T3_mT4_P12ihipStream_tbEUlT_E_NS1_11comp_targetILNS1_3genE3ELNS1_11target_archE908ELNS1_3gpuE7ELNS1_3repE0EEENS1_30default_config_static_selectorELNS0_4arch9wavefront6targetE1EEEvT1_: ; @_ZN7rocprim17ROCPRIM_400000_NS6detail17trampoline_kernelINS0_14default_configENS1_35adjacent_difference_config_selectorILb1EdEEZNS1_24adjacent_difference_implIS3_Lb1ELb0EPKdPdN6thrust23THRUST_200600_302600_NS4plusIdEEEE10hipError_tPvRmT2_T3_mT4_P12ihipStream_tbEUlT_E_NS1_11comp_targetILNS1_3genE3ELNS1_11target_archE908ELNS1_3gpuE7ELNS1_3repE0EEENS1_30default_config_static_selectorELNS0_4arch9wavefront6targetE1EEEvT1_
; %bb.0:
	.section	.rodata,"a",@progbits
	.p2align	6, 0x0
	.amdhsa_kernel _ZN7rocprim17ROCPRIM_400000_NS6detail17trampoline_kernelINS0_14default_configENS1_35adjacent_difference_config_selectorILb1EdEEZNS1_24adjacent_difference_implIS3_Lb1ELb0EPKdPdN6thrust23THRUST_200600_302600_NS4plusIdEEEE10hipError_tPvRmT2_T3_mT4_P12ihipStream_tbEUlT_E_NS1_11comp_targetILNS1_3genE3ELNS1_11target_archE908ELNS1_3gpuE7ELNS1_3repE0EEENS1_30default_config_static_selectorELNS0_4arch9wavefront6targetE1EEEvT1_
		.amdhsa_group_segment_fixed_size 0
		.amdhsa_private_segment_fixed_size 0
		.amdhsa_kernarg_size 56
		.amdhsa_user_sgpr_count 6
		.amdhsa_user_sgpr_private_segment_buffer 1
		.amdhsa_user_sgpr_dispatch_ptr 0
		.amdhsa_user_sgpr_queue_ptr 0
		.amdhsa_user_sgpr_kernarg_segment_ptr 1
		.amdhsa_user_sgpr_dispatch_id 0
		.amdhsa_user_sgpr_flat_scratch_init 0
		.amdhsa_user_sgpr_kernarg_preload_length 0
		.amdhsa_user_sgpr_kernarg_preload_offset 0
		.amdhsa_user_sgpr_private_segment_size 0
		.amdhsa_uses_dynamic_stack 0
		.amdhsa_system_sgpr_private_segment_wavefront_offset 0
		.amdhsa_system_sgpr_workgroup_id_x 1
		.amdhsa_system_sgpr_workgroup_id_y 0
		.amdhsa_system_sgpr_workgroup_id_z 0
		.amdhsa_system_sgpr_workgroup_info 0
		.amdhsa_system_vgpr_workitem_id 0
		.amdhsa_next_free_vgpr 1
		.amdhsa_next_free_sgpr 0
		.amdhsa_accum_offset 4
		.amdhsa_reserve_vcc 0
		.amdhsa_reserve_flat_scratch 0
		.amdhsa_float_round_mode_32 0
		.amdhsa_float_round_mode_16_64 0
		.amdhsa_float_denorm_mode_32 3
		.amdhsa_float_denorm_mode_16_64 3
		.amdhsa_dx10_clamp 1
		.amdhsa_ieee_mode 1
		.amdhsa_fp16_overflow 0
		.amdhsa_tg_split 0
		.amdhsa_exception_fp_ieee_invalid_op 0
		.amdhsa_exception_fp_denorm_src 0
		.amdhsa_exception_fp_ieee_div_zero 0
		.amdhsa_exception_fp_ieee_overflow 0
		.amdhsa_exception_fp_ieee_underflow 0
		.amdhsa_exception_fp_ieee_inexact 0
		.amdhsa_exception_int_div_zero 0
	.end_amdhsa_kernel
	.section	.text._ZN7rocprim17ROCPRIM_400000_NS6detail17trampoline_kernelINS0_14default_configENS1_35adjacent_difference_config_selectorILb1EdEEZNS1_24adjacent_difference_implIS3_Lb1ELb0EPKdPdN6thrust23THRUST_200600_302600_NS4plusIdEEEE10hipError_tPvRmT2_T3_mT4_P12ihipStream_tbEUlT_E_NS1_11comp_targetILNS1_3genE3ELNS1_11target_archE908ELNS1_3gpuE7ELNS1_3repE0EEENS1_30default_config_static_selectorELNS0_4arch9wavefront6targetE1EEEvT1_,"axG",@progbits,_ZN7rocprim17ROCPRIM_400000_NS6detail17trampoline_kernelINS0_14default_configENS1_35adjacent_difference_config_selectorILb1EdEEZNS1_24adjacent_difference_implIS3_Lb1ELb0EPKdPdN6thrust23THRUST_200600_302600_NS4plusIdEEEE10hipError_tPvRmT2_T3_mT4_P12ihipStream_tbEUlT_E_NS1_11comp_targetILNS1_3genE3ELNS1_11target_archE908ELNS1_3gpuE7ELNS1_3repE0EEENS1_30default_config_static_selectorELNS0_4arch9wavefront6targetE1EEEvT1_,comdat
.Lfunc_end662:
	.size	_ZN7rocprim17ROCPRIM_400000_NS6detail17trampoline_kernelINS0_14default_configENS1_35adjacent_difference_config_selectorILb1EdEEZNS1_24adjacent_difference_implIS3_Lb1ELb0EPKdPdN6thrust23THRUST_200600_302600_NS4plusIdEEEE10hipError_tPvRmT2_T3_mT4_P12ihipStream_tbEUlT_E_NS1_11comp_targetILNS1_3genE3ELNS1_11target_archE908ELNS1_3gpuE7ELNS1_3repE0EEENS1_30default_config_static_selectorELNS0_4arch9wavefront6targetE1EEEvT1_, .Lfunc_end662-_ZN7rocprim17ROCPRIM_400000_NS6detail17trampoline_kernelINS0_14default_configENS1_35adjacent_difference_config_selectorILb1EdEEZNS1_24adjacent_difference_implIS3_Lb1ELb0EPKdPdN6thrust23THRUST_200600_302600_NS4plusIdEEEE10hipError_tPvRmT2_T3_mT4_P12ihipStream_tbEUlT_E_NS1_11comp_targetILNS1_3genE3ELNS1_11target_archE908ELNS1_3gpuE7ELNS1_3repE0EEENS1_30default_config_static_selectorELNS0_4arch9wavefront6targetE1EEEvT1_
                                        ; -- End function
	.section	.AMDGPU.csdata,"",@progbits
; Kernel info:
; codeLenInByte = 0
; NumSgprs: 4
; NumVgprs: 0
; NumAgprs: 0
; TotalNumVgprs: 0
; ScratchSize: 0
; MemoryBound: 0
; FloatMode: 240
; IeeeMode: 1
; LDSByteSize: 0 bytes/workgroup (compile time only)
; SGPRBlocks: 0
; VGPRBlocks: 0
; NumSGPRsForWavesPerEU: 4
; NumVGPRsForWavesPerEU: 1
; AccumOffset: 4
; Occupancy: 8
; WaveLimiterHint : 0
; COMPUTE_PGM_RSRC2:SCRATCH_EN: 0
; COMPUTE_PGM_RSRC2:USER_SGPR: 6
; COMPUTE_PGM_RSRC2:TRAP_HANDLER: 0
; COMPUTE_PGM_RSRC2:TGID_X_EN: 1
; COMPUTE_PGM_RSRC2:TGID_Y_EN: 0
; COMPUTE_PGM_RSRC2:TGID_Z_EN: 0
; COMPUTE_PGM_RSRC2:TIDIG_COMP_CNT: 0
; COMPUTE_PGM_RSRC3_GFX90A:ACCUM_OFFSET: 0
; COMPUTE_PGM_RSRC3_GFX90A:TG_SPLIT: 0
	.section	.text._ZN7rocprim17ROCPRIM_400000_NS6detail17trampoline_kernelINS0_14default_configENS1_35adjacent_difference_config_selectorILb1EdEEZNS1_24adjacent_difference_implIS3_Lb1ELb0EPKdPdN6thrust23THRUST_200600_302600_NS4plusIdEEEE10hipError_tPvRmT2_T3_mT4_P12ihipStream_tbEUlT_E_NS1_11comp_targetILNS1_3genE2ELNS1_11target_archE906ELNS1_3gpuE6ELNS1_3repE0EEENS1_30default_config_static_selectorELNS0_4arch9wavefront6targetE1EEEvT1_,"axG",@progbits,_ZN7rocprim17ROCPRIM_400000_NS6detail17trampoline_kernelINS0_14default_configENS1_35adjacent_difference_config_selectorILb1EdEEZNS1_24adjacent_difference_implIS3_Lb1ELb0EPKdPdN6thrust23THRUST_200600_302600_NS4plusIdEEEE10hipError_tPvRmT2_T3_mT4_P12ihipStream_tbEUlT_E_NS1_11comp_targetILNS1_3genE2ELNS1_11target_archE906ELNS1_3gpuE6ELNS1_3repE0EEENS1_30default_config_static_selectorELNS0_4arch9wavefront6targetE1EEEvT1_,comdat
	.protected	_ZN7rocprim17ROCPRIM_400000_NS6detail17trampoline_kernelINS0_14default_configENS1_35adjacent_difference_config_selectorILb1EdEEZNS1_24adjacent_difference_implIS3_Lb1ELb0EPKdPdN6thrust23THRUST_200600_302600_NS4plusIdEEEE10hipError_tPvRmT2_T3_mT4_P12ihipStream_tbEUlT_E_NS1_11comp_targetILNS1_3genE2ELNS1_11target_archE906ELNS1_3gpuE6ELNS1_3repE0EEENS1_30default_config_static_selectorELNS0_4arch9wavefront6targetE1EEEvT1_ ; -- Begin function _ZN7rocprim17ROCPRIM_400000_NS6detail17trampoline_kernelINS0_14default_configENS1_35adjacent_difference_config_selectorILb1EdEEZNS1_24adjacent_difference_implIS3_Lb1ELb0EPKdPdN6thrust23THRUST_200600_302600_NS4plusIdEEEE10hipError_tPvRmT2_T3_mT4_P12ihipStream_tbEUlT_E_NS1_11comp_targetILNS1_3genE2ELNS1_11target_archE906ELNS1_3gpuE6ELNS1_3repE0EEENS1_30default_config_static_selectorELNS0_4arch9wavefront6targetE1EEEvT1_
	.globl	_ZN7rocprim17ROCPRIM_400000_NS6detail17trampoline_kernelINS0_14default_configENS1_35adjacent_difference_config_selectorILb1EdEEZNS1_24adjacent_difference_implIS3_Lb1ELb0EPKdPdN6thrust23THRUST_200600_302600_NS4plusIdEEEE10hipError_tPvRmT2_T3_mT4_P12ihipStream_tbEUlT_E_NS1_11comp_targetILNS1_3genE2ELNS1_11target_archE906ELNS1_3gpuE6ELNS1_3repE0EEENS1_30default_config_static_selectorELNS0_4arch9wavefront6targetE1EEEvT1_
	.p2align	8
	.type	_ZN7rocprim17ROCPRIM_400000_NS6detail17trampoline_kernelINS0_14default_configENS1_35adjacent_difference_config_selectorILb1EdEEZNS1_24adjacent_difference_implIS3_Lb1ELb0EPKdPdN6thrust23THRUST_200600_302600_NS4plusIdEEEE10hipError_tPvRmT2_T3_mT4_P12ihipStream_tbEUlT_E_NS1_11comp_targetILNS1_3genE2ELNS1_11target_archE906ELNS1_3gpuE6ELNS1_3repE0EEENS1_30default_config_static_selectorELNS0_4arch9wavefront6targetE1EEEvT1_,@function
_ZN7rocprim17ROCPRIM_400000_NS6detail17trampoline_kernelINS0_14default_configENS1_35adjacent_difference_config_selectorILb1EdEEZNS1_24adjacent_difference_implIS3_Lb1ELb0EPKdPdN6thrust23THRUST_200600_302600_NS4plusIdEEEE10hipError_tPvRmT2_T3_mT4_P12ihipStream_tbEUlT_E_NS1_11comp_targetILNS1_3genE2ELNS1_11target_archE906ELNS1_3gpuE6ELNS1_3repE0EEENS1_30default_config_static_selectorELNS0_4arch9wavefront6targetE1EEEvT1_: ; @_ZN7rocprim17ROCPRIM_400000_NS6detail17trampoline_kernelINS0_14default_configENS1_35adjacent_difference_config_selectorILb1EdEEZNS1_24adjacent_difference_implIS3_Lb1ELb0EPKdPdN6thrust23THRUST_200600_302600_NS4plusIdEEEE10hipError_tPvRmT2_T3_mT4_P12ihipStream_tbEUlT_E_NS1_11comp_targetILNS1_3genE2ELNS1_11target_archE906ELNS1_3gpuE6ELNS1_3repE0EEENS1_30default_config_static_selectorELNS0_4arch9wavefront6targetE1EEEvT1_
; %bb.0:
	.section	.rodata,"a",@progbits
	.p2align	6, 0x0
	.amdhsa_kernel _ZN7rocprim17ROCPRIM_400000_NS6detail17trampoline_kernelINS0_14default_configENS1_35adjacent_difference_config_selectorILb1EdEEZNS1_24adjacent_difference_implIS3_Lb1ELb0EPKdPdN6thrust23THRUST_200600_302600_NS4plusIdEEEE10hipError_tPvRmT2_T3_mT4_P12ihipStream_tbEUlT_E_NS1_11comp_targetILNS1_3genE2ELNS1_11target_archE906ELNS1_3gpuE6ELNS1_3repE0EEENS1_30default_config_static_selectorELNS0_4arch9wavefront6targetE1EEEvT1_
		.amdhsa_group_segment_fixed_size 0
		.amdhsa_private_segment_fixed_size 0
		.amdhsa_kernarg_size 56
		.amdhsa_user_sgpr_count 6
		.amdhsa_user_sgpr_private_segment_buffer 1
		.amdhsa_user_sgpr_dispatch_ptr 0
		.amdhsa_user_sgpr_queue_ptr 0
		.amdhsa_user_sgpr_kernarg_segment_ptr 1
		.amdhsa_user_sgpr_dispatch_id 0
		.amdhsa_user_sgpr_flat_scratch_init 0
		.amdhsa_user_sgpr_kernarg_preload_length 0
		.amdhsa_user_sgpr_kernarg_preload_offset 0
		.amdhsa_user_sgpr_private_segment_size 0
		.amdhsa_uses_dynamic_stack 0
		.amdhsa_system_sgpr_private_segment_wavefront_offset 0
		.amdhsa_system_sgpr_workgroup_id_x 1
		.amdhsa_system_sgpr_workgroup_id_y 0
		.amdhsa_system_sgpr_workgroup_id_z 0
		.amdhsa_system_sgpr_workgroup_info 0
		.amdhsa_system_vgpr_workitem_id 0
		.amdhsa_next_free_vgpr 1
		.amdhsa_next_free_sgpr 0
		.amdhsa_accum_offset 4
		.amdhsa_reserve_vcc 0
		.amdhsa_reserve_flat_scratch 0
		.amdhsa_float_round_mode_32 0
		.amdhsa_float_round_mode_16_64 0
		.amdhsa_float_denorm_mode_32 3
		.amdhsa_float_denorm_mode_16_64 3
		.amdhsa_dx10_clamp 1
		.amdhsa_ieee_mode 1
		.amdhsa_fp16_overflow 0
		.amdhsa_tg_split 0
		.amdhsa_exception_fp_ieee_invalid_op 0
		.amdhsa_exception_fp_denorm_src 0
		.amdhsa_exception_fp_ieee_div_zero 0
		.amdhsa_exception_fp_ieee_overflow 0
		.amdhsa_exception_fp_ieee_underflow 0
		.amdhsa_exception_fp_ieee_inexact 0
		.amdhsa_exception_int_div_zero 0
	.end_amdhsa_kernel
	.section	.text._ZN7rocprim17ROCPRIM_400000_NS6detail17trampoline_kernelINS0_14default_configENS1_35adjacent_difference_config_selectorILb1EdEEZNS1_24adjacent_difference_implIS3_Lb1ELb0EPKdPdN6thrust23THRUST_200600_302600_NS4plusIdEEEE10hipError_tPvRmT2_T3_mT4_P12ihipStream_tbEUlT_E_NS1_11comp_targetILNS1_3genE2ELNS1_11target_archE906ELNS1_3gpuE6ELNS1_3repE0EEENS1_30default_config_static_selectorELNS0_4arch9wavefront6targetE1EEEvT1_,"axG",@progbits,_ZN7rocprim17ROCPRIM_400000_NS6detail17trampoline_kernelINS0_14default_configENS1_35adjacent_difference_config_selectorILb1EdEEZNS1_24adjacent_difference_implIS3_Lb1ELb0EPKdPdN6thrust23THRUST_200600_302600_NS4plusIdEEEE10hipError_tPvRmT2_T3_mT4_P12ihipStream_tbEUlT_E_NS1_11comp_targetILNS1_3genE2ELNS1_11target_archE906ELNS1_3gpuE6ELNS1_3repE0EEENS1_30default_config_static_selectorELNS0_4arch9wavefront6targetE1EEEvT1_,comdat
.Lfunc_end663:
	.size	_ZN7rocprim17ROCPRIM_400000_NS6detail17trampoline_kernelINS0_14default_configENS1_35adjacent_difference_config_selectorILb1EdEEZNS1_24adjacent_difference_implIS3_Lb1ELb0EPKdPdN6thrust23THRUST_200600_302600_NS4plusIdEEEE10hipError_tPvRmT2_T3_mT4_P12ihipStream_tbEUlT_E_NS1_11comp_targetILNS1_3genE2ELNS1_11target_archE906ELNS1_3gpuE6ELNS1_3repE0EEENS1_30default_config_static_selectorELNS0_4arch9wavefront6targetE1EEEvT1_, .Lfunc_end663-_ZN7rocprim17ROCPRIM_400000_NS6detail17trampoline_kernelINS0_14default_configENS1_35adjacent_difference_config_selectorILb1EdEEZNS1_24adjacent_difference_implIS3_Lb1ELb0EPKdPdN6thrust23THRUST_200600_302600_NS4plusIdEEEE10hipError_tPvRmT2_T3_mT4_P12ihipStream_tbEUlT_E_NS1_11comp_targetILNS1_3genE2ELNS1_11target_archE906ELNS1_3gpuE6ELNS1_3repE0EEENS1_30default_config_static_selectorELNS0_4arch9wavefront6targetE1EEEvT1_
                                        ; -- End function
	.section	.AMDGPU.csdata,"",@progbits
; Kernel info:
; codeLenInByte = 0
; NumSgprs: 4
; NumVgprs: 0
; NumAgprs: 0
; TotalNumVgprs: 0
; ScratchSize: 0
; MemoryBound: 0
; FloatMode: 240
; IeeeMode: 1
; LDSByteSize: 0 bytes/workgroup (compile time only)
; SGPRBlocks: 0
; VGPRBlocks: 0
; NumSGPRsForWavesPerEU: 4
; NumVGPRsForWavesPerEU: 1
; AccumOffset: 4
; Occupancy: 8
; WaveLimiterHint : 0
; COMPUTE_PGM_RSRC2:SCRATCH_EN: 0
; COMPUTE_PGM_RSRC2:USER_SGPR: 6
; COMPUTE_PGM_RSRC2:TRAP_HANDLER: 0
; COMPUTE_PGM_RSRC2:TGID_X_EN: 1
; COMPUTE_PGM_RSRC2:TGID_Y_EN: 0
; COMPUTE_PGM_RSRC2:TGID_Z_EN: 0
; COMPUTE_PGM_RSRC2:TIDIG_COMP_CNT: 0
; COMPUTE_PGM_RSRC3_GFX90A:ACCUM_OFFSET: 0
; COMPUTE_PGM_RSRC3_GFX90A:TG_SPLIT: 0
	.section	.text._ZN7rocprim17ROCPRIM_400000_NS6detail17trampoline_kernelINS0_14default_configENS1_35adjacent_difference_config_selectorILb1EdEEZNS1_24adjacent_difference_implIS3_Lb1ELb0EPKdPdN6thrust23THRUST_200600_302600_NS4plusIdEEEE10hipError_tPvRmT2_T3_mT4_P12ihipStream_tbEUlT_E_NS1_11comp_targetILNS1_3genE9ELNS1_11target_archE1100ELNS1_3gpuE3ELNS1_3repE0EEENS1_30default_config_static_selectorELNS0_4arch9wavefront6targetE1EEEvT1_,"axG",@progbits,_ZN7rocprim17ROCPRIM_400000_NS6detail17trampoline_kernelINS0_14default_configENS1_35adjacent_difference_config_selectorILb1EdEEZNS1_24adjacent_difference_implIS3_Lb1ELb0EPKdPdN6thrust23THRUST_200600_302600_NS4plusIdEEEE10hipError_tPvRmT2_T3_mT4_P12ihipStream_tbEUlT_E_NS1_11comp_targetILNS1_3genE9ELNS1_11target_archE1100ELNS1_3gpuE3ELNS1_3repE0EEENS1_30default_config_static_selectorELNS0_4arch9wavefront6targetE1EEEvT1_,comdat
	.protected	_ZN7rocprim17ROCPRIM_400000_NS6detail17trampoline_kernelINS0_14default_configENS1_35adjacent_difference_config_selectorILb1EdEEZNS1_24adjacent_difference_implIS3_Lb1ELb0EPKdPdN6thrust23THRUST_200600_302600_NS4plusIdEEEE10hipError_tPvRmT2_T3_mT4_P12ihipStream_tbEUlT_E_NS1_11comp_targetILNS1_3genE9ELNS1_11target_archE1100ELNS1_3gpuE3ELNS1_3repE0EEENS1_30default_config_static_selectorELNS0_4arch9wavefront6targetE1EEEvT1_ ; -- Begin function _ZN7rocprim17ROCPRIM_400000_NS6detail17trampoline_kernelINS0_14default_configENS1_35adjacent_difference_config_selectorILb1EdEEZNS1_24adjacent_difference_implIS3_Lb1ELb0EPKdPdN6thrust23THRUST_200600_302600_NS4plusIdEEEE10hipError_tPvRmT2_T3_mT4_P12ihipStream_tbEUlT_E_NS1_11comp_targetILNS1_3genE9ELNS1_11target_archE1100ELNS1_3gpuE3ELNS1_3repE0EEENS1_30default_config_static_selectorELNS0_4arch9wavefront6targetE1EEEvT1_
	.globl	_ZN7rocprim17ROCPRIM_400000_NS6detail17trampoline_kernelINS0_14default_configENS1_35adjacent_difference_config_selectorILb1EdEEZNS1_24adjacent_difference_implIS3_Lb1ELb0EPKdPdN6thrust23THRUST_200600_302600_NS4plusIdEEEE10hipError_tPvRmT2_T3_mT4_P12ihipStream_tbEUlT_E_NS1_11comp_targetILNS1_3genE9ELNS1_11target_archE1100ELNS1_3gpuE3ELNS1_3repE0EEENS1_30default_config_static_selectorELNS0_4arch9wavefront6targetE1EEEvT1_
	.p2align	8
	.type	_ZN7rocprim17ROCPRIM_400000_NS6detail17trampoline_kernelINS0_14default_configENS1_35adjacent_difference_config_selectorILb1EdEEZNS1_24adjacent_difference_implIS3_Lb1ELb0EPKdPdN6thrust23THRUST_200600_302600_NS4plusIdEEEE10hipError_tPvRmT2_T3_mT4_P12ihipStream_tbEUlT_E_NS1_11comp_targetILNS1_3genE9ELNS1_11target_archE1100ELNS1_3gpuE3ELNS1_3repE0EEENS1_30default_config_static_selectorELNS0_4arch9wavefront6targetE1EEEvT1_,@function
_ZN7rocprim17ROCPRIM_400000_NS6detail17trampoline_kernelINS0_14default_configENS1_35adjacent_difference_config_selectorILb1EdEEZNS1_24adjacent_difference_implIS3_Lb1ELb0EPKdPdN6thrust23THRUST_200600_302600_NS4plusIdEEEE10hipError_tPvRmT2_T3_mT4_P12ihipStream_tbEUlT_E_NS1_11comp_targetILNS1_3genE9ELNS1_11target_archE1100ELNS1_3gpuE3ELNS1_3repE0EEENS1_30default_config_static_selectorELNS0_4arch9wavefront6targetE1EEEvT1_: ; @_ZN7rocprim17ROCPRIM_400000_NS6detail17trampoline_kernelINS0_14default_configENS1_35adjacent_difference_config_selectorILb1EdEEZNS1_24adjacent_difference_implIS3_Lb1ELb0EPKdPdN6thrust23THRUST_200600_302600_NS4plusIdEEEE10hipError_tPvRmT2_T3_mT4_P12ihipStream_tbEUlT_E_NS1_11comp_targetILNS1_3genE9ELNS1_11target_archE1100ELNS1_3gpuE3ELNS1_3repE0EEENS1_30default_config_static_selectorELNS0_4arch9wavefront6targetE1EEEvT1_
; %bb.0:
	.section	.rodata,"a",@progbits
	.p2align	6, 0x0
	.amdhsa_kernel _ZN7rocprim17ROCPRIM_400000_NS6detail17trampoline_kernelINS0_14default_configENS1_35adjacent_difference_config_selectorILb1EdEEZNS1_24adjacent_difference_implIS3_Lb1ELb0EPKdPdN6thrust23THRUST_200600_302600_NS4plusIdEEEE10hipError_tPvRmT2_T3_mT4_P12ihipStream_tbEUlT_E_NS1_11comp_targetILNS1_3genE9ELNS1_11target_archE1100ELNS1_3gpuE3ELNS1_3repE0EEENS1_30default_config_static_selectorELNS0_4arch9wavefront6targetE1EEEvT1_
		.amdhsa_group_segment_fixed_size 0
		.amdhsa_private_segment_fixed_size 0
		.amdhsa_kernarg_size 56
		.amdhsa_user_sgpr_count 6
		.amdhsa_user_sgpr_private_segment_buffer 1
		.amdhsa_user_sgpr_dispatch_ptr 0
		.amdhsa_user_sgpr_queue_ptr 0
		.amdhsa_user_sgpr_kernarg_segment_ptr 1
		.amdhsa_user_sgpr_dispatch_id 0
		.amdhsa_user_sgpr_flat_scratch_init 0
		.amdhsa_user_sgpr_kernarg_preload_length 0
		.amdhsa_user_sgpr_kernarg_preload_offset 0
		.amdhsa_user_sgpr_private_segment_size 0
		.amdhsa_uses_dynamic_stack 0
		.amdhsa_system_sgpr_private_segment_wavefront_offset 0
		.amdhsa_system_sgpr_workgroup_id_x 1
		.amdhsa_system_sgpr_workgroup_id_y 0
		.amdhsa_system_sgpr_workgroup_id_z 0
		.amdhsa_system_sgpr_workgroup_info 0
		.amdhsa_system_vgpr_workitem_id 0
		.amdhsa_next_free_vgpr 1
		.amdhsa_next_free_sgpr 0
		.amdhsa_accum_offset 4
		.amdhsa_reserve_vcc 0
		.amdhsa_reserve_flat_scratch 0
		.amdhsa_float_round_mode_32 0
		.amdhsa_float_round_mode_16_64 0
		.amdhsa_float_denorm_mode_32 3
		.amdhsa_float_denorm_mode_16_64 3
		.amdhsa_dx10_clamp 1
		.amdhsa_ieee_mode 1
		.amdhsa_fp16_overflow 0
		.amdhsa_tg_split 0
		.amdhsa_exception_fp_ieee_invalid_op 0
		.amdhsa_exception_fp_denorm_src 0
		.amdhsa_exception_fp_ieee_div_zero 0
		.amdhsa_exception_fp_ieee_overflow 0
		.amdhsa_exception_fp_ieee_underflow 0
		.amdhsa_exception_fp_ieee_inexact 0
		.amdhsa_exception_int_div_zero 0
	.end_amdhsa_kernel
	.section	.text._ZN7rocprim17ROCPRIM_400000_NS6detail17trampoline_kernelINS0_14default_configENS1_35adjacent_difference_config_selectorILb1EdEEZNS1_24adjacent_difference_implIS3_Lb1ELb0EPKdPdN6thrust23THRUST_200600_302600_NS4plusIdEEEE10hipError_tPvRmT2_T3_mT4_P12ihipStream_tbEUlT_E_NS1_11comp_targetILNS1_3genE9ELNS1_11target_archE1100ELNS1_3gpuE3ELNS1_3repE0EEENS1_30default_config_static_selectorELNS0_4arch9wavefront6targetE1EEEvT1_,"axG",@progbits,_ZN7rocprim17ROCPRIM_400000_NS6detail17trampoline_kernelINS0_14default_configENS1_35adjacent_difference_config_selectorILb1EdEEZNS1_24adjacent_difference_implIS3_Lb1ELb0EPKdPdN6thrust23THRUST_200600_302600_NS4plusIdEEEE10hipError_tPvRmT2_T3_mT4_P12ihipStream_tbEUlT_E_NS1_11comp_targetILNS1_3genE9ELNS1_11target_archE1100ELNS1_3gpuE3ELNS1_3repE0EEENS1_30default_config_static_selectorELNS0_4arch9wavefront6targetE1EEEvT1_,comdat
.Lfunc_end664:
	.size	_ZN7rocprim17ROCPRIM_400000_NS6detail17trampoline_kernelINS0_14default_configENS1_35adjacent_difference_config_selectorILb1EdEEZNS1_24adjacent_difference_implIS3_Lb1ELb0EPKdPdN6thrust23THRUST_200600_302600_NS4plusIdEEEE10hipError_tPvRmT2_T3_mT4_P12ihipStream_tbEUlT_E_NS1_11comp_targetILNS1_3genE9ELNS1_11target_archE1100ELNS1_3gpuE3ELNS1_3repE0EEENS1_30default_config_static_selectorELNS0_4arch9wavefront6targetE1EEEvT1_, .Lfunc_end664-_ZN7rocprim17ROCPRIM_400000_NS6detail17trampoline_kernelINS0_14default_configENS1_35adjacent_difference_config_selectorILb1EdEEZNS1_24adjacent_difference_implIS3_Lb1ELb0EPKdPdN6thrust23THRUST_200600_302600_NS4plusIdEEEE10hipError_tPvRmT2_T3_mT4_P12ihipStream_tbEUlT_E_NS1_11comp_targetILNS1_3genE9ELNS1_11target_archE1100ELNS1_3gpuE3ELNS1_3repE0EEENS1_30default_config_static_selectorELNS0_4arch9wavefront6targetE1EEEvT1_
                                        ; -- End function
	.section	.AMDGPU.csdata,"",@progbits
; Kernel info:
; codeLenInByte = 0
; NumSgprs: 4
; NumVgprs: 0
; NumAgprs: 0
; TotalNumVgprs: 0
; ScratchSize: 0
; MemoryBound: 0
; FloatMode: 240
; IeeeMode: 1
; LDSByteSize: 0 bytes/workgroup (compile time only)
; SGPRBlocks: 0
; VGPRBlocks: 0
; NumSGPRsForWavesPerEU: 4
; NumVGPRsForWavesPerEU: 1
; AccumOffset: 4
; Occupancy: 8
; WaveLimiterHint : 0
; COMPUTE_PGM_RSRC2:SCRATCH_EN: 0
; COMPUTE_PGM_RSRC2:USER_SGPR: 6
; COMPUTE_PGM_RSRC2:TRAP_HANDLER: 0
; COMPUTE_PGM_RSRC2:TGID_X_EN: 1
; COMPUTE_PGM_RSRC2:TGID_Y_EN: 0
; COMPUTE_PGM_RSRC2:TGID_Z_EN: 0
; COMPUTE_PGM_RSRC2:TIDIG_COMP_CNT: 0
; COMPUTE_PGM_RSRC3_GFX90A:ACCUM_OFFSET: 0
; COMPUTE_PGM_RSRC3_GFX90A:TG_SPLIT: 0
	.section	.text._ZN7rocprim17ROCPRIM_400000_NS6detail17trampoline_kernelINS0_14default_configENS1_35adjacent_difference_config_selectorILb1EdEEZNS1_24adjacent_difference_implIS3_Lb1ELb0EPKdPdN6thrust23THRUST_200600_302600_NS4plusIdEEEE10hipError_tPvRmT2_T3_mT4_P12ihipStream_tbEUlT_E_NS1_11comp_targetILNS1_3genE8ELNS1_11target_archE1030ELNS1_3gpuE2ELNS1_3repE0EEENS1_30default_config_static_selectorELNS0_4arch9wavefront6targetE1EEEvT1_,"axG",@progbits,_ZN7rocprim17ROCPRIM_400000_NS6detail17trampoline_kernelINS0_14default_configENS1_35adjacent_difference_config_selectorILb1EdEEZNS1_24adjacent_difference_implIS3_Lb1ELb0EPKdPdN6thrust23THRUST_200600_302600_NS4plusIdEEEE10hipError_tPvRmT2_T3_mT4_P12ihipStream_tbEUlT_E_NS1_11comp_targetILNS1_3genE8ELNS1_11target_archE1030ELNS1_3gpuE2ELNS1_3repE0EEENS1_30default_config_static_selectorELNS0_4arch9wavefront6targetE1EEEvT1_,comdat
	.protected	_ZN7rocprim17ROCPRIM_400000_NS6detail17trampoline_kernelINS0_14default_configENS1_35adjacent_difference_config_selectorILb1EdEEZNS1_24adjacent_difference_implIS3_Lb1ELb0EPKdPdN6thrust23THRUST_200600_302600_NS4plusIdEEEE10hipError_tPvRmT2_T3_mT4_P12ihipStream_tbEUlT_E_NS1_11comp_targetILNS1_3genE8ELNS1_11target_archE1030ELNS1_3gpuE2ELNS1_3repE0EEENS1_30default_config_static_selectorELNS0_4arch9wavefront6targetE1EEEvT1_ ; -- Begin function _ZN7rocprim17ROCPRIM_400000_NS6detail17trampoline_kernelINS0_14default_configENS1_35adjacent_difference_config_selectorILb1EdEEZNS1_24adjacent_difference_implIS3_Lb1ELb0EPKdPdN6thrust23THRUST_200600_302600_NS4plusIdEEEE10hipError_tPvRmT2_T3_mT4_P12ihipStream_tbEUlT_E_NS1_11comp_targetILNS1_3genE8ELNS1_11target_archE1030ELNS1_3gpuE2ELNS1_3repE0EEENS1_30default_config_static_selectorELNS0_4arch9wavefront6targetE1EEEvT1_
	.globl	_ZN7rocprim17ROCPRIM_400000_NS6detail17trampoline_kernelINS0_14default_configENS1_35adjacent_difference_config_selectorILb1EdEEZNS1_24adjacent_difference_implIS3_Lb1ELb0EPKdPdN6thrust23THRUST_200600_302600_NS4plusIdEEEE10hipError_tPvRmT2_T3_mT4_P12ihipStream_tbEUlT_E_NS1_11comp_targetILNS1_3genE8ELNS1_11target_archE1030ELNS1_3gpuE2ELNS1_3repE0EEENS1_30default_config_static_selectorELNS0_4arch9wavefront6targetE1EEEvT1_
	.p2align	8
	.type	_ZN7rocprim17ROCPRIM_400000_NS6detail17trampoline_kernelINS0_14default_configENS1_35adjacent_difference_config_selectorILb1EdEEZNS1_24adjacent_difference_implIS3_Lb1ELb0EPKdPdN6thrust23THRUST_200600_302600_NS4plusIdEEEE10hipError_tPvRmT2_T3_mT4_P12ihipStream_tbEUlT_E_NS1_11comp_targetILNS1_3genE8ELNS1_11target_archE1030ELNS1_3gpuE2ELNS1_3repE0EEENS1_30default_config_static_selectorELNS0_4arch9wavefront6targetE1EEEvT1_,@function
_ZN7rocprim17ROCPRIM_400000_NS6detail17trampoline_kernelINS0_14default_configENS1_35adjacent_difference_config_selectorILb1EdEEZNS1_24adjacent_difference_implIS3_Lb1ELb0EPKdPdN6thrust23THRUST_200600_302600_NS4plusIdEEEE10hipError_tPvRmT2_T3_mT4_P12ihipStream_tbEUlT_E_NS1_11comp_targetILNS1_3genE8ELNS1_11target_archE1030ELNS1_3gpuE2ELNS1_3repE0EEENS1_30default_config_static_selectorELNS0_4arch9wavefront6targetE1EEEvT1_: ; @_ZN7rocprim17ROCPRIM_400000_NS6detail17trampoline_kernelINS0_14default_configENS1_35adjacent_difference_config_selectorILb1EdEEZNS1_24adjacent_difference_implIS3_Lb1ELb0EPKdPdN6thrust23THRUST_200600_302600_NS4plusIdEEEE10hipError_tPvRmT2_T3_mT4_P12ihipStream_tbEUlT_E_NS1_11comp_targetILNS1_3genE8ELNS1_11target_archE1030ELNS1_3gpuE2ELNS1_3repE0EEENS1_30default_config_static_selectorELNS0_4arch9wavefront6targetE1EEEvT1_
; %bb.0:
	.section	.rodata,"a",@progbits
	.p2align	6, 0x0
	.amdhsa_kernel _ZN7rocprim17ROCPRIM_400000_NS6detail17trampoline_kernelINS0_14default_configENS1_35adjacent_difference_config_selectorILb1EdEEZNS1_24adjacent_difference_implIS3_Lb1ELb0EPKdPdN6thrust23THRUST_200600_302600_NS4plusIdEEEE10hipError_tPvRmT2_T3_mT4_P12ihipStream_tbEUlT_E_NS1_11comp_targetILNS1_3genE8ELNS1_11target_archE1030ELNS1_3gpuE2ELNS1_3repE0EEENS1_30default_config_static_selectorELNS0_4arch9wavefront6targetE1EEEvT1_
		.amdhsa_group_segment_fixed_size 0
		.amdhsa_private_segment_fixed_size 0
		.amdhsa_kernarg_size 56
		.amdhsa_user_sgpr_count 6
		.amdhsa_user_sgpr_private_segment_buffer 1
		.amdhsa_user_sgpr_dispatch_ptr 0
		.amdhsa_user_sgpr_queue_ptr 0
		.amdhsa_user_sgpr_kernarg_segment_ptr 1
		.amdhsa_user_sgpr_dispatch_id 0
		.amdhsa_user_sgpr_flat_scratch_init 0
		.amdhsa_user_sgpr_kernarg_preload_length 0
		.amdhsa_user_sgpr_kernarg_preload_offset 0
		.amdhsa_user_sgpr_private_segment_size 0
		.amdhsa_uses_dynamic_stack 0
		.amdhsa_system_sgpr_private_segment_wavefront_offset 0
		.amdhsa_system_sgpr_workgroup_id_x 1
		.amdhsa_system_sgpr_workgroup_id_y 0
		.amdhsa_system_sgpr_workgroup_id_z 0
		.amdhsa_system_sgpr_workgroup_info 0
		.amdhsa_system_vgpr_workitem_id 0
		.amdhsa_next_free_vgpr 1
		.amdhsa_next_free_sgpr 0
		.amdhsa_accum_offset 4
		.amdhsa_reserve_vcc 0
		.amdhsa_reserve_flat_scratch 0
		.amdhsa_float_round_mode_32 0
		.amdhsa_float_round_mode_16_64 0
		.amdhsa_float_denorm_mode_32 3
		.amdhsa_float_denorm_mode_16_64 3
		.amdhsa_dx10_clamp 1
		.amdhsa_ieee_mode 1
		.amdhsa_fp16_overflow 0
		.amdhsa_tg_split 0
		.amdhsa_exception_fp_ieee_invalid_op 0
		.amdhsa_exception_fp_denorm_src 0
		.amdhsa_exception_fp_ieee_div_zero 0
		.amdhsa_exception_fp_ieee_overflow 0
		.amdhsa_exception_fp_ieee_underflow 0
		.amdhsa_exception_fp_ieee_inexact 0
		.amdhsa_exception_int_div_zero 0
	.end_amdhsa_kernel
	.section	.text._ZN7rocprim17ROCPRIM_400000_NS6detail17trampoline_kernelINS0_14default_configENS1_35adjacent_difference_config_selectorILb1EdEEZNS1_24adjacent_difference_implIS3_Lb1ELb0EPKdPdN6thrust23THRUST_200600_302600_NS4plusIdEEEE10hipError_tPvRmT2_T3_mT4_P12ihipStream_tbEUlT_E_NS1_11comp_targetILNS1_3genE8ELNS1_11target_archE1030ELNS1_3gpuE2ELNS1_3repE0EEENS1_30default_config_static_selectorELNS0_4arch9wavefront6targetE1EEEvT1_,"axG",@progbits,_ZN7rocprim17ROCPRIM_400000_NS6detail17trampoline_kernelINS0_14default_configENS1_35adjacent_difference_config_selectorILb1EdEEZNS1_24adjacent_difference_implIS3_Lb1ELb0EPKdPdN6thrust23THRUST_200600_302600_NS4plusIdEEEE10hipError_tPvRmT2_T3_mT4_P12ihipStream_tbEUlT_E_NS1_11comp_targetILNS1_3genE8ELNS1_11target_archE1030ELNS1_3gpuE2ELNS1_3repE0EEENS1_30default_config_static_selectorELNS0_4arch9wavefront6targetE1EEEvT1_,comdat
.Lfunc_end665:
	.size	_ZN7rocprim17ROCPRIM_400000_NS6detail17trampoline_kernelINS0_14default_configENS1_35adjacent_difference_config_selectorILb1EdEEZNS1_24adjacent_difference_implIS3_Lb1ELb0EPKdPdN6thrust23THRUST_200600_302600_NS4plusIdEEEE10hipError_tPvRmT2_T3_mT4_P12ihipStream_tbEUlT_E_NS1_11comp_targetILNS1_3genE8ELNS1_11target_archE1030ELNS1_3gpuE2ELNS1_3repE0EEENS1_30default_config_static_selectorELNS0_4arch9wavefront6targetE1EEEvT1_, .Lfunc_end665-_ZN7rocprim17ROCPRIM_400000_NS6detail17trampoline_kernelINS0_14default_configENS1_35adjacent_difference_config_selectorILb1EdEEZNS1_24adjacent_difference_implIS3_Lb1ELb0EPKdPdN6thrust23THRUST_200600_302600_NS4plusIdEEEE10hipError_tPvRmT2_T3_mT4_P12ihipStream_tbEUlT_E_NS1_11comp_targetILNS1_3genE8ELNS1_11target_archE1030ELNS1_3gpuE2ELNS1_3repE0EEENS1_30default_config_static_selectorELNS0_4arch9wavefront6targetE1EEEvT1_
                                        ; -- End function
	.section	.AMDGPU.csdata,"",@progbits
; Kernel info:
; codeLenInByte = 0
; NumSgprs: 4
; NumVgprs: 0
; NumAgprs: 0
; TotalNumVgprs: 0
; ScratchSize: 0
; MemoryBound: 0
; FloatMode: 240
; IeeeMode: 1
; LDSByteSize: 0 bytes/workgroup (compile time only)
; SGPRBlocks: 0
; VGPRBlocks: 0
; NumSGPRsForWavesPerEU: 4
; NumVGPRsForWavesPerEU: 1
; AccumOffset: 4
; Occupancy: 8
; WaveLimiterHint : 0
; COMPUTE_PGM_RSRC2:SCRATCH_EN: 0
; COMPUTE_PGM_RSRC2:USER_SGPR: 6
; COMPUTE_PGM_RSRC2:TRAP_HANDLER: 0
; COMPUTE_PGM_RSRC2:TGID_X_EN: 1
; COMPUTE_PGM_RSRC2:TGID_Y_EN: 0
; COMPUTE_PGM_RSRC2:TGID_Z_EN: 0
; COMPUTE_PGM_RSRC2:TIDIG_COMP_CNT: 0
; COMPUTE_PGM_RSRC3_GFX90A:ACCUM_OFFSET: 0
; COMPUTE_PGM_RSRC3_GFX90A:TG_SPLIT: 0
	.section	.text._ZN7rocprim17ROCPRIM_400000_NS6detail17trampoline_kernelINS0_14default_configENS1_25transform_config_selectorIaLb0EEEZNS1_14transform_implILb0ES3_S5_NS0_18transform_iteratorINS0_17counting_iteratorImlEEZNS1_24adjacent_difference_implIS3_Lb1ELb0EPaN6thrust23THRUST_200600_302600_NS16discard_iteratorINSD_11use_defaultEEENSD_5minusIaEEEE10hipError_tPvRmT2_T3_mT4_P12ihipStream_tbEUlmE_aEESB_NS0_8identityIvEEEESJ_SM_SN_mSO_SQ_bEUlT_E_NS1_11comp_targetILNS1_3genE0ELNS1_11target_archE4294967295ELNS1_3gpuE0ELNS1_3repE0EEENS1_30default_config_static_selectorELNS0_4arch9wavefront6targetE1EEEvT1_,"axG",@progbits,_ZN7rocprim17ROCPRIM_400000_NS6detail17trampoline_kernelINS0_14default_configENS1_25transform_config_selectorIaLb0EEEZNS1_14transform_implILb0ES3_S5_NS0_18transform_iteratorINS0_17counting_iteratorImlEEZNS1_24adjacent_difference_implIS3_Lb1ELb0EPaN6thrust23THRUST_200600_302600_NS16discard_iteratorINSD_11use_defaultEEENSD_5minusIaEEEE10hipError_tPvRmT2_T3_mT4_P12ihipStream_tbEUlmE_aEESB_NS0_8identityIvEEEESJ_SM_SN_mSO_SQ_bEUlT_E_NS1_11comp_targetILNS1_3genE0ELNS1_11target_archE4294967295ELNS1_3gpuE0ELNS1_3repE0EEENS1_30default_config_static_selectorELNS0_4arch9wavefront6targetE1EEEvT1_,comdat
	.protected	_ZN7rocprim17ROCPRIM_400000_NS6detail17trampoline_kernelINS0_14default_configENS1_25transform_config_selectorIaLb0EEEZNS1_14transform_implILb0ES3_S5_NS0_18transform_iteratorINS0_17counting_iteratorImlEEZNS1_24adjacent_difference_implIS3_Lb1ELb0EPaN6thrust23THRUST_200600_302600_NS16discard_iteratorINSD_11use_defaultEEENSD_5minusIaEEEE10hipError_tPvRmT2_T3_mT4_P12ihipStream_tbEUlmE_aEESB_NS0_8identityIvEEEESJ_SM_SN_mSO_SQ_bEUlT_E_NS1_11comp_targetILNS1_3genE0ELNS1_11target_archE4294967295ELNS1_3gpuE0ELNS1_3repE0EEENS1_30default_config_static_selectorELNS0_4arch9wavefront6targetE1EEEvT1_ ; -- Begin function _ZN7rocprim17ROCPRIM_400000_NS6detail17trampoline_kernelINS0_14default_configENS1_25transform_config_selectorIaLb0EEEZNS1_14transform_implILb0ES3_S5_NS0_18transform_iteratorINS0_17counting_iteratorImlEEZNS1_24adjacent_difference_implIS3_Lb1ELb0EPaN6thrust23THRUST_200600_302600_NS16discard_iteratorINSD_11use_defaultEEENSD_5minusIaEEEE10hipError_tPvRmT2_T3_mT4_P12ihipStream_tbEUlmE_aEESB_NS0_8identityIvEEEESJ_SM_SN_mSO_SQ_bEUlT_E_NS1_11comp_targetILNS1_3genE0ELNS1_11target_archE4294967295ELNS1_3gpuE0ELNS1_3repE0EEENS1_30default_config_static_selectorELNS0_4arch9wavefront6targetE1EEEvT1_
	.globl	_ZN7rocprim17ROCPRIM_400000_NS6detail17trampoline_kernelINS0_14default_configENS1_25transform_config_selectorIaLb0EEEZNS1_14transform_implILb0ES3_S5_NS0_18transform_iteratorINS0_17counting_iteratorImlEEZNS1_24adjacent_difference_implIS3_Lb1ELb0EPaN6thrust23THRUST_200600_302600_NS16discard_iteratorINSD_11use_defaultEEENSD_5minusIaEEEE10hipError_tPvRmT2_T3_mT4_P12ihipStream_tbEUlmE_aEESB_NS0_8identityIvEEEESJ_SM_SN_mSO_SQ_bEUlT_E_NS1_11comp_targetILNS1_3genE0ELNS1_11target_archE4294967295ELNS1_3gpuE0ELNS1_3repE0EEENS1_30default_config_static_selectorELNS0_4arch9wavefront6targetE1EEEvT1_
	.p2align	8
	.type	_ZN7rocprim17ROCPRIM_400000_NS6detail17trampoline_kernelINS0_14default_configENS1_25transform_config_selectorIaLb0EEEZNS1_14transform_implILb0ES3_S5_NS0_18transform_iteratorINS0_17counting_iteratorImlEEZNS1_24adjacent_difference_implIS3_Lb1ELb0EPaN6thrust23THRUST_200600_302600_NS16discard_iteratorINSD_11use_defaultEEENSD_5minusIaEEEE10hipError_tPvRmT2_T3_mT4_P12ihipStream_tbEUlmE_aEESB_NS0_8identityIvEEEESJ_SM_SN_mSO_SQ_bEUlT_E_NS1_11comp_targetILNS1_3genE0ELNS1_11target_archE4294967295ELNS1_3gpuE0ELNS1_3repE0EEENS1_30default_config_static_selectorELNS0_4arch9wavefront6targetE1EEEvT1_,@function
_ZN7rocprim17ROCPRIM_400000_NS6detail17trampoline_kernelINS0_14default_configENS1_25transform_config_selectorIaLb0EEEZNS1_14transform_implILb0ES3_S5_NS0_18transform_iteratorINS0_17counting_iteratorImlEEZNS1_24adjacent_difference_implIS3_Lb1ELb0EPaN6thrust23THRUST_200600_302600_NS16discard_iteratorINSD_11use_defaultEEENSD_5minusIaEEEE10hipError_tPvRmT2_T3_mT4_P12ihipStream_tbEUlmE_aEESB_NS0_8identityIvEEEESJ_SM_SN_mSO_SQ_bEUlT_E_NS1_11comp_targetILNS1_3genE0ELNS1_11target_archE4294967295ELNS1_3gpuE0ELNS1_3repE0EEENS1_30default_config_static_selectorELNS0_4arch9wavefront6targetE1EEEvT1_: ; @_ZN7rocprim17ROCPRIM_400000_NS6detail17trampoline_kernelINS0_14default_configENS1_25transform_config_selectorIaLb0EEEZNS1_14transform_implILb0ES3_S5_NS0_18transform_iteratorINS0_17counting_iteratorImlEEZNS1_24adjacent_difference_implIS3_Lb1ELb0EPaN6thrust23THRUST_200600_302600_NS16discard_iteratorINSD_11use_defaultEEENSD_5minusIaEEEE10hipError_tPvRmT2_T3_mT4_P12ihipStream_tbEUlmE_aEESB_NS0_8identityIvEEEESJ_SM_SN_mSO_SQ_bEUlT_E_NS1_11comp_targetILNS1_3genE0ELNS1_11target_archE4294967295ELNS1_3gpuE0ELNS1_3repE0EEENS1_30default_config_static_selectorELNS0_4arch9wavefront6targetE1EEEvT1_
; %bb.0:
	.section	.rodata,"a",@progbits
	.p2align	6, 0x0
	.amdhsa_kernel _ZN7rocprim17ROCPRIM_400000_NS6detail17trampoline_kernelINS0_14default_configENS1_25transform_config_selectorIaLb0EEEZNS1_14transform_implILb0ES3_S5_NS0_18transform_iteratorINS0_17counting_iteratorImlEEZNS1_24adjacent_difference_implIS3_Lb1ELb0EPaN6thrust23THRUST_200600_302600_NS16discard_iteratorINSD_11use_defaultEEENSD_5minusIaEEEE10hipError_tPvRmT2_T3_mT4_P12ihipStream_tbEUlmE_aEESB_NS0_8identityIvEEEESJ_SM_SN_mSO_SQ_bEUlT_E_NS1_11comp_targetILNS1_3genE0ELNS1_11target_archE4294967295ELNS1_3gpuE0ELNS1_3repE0EEENS1_30default_config_static_selectorELNS0_4arch9wavefront6targetE1EEEvT1_
		.amdhsa_group_segment_fixed_size 0
		.amdhsa_private_segment_fixed_size 0
		.amdhsa_kernarg_size 56
		.amdhsa_user_sgpr_count 6
		.amdhsa_user_sgpr_private_segment_buffer 1
		.amdhsa_user_sgpr_dispatch_ptr 0
		.amdhsa_user_sgpr_queue_ptr 0
		.amdhsa_user_sgpr_kernarg_segment_ptr 1
		.amdhsa_user_sgpr_dispatch_id 0
		.amdhsa_user_sgpr_flat_scratch_init 0
		.amdhsa_user_sgpr_kernarg_preload_length 0
		.amdhsa_user_sgpr_kernarg_preload_offset 0
		.amdhsa_user_sgpr_private_segment_size 0
		.amdhsa_uses_dynamic_stack 0
		.amdhsa_system_sgpr_private_segment_wavefront_offset 0
		.amdhsa_system_sgpr_workgroup_id_x 1
		.amdhsa_system_sgpr_workgroup_id_y 0
		.amdhsa_system_sgpr_workgroup_id_z 0
		.amdhsa_system_sgpr_workgroup_info 0
		.amdhsa_system_vgpr_workitem_id 0
		.amdhsa_next_free_vgpr 1
		.amdhsa_next_free_sgpr 0
		.amdhsa_accum_offset 4
		.amdhsa_reserve_vcc 0
		.amdhsa_reserve_flat_scratch 0
		.amdhsa_float_round_mode_32 0
		.amdhsa_float_round_mode_16_64 0
		.amdhsa_float_denorm_mode_32 3
		.amdhsa_float_denorm_mode_16_64 3
		.amdhsa_dx10_clamp 1
		.amdhsa_ieee_mode 1
		.amdhsa_fp16_overflow 0
		.amdhsa_tg_split 0
		.amdhsa_exception_fp_ieee_invalid_op 0
		.amdhsa_exception_fp_denorm_src 0
		.amdhsa_exception_fp_ieee_div_zero 0
		.amdhsa_exception_fp_ieee_overflow 0
		.amdhsa_exception_fp_ieee_underflow 0
		.amdhsa_exception_fp_ieee_inexact 0
		.amdhsa_exception_int_div_zero 0
	.end_amdhsa_kernel
	.section	.text._ZN7rocprim17ROCPRIM_400000_NS6detail17trampoline_kernelINS0_14default_configENS1_25transform_config_selectorIaLb0EEEZNS1_14transform_implILb0ES3_S5_NS0_18transform_iteratorINS0_17counting_iteratorImlEEZNS1_24adjacent_difference_implIS3_Lb1ELb0EPaN6thrust23THRUST_200600_302600_NS16discard_iteratorINSD_11use_defaultEEENSD_5minusIaEEEE10hipError_tPvRmT2_T3_mT4_P12ihipStream_tbEUlmE_aEESB_NS0_8identityIvEEEESJ_SM_SN_mSO_SQ_bEUlT_E_NS1_11comp_targetILNS1_3genE0ELNS1_11target_archE4294967295ELNS1_3gpuE0ELNS1_3repE0EEENS1_30default_config_static_selectorELNS0_4arch9wavefront6targetE1EEEvT1_,"axG",@progbits,_ZN7rocprim17ROCPRIM_400000_NS6detail17trampoline_kernelINS0_14default_configENS1_25transform_config_selectorIaLb0EEEZNS1_14transform_implILb0ES3_S5_NS0_18transform_iteratorINS0_17counting_iteratorImlEEZNS1_24adjacent_difference_implIS3_Lb1ELb0EPaN6thrust23THRUST_200600_302600_NS16discard_iteratorINSD_11use_defaultEEENSD_5minusIaEEEE10hipError_tPvRmT2_T3_mT4_P12ihipStream_tbEUlmE_aEESB_NS0_8identityIvEEEESJ_SM_SN_mSO_SQ_bEUlT_E_NS1_11comp_targetILNS1_3genE0ELNS1_11target_archE4294967295ELNS1_3gpuE0ELNS1_3repE0EEENS1_30default_config_static_selectorELNS0_4arch9wavefront6targetE1EEEvT1_,comdat
.Lfunc_end666:
	.size	_ZN7rocprim17ROCPRIM_400000_NS6detail17trampoline_kernelINS0_14default_configENS1_25transform_config_selectorIaLb0EEEZNS1_14transform_implILb0ES3_S5_NS0_18transform_iteratorINS0_17counting_iteratorImlEEZNS1_24adjacent_difference_implIS3_Lb1ELb0EPaN6thrust23THRUST_200600_302600_NS16discard_iteratorINSD_11use_defaultEEENSD_5minusIaEEEE10hipError_tPvRmT2_T3_mT4_P12ihipStream_tbEUlmE_aEESB_NS0_8identityIvEEEESJ_SM_SN_mSO_SQ_bEUlT_E_NS1_11comp_targetILNS1_3genE0ELNS1_11target_archE4294967295ELNS1_3gpuE0ELNS1_3repE0EEENS1_30default_config_static_selectorELNS0_4arch9wavefront6targetE1EEEvT1_, .Lfunc_end666-_ZN7rocprim17ROCPRIM_400000_NS6detail17trampoline_kernelINS0_14default_configENS1_25transform_config_selectorIaLb0EEEZNS1_14transform_implILb0ES3_S5_NS0_18transform_iteratorINS0_17counting_iteratorImlEEZNS1_24adjacent_difference_implIS3_Lb1ELb0EPaN6thrust23THRUST_200600_302600_NS16discard_iteratorINSD_11use_defaultEEENSD_5minusIaEEEE10hipError_tPvRmT2_T3_mT4_P12ihipStream_tbEUlmE_aEESB_NS0_8identityIvEEEESJ_SM_SN_mSO_SQ_bEUlT_E_NS1_11comp_targetILNS1_3genE0ELNS1_11target_archE4294967295ELNS1_3gpuE0ELNS1_3repE0EEENS1_30default_config_static_selectorELNS0_4arch9wavefront6targetE1EEEvT1_
                                        ; -- End function
	.section	.AMDGPU.csdata,"",@progbits
; Kernel info:
; codeLenInByte = 0
; NumSgprs: 4
; NumVgprs: 0
; NumAgprs: 0
; TotalNumVgprs: 0
; ScratchSize: 0
; MemoryBound: 0
; FloatMode: 240
; IeeeMode: 1
; LDSByteSize: 0 bytes/workgroup (compile time only)
; SGPRBlocks: 0
; VGPRBlocks: 0
; NumSGPRsForWavesPerEU: 4
; NumVGPRsForWavesPerEU: 1
; AccumOffset: 4
; Occupancy: 8
; WaveLimiterHint : 0
; COMPUTE_PGM_RSRC2:SCRATCH_EN: 0
; COMPUTE_PGM_RSRC2:USER_SGPR: 6
; COMPUTE_PGM_RSRC2:TRAP_HANDLER: 0
; COMPUTE_PGM_RSRC2:TGID_X_EN: 1
; COMPUTE_PGM_RSRC2:TGID_Y_EN: 0
; COMPUTE_PGM_RSRC2:TGID_Z_EN: 0
; COMPUTE_PGM_RSRC2:TIDIG_COMP_CNT: 0
; COMPUTE_PGM_RSRC3_GFX90A:ACCUM_OFFSET: 0
; COMPUTE_PGM_RSRC3_GFX90A:TG_SPLIT: 0
	.section	.text._ZN7rocprim17ROCPRIM_400000_NS6detail17trampoline_kernelINS0_14default_configENS1_25transform_config_selectorIaLb0EEEZNS1_14transform_implILb0ES3_S5_NS0_18transform_iteratorINS0_17counting_iteratorImlEEZNS1_24adjacent_difference_implIS3_Lb1ELb0EPaN6thrust23THRUST_200600_302600_NS16discard_iteratorINSD_11use_defaultEEENSD_5minusIaEEEE10hipError_tPvRmT2_T3_mT4_P12ihipStream_tbEUlmE_aEESB_NS0_8identityIvEEEESJ_SM_SN_mSO_SQ_bEUlT_E_NS1_11comp_targetILNS1_3genE5ELNS1_11target_archE942ELNS1_3gpuE9ELNS1_3repE0EEENS1_30default_config_static_selectorELNS0_4arch9wavefront6targetE1EEEvT1_,"axG",@progbits,_ZN7rocprim17ROCPRIM_400000_NS6detail17trampoline_kernelINS0_14default_configENS1_25transform_config_selectorIaLb0EEEZNS1_14transform_implILb0ES3_S5_NS0_18transform_iteratorINS0_17counting_iteratorImlEEZNS1_24adjacent_difference_implIS3_Lb1ELb0EPaN6thrust23THRUST_200600_302600_NS16discard_iteratorINSD_11use_defaultEEENSD_5minusIaEEEE10hipError_tPvRmT2_T3_mT4_P12ihipStream_tbEUlmE_aEESB_NS0_8identityIvEEEESJ_SM_SN_mSO_SQ_bEUlT_E_NS1_11comp_targetILNS1_3genE5ELNS1_11target_archE942ELNS1_3gpuE9ELNS1_3repE0EEENS1_30default_config_static_selectorELNS0_4arch9wavefront6targetE1EEEvT1_,comdat
	.protected	_ZN7rocprim17ROCPRIM_400000_NS6detail17trampoline_kernelINS0_14default_configENS1_25transform_config_selectorIaLb0EEEZNS1_14transform_implILb0ES3_S5_NS0_18transform_iteratorINS0_17counting_iteratorImlEEZNS1_24adjacent_difference_implIS3_Lb1ELb0EPaN6thrust23THRUST_200600_302600_NS16discard_iteratorINSD_11use_defaultEEENSD_5minusIaEEEE10hipError_tPvRmT2_T3_mT4_P12ihipStream_tbEUlmE_aEESB_NS0_8identityIvEEEESJ_SM_SN_mSO_SQ_bEUlT_E_NS1_11comp_targetILNS1_3genE5ELNS1_11target_archE942ELNS1_3gpuE9ELNS1_3repE0EEENS1_30default_config_static_selectorELNS0_4arch9wavefront6targetE1EEEvT1_ ; -- Begin function _ZN7rocprim17ROCPRIM_400000_NS6detail17trampoline_kernelINS0_14default_configENS1_25transform_config_selectorIaLb0EEEZNS1_14transform_implILb0ES3_S5_NS0_18transform_iteratorINS0_17counting_iteratorImlEEZNS1_24adjacent_difference_implIS3_Lb1ELb0EPaN6thrust23THRUST_200600_302600_NS16discard_iteratorINSD_11use_defaultEEENSD_5minusIaEEEE10hipError_tPvRmT2_T3_mT4_P12ihipStream_tbEUlmE_aEESB_NS0_8identityIvEEEESJ_SM_SN_mSO_SQ_bEUlT_E_NS1_11comp_targetILNS1_3genE5ELNS1_11target_archE942ELNS1_3gpuE9ELNS1_3repE0EEENS1_30default_config_static_selectorELNS0_4arch9wavefront6targetE1EEEvT1_
	.globl	_ZN7rocprim17ROCPRIM_400000_NS6detail17trampoline_kernelINS0_14default_configENS1_25transform_config_selectorIaLb0EEEZNS1_14transform_implILb0ES3_S5_NS0_18transform_iteratorINS0_17counting_iteratorImlEEZNS1_24adjacent_difference_implIS3_Lb1ELb0EPaN6thrust23THRUST_200600_302600_NS16discard_iteratorINSD_11use_defaultEEENSD_5minusIaEEEE10hipError_tPvRmT2_T3_mT4_P12ihipStream_tbEUlmE_aEESB_NS0_8identityIvEEEESJ_SM_SN_mSO_SQ_bEUlT_E_NS1_11comp_targetILNS1_3genE5ELNS1_11target_archE942ELNS1_3gpuE9ELNS1_3repE0EEENS1_30default_config_static_selectorELNS0_4arch9wavefront6targetE1EEEvT1_
	.p2align	8
	.type	_ZN7rocprim17ROCPRIM_400000_NS6detail17trampoline_kernelINS0_14default_configENS1_25transform_config_selectorIaLb0EEEZNS1_14transform_implILb0ES3_S5_NS0_18transform_iteratorINS0_17counting_iteratorImlEEZNS1_24adjacent_difference_implIS3_Lb1ELb0EPaN6thrust23THRUST_200600_302600_NS16discard_iteratorINSD_11use_defaultEEENSD_5minusIaEEEE10hipError_tPvRmT2_T3_mT4_P12ihipStream_tbEUlmE_aEESB_NS0_8identityIvEEEESJ_SM_SN_mSO_SQ_bEUlT_E_NS1_11comp_targetILNS1_3genE5ELNS1_11target_archE942ELNS1_3gpuE9ELNS1_3repE0EEENS1_30default_config_static_selectorELNS0_4arch9wavefront6targetE1EEEvT1_,@function
_ZN7rocprim17ROCPRIM_400000_NS6detail17trampoline_kernelINS0_14default_configENS1_25transform_config_selectorIaLb0EEEZNS1_14transform_implILb0ES3_S5_NS0_18transform_iteratorINS0_17counting_iteratorImlEEZNS1_24adjacent_difference_implIS3_Lb1ELb0EPaN6thrust23THRUST_200600_302600_NS16discard_iteratorINSD_11use_defaultEEENSD_5minusIaEEEE10hipError_tPvRmT2_T3_mT4_P12ihipStream_tbEUlmE_aEESB_NS0_8identityIvEEEESJ_SM_SN_mSO_SQ_bEUlT_E_NS1_11comp_targetILNS1_3genE5ELNS1_11target_archE942ELNS1_3gpuE9ELNS1_3repE0EEENS1_30default_config_static_selectorELNS0_4arch9wavefront6targetE1EEEvT1_: ; @_ZN7rocprim17ROCPRIM_400000_NS6detail17trampoline_kernelINS0_14default_configENS1_25transform_config_selectorIaLb0EEEZNS1_14transform_implILb0ES3_S5_NS0_18transform_iteratorINS0_17counting_iteratorImlEEZNS1_24adjacent_difference_implIS3_Lb1ELb0EPaN6thrust23THRUST_200600_302600_NS16discard_iteratorINSD_11use_defaultEEENSD_5minusIaEEEE10hipError_tPvRmT2_T3_mT4_P12ihipStream_tbEUlmE_aEESB_NS0_8identityIvEEEESJ_SM_SN_mSO_SQ_bEUlT_E_NS1_11comp_targetILNS1_3genE5ELNS1_11target_archE942ELNS1_3gpuE9ELNS1_3repE0EEENS1_30default_config_static_selectorELNS0_4arch9wavefront6targetE1EEEvT1_
; %bb.0:
	.section	.rodata,"a",@progbits
	.p2align	6, 0x0
	.amdhsa_kernel _ZN7rocprim17ROCPRIM_400000_NS6detail17trampoline_kernelINS0_14default_configENS1_25transform_config_selectorIaLb0EEEZNS1_14transform_implILb0ES3_S5_NS0_18transform_iteratorINS0_17counting_iteratorImlEEZNS1_24adjacent_difference_implIS3_Lb1ELb0EPaN6thrust23THRUST_200600_302600_NS16discard_iteratorINSD_11use_defaultEEENSD_5minusIaEEEE10hipError_tPvRmT2_T3_mT4_P12ihipStream_tbEUlmE_aEESB_NS0_8identityIvEEEESJ_SM_SN_mSO_SQ_bEUlT_E_NS1_11comp_targetILNS1_3genE5ELNS1_11target_archE942ELNS1_3gpuE9ELNS1_3repE0EEENS1_30default_config_static_selectorELNS0_4arch9wavefront6targetE1EEEvT1_
		.amdhsa_group_segment_fixed_size 0
		.amdhsa_private_segment_fixed_size 0
		.amdhsa_kernarg_size 56
		.amdhsa_user_sgpr_count 6
		.amdhsa_user_sgpr_private_segment_buffer 1
		.amdhsa_user_sgpr_dispatch_ptr 0
		.amdhsa_user_sgpr_queue_ptr 0
		.amdhsa_user_sgpr_kernarg_segment_ptr 1
		.amdhsa_user_sgpr_dispatch_id 0
		.amdhsa_user_sgpr_flat_scratch_init 0
		.amdhsa_user_sgpr_kernarg_preload_length 0
		.amdhsa_user_sgpr_kernarg_preload_offset 0
		.amdhsa_user_sgpr_private_segment_size 0
		.amdhsa_uses_dynamic_stack 0
		.amdhsa_system_sgpr_private_segment_wavefront_offset 0
		.amdhsa_system_sgpr_workgroup_id_x 1
		.amdhsa_system_sgpr_workgroup_id_y 0
		.amdhsa_system_sgpr_workgroup_id_z 0
		.amdhsa_system_sgpr_workgroup_info 0
		.amdhsa_system_vgpr_workitem_id 0
		.amdhsa_next_free_vgpr 1
		.amdhsa_next_free_sgpr 0
		.amdhsa_accum_offset 4
		.amdhsa_reserve_vcc 0
		.amdhsa_reserve_flat_scratch 0
		.amdhsa_float_round_mode_32 0
		.amdhsa_float_round_mode_16_64 0
		.amdhsa_float_denorm_mode_32 3
		.amdhsa_float_denorm_mode_16_64 3
		.amdhsa_dx10_clamp 1
		.amdhsa_ieee_mode 1
		.amdhsa_fp16_overflow 0
		.amdhsa_tg_split 0
		.amdhsa_exception_fp_ieee_invalid_op 0
		.amdhsa_exception_fp_denorm_src 0
		.amdhsa_exception_fp_ieee_div_zero 0
		.amdhsa_exception_fp_ieee_overflow 0
		.amdhsa_exception_fp_ieee_underflow 0
		.amdhsa_exception_fp_ieee_inexact 0
		.amdhsa_exception_int_div_zero 0
	.end_amdhsa_kernel
	.section	.text._ZN7rocprim17ROCPRIM_400000_NS6detail17trampoline_kernelINS0_14default_configENS1_25transform_config_selectorIaLb0EEEZNS1_14transform_implILb0ES3_S5_NS0_18transform_iteratorINS0_17counting_iteratorImlEEZNS1_24adjacent_difference_implIS3_Lb1ELb0EPaN6thrust23THRUST_200600_302600_NS16discard_iteratorINSD_11use_defaultEEENSD_5minusIaEEEE10hipError_tPvRmT2_T3_mT4_P12ihipStream_tbEUlmE_aEESB_NS0_8identityIvEEEESJ_SM_SN_mSO_SQ_bEUlT_E_NS1_11comp_targetILNS1_3genE5ELNS1_11target_archE942ELNS1_3gpuE9ELNS1_3repE0EEENS1_30default_config_static_selectorELNS0_4arch9wavefront6targetE1EEEvT1_,"axG",@progbits,_ZN7rocprim17ROCPRIM_400000_NS6detail17trampoline_kernelINS0_14default_configENS1_25transform_config_selectorIaLb0EEEZNS1_14transform_implILb0ES3_S5_NS0_18transform_iteratorINS0_17counting_iteratorImlEEZNS1_24adjacent_difference_implIS3_Lb1ELb0EPaN6thrust23THRUST_200600_302600_NS16discard_iteratorINSD_11use_defaultEEENSD_5minusIaEEEE10hipError_tPvRmT2_T3_mT4_P12ihipStream_tbEUlmE_aEESB_NS0_8identityIvEEEESJ_SM_SN_mSO_SQ_bEUlT_E_NS1_11comp_targetILNS1_3genE5ELNS1_11target_archE942ELNS1_3gpuE9ELNS1_3repE0EEENS1_30default_config_static_selectorELNS0_4arch9wavefront6targetE1EEEvT1_,comdat
.Lfunc_end667:
	.size	_ZN7rocprim17ROCPRIM_400000_NS6detail17trampoline_kernelINS0_14default_configENS1_25transform_config_selectorIaLb0EEEZNS1_14transform_implILb0ES3_S5_NS0_18transform_iteratorINS0_17counting_iteratorImlEEZNS1_24adjacent_difference_implIS3_Lb1ELb0EPaN6thrust23THRUST_200600_302600_NS16discard_iteratorINSD_11use_defaultEEENSD_5minusIaEEEE10hipError_tPvRmT2_T3_mT4_P12ihipStream_tbEUlmE_aEESB_NS0_8identityIvEEEESJ_SM_SN_mSO_SQ_bEUlT_E_NS1_11comp_targetILNS1_3genE5ELNS1_11target_archE942ELNS1_3gpuE9ELNS1_3repE0EEENS1_30default_config_static_selectorELNS0_4arch9wavefront6targetE1EEEvT1_, .Lfunc_end667-_ZN7rocprim17ROCPRIM_400000_NS6detail17trampoline_kernelINS0_14default_configENS1_25transform_config_selectorIaLb0EEEZNS1_14transform_implILb0ES3_S5_NS0_18transform_iteratorINS0_17counting_iteratorImlEEZNS1_24adjacent_difference_implIS3_Lb1ELb0EPaN6thrust23THRUST_200600_302600_NS16discard_iteratorINSD_11use_defaultEEENSD_5minusIaEEEE10hipError_tPvRmT2_T3_mT4_P12ihipStream_tbEUlmE_aEESB_NS0_8identityIvEEEESJ_SM_SN_mSO_SQ_bEUlT_E_NS1_11comp_targetILNS1_3genE5ELNS1_11target_archE942ELNS1_3gpuE9ELNS1_3repE0EEENS1_30default_config_static_selectorELNS0_4arch9wavefront6targetE1EEEvT1_
                                        ; -- End function
	.section	.AMDGPU.csdata,"",@progbits
; Kernel info:
; codeLenInByte = 0
; NumSgprs: 4
; NumVgprs: 0
; NumAgprs: 0
; TotalNumVgprs: 0
; ScratchSize: 0
; MemoryBound: 0
; FloatMode: 240
; IeeeMode: 1
; LDSByteSize: 0 bytes/workgroup (compile time only)
; SGPRBlocks: 0
; VGPRBlocks: 0
; NumSGPRsForWavesPerEU: 4
; NumVGPRsForWavesPerEU: 1
; AccumOffset: 4
; Occupancy: 8
; WaveLimiterHint : 0
; COMPUTE_PGM_RSRC2:SCRATCH_EN: 0
; COMPUTE_PGM_RSRC2:USER_SGPR: 6
; COMPUTE_PGM_RSRC2:TRAP_HANDLER: 0
; COMPUTE_PGM_RSRC2:TGID_X_EN: 1
; COMPUTE_PGM_RSRC2:TGID_Y_EN: 0
; COMPUTE_PGM_RSRC2:TGID_Z_EN: 0
; COMPUTE_PGM_RSRC2:TIDIG_COMP_CNT: 0
; COMPUTE_PGM_RSRC3_GFX90A:ACCUM_OFFSET: 0
; COMPUTE_PGM_RSRC3_GFX90A:TG_SPLIT: 0
	.section	.text._ZN7rocprim17ROCPRIM_400000_NS6detail17trampoline_kernelINS0_14default_configENS1_25transform_config_selectorIaLb0EEEZNS1_14transform_implILb0ES3_S5_NS0_18transform_iteratorINS0_17counting_iteratorImlEEZNS1_24adjacent_difference_implIS3_Lb1ELb0EPaN6thrust23THRUST_200600_302600_NS16discard_iteratorINSD_11use_defaultEEENSD_5minusIaEEEE10hipError_tPvRmT2_T3_mT4_P12ihipStream_tbEUlmE_aEESB_NS0_8identityIvEEEESJ_SM_SN_mSO_SQ_bEUlT_E_NS1_11comp_targetILNS1_3genE4ELNS1_11target_archE910ELNS1_3gpuE8ELNS1_3repE0EEENS1_30default_config_static_selectorELNS0_4arch9wavefront6targetE1EEEvT1_,"axG",@progbits,_ZN7rocprim17ROCPRIM_400000_NS6detail17trampoline_kernelINS0_14default_configENS1_25transform_config_selectorIaLb0EEEZNS1_14transform_implILb0ES3_S5_NS0_18transform_iteratorINS0_17counting_iteratorImlEEZNS1_24adjacent_difference_implIS3_Lb1ELb0EPaN6thrust23THRUST_200600_302600_NS16discard_iteratorINSD_11use_defaultEEENSD_5minusIaEEEE10hipError_tPvRmT2_T3_mT4_P12ihipStream_tbEUlmE_aEESB_NS0_8identityIvEEEESJ_SM_SN_mSO_SQ_bEUlT_E_NS1_11comp_targetILNS1_3genE4ELNS1_11target_archE910ELNS1_3gpuE8ELNS1_3repE0EEENS1_30default_config_static_selectorELNS0_4arch9wavefront6targetE1EEEvT1_,comdat
	.protected	_ZN7rocprim17ROCPRIM_400000_NS6detail17trampoline_kernelINS0_14default_configENS1_25transform_config_selectorIaLb0EEEZNS1_14transform_implILb0ES3_S5_NS0_18transform_iteratorINS0_17counting_iteratorImlEEZNS1_24adjacent_difference_implIS3_Lb1ELb0EPaN6thrust23THRUST_200600_302600_NS16discard_iteratorINSD_11use_defaultEEENSD_5minusIaEEEE10hipError_tPvRmT2_T3_mT4_P12ihipStream_tbEUlmE_aEESB_NS0_8identityIvEEEESJ_SM_SN_mSO_SQ_bEUlT_E_NS1_11comp_targetILNS1_3genE4ELNS1_11target_archE910ELNS1_3gpuE8ELNS1_3repE0EEENS1_30default_config_static_selectorELNS0_4arch9wavefront6targetE1EEEvT1_ ; -- Begin function _ZN7rocprim17ROCPRIM_400000_NS6detail17trampoline_kernelINS0_14default_configENS1_25transform_config_selectorIaLb0EEEZNS1_14transform_implILb0ES3_S5_NS0_18transform_iteratorINS0_17counting_iteratorImlEEZNS1_24adjacent_difference_implIS3_Lb1ELb0EPaN6thrust23THRUST_200600_302600_NS16discard_iteratorINSD_11use_defaultEEENSD_5minusIaEEEE10hipError_tPvRmT2_T3_mT4_P12ihipStream_tbEUlmE_aEESB_NS0_8identityIvEEEESJ_SM_SN_mSO_SQ_bEUlT_E_NS1_11comp_targetILNS1_3genE4ELNS1_11target_archE910ELNS1_3gpuE8ELNS1_3repE0EEENS1_30default_config_static_selectorELNS0_4arch9wavefront6targetE1EEEvT1_
	.globl	_ZN7rocprim17ROCPRIM_400000_NS6detail17trampoline_kernelINS0_14default_configENS1_25transform_config_selectorIaLb0EEEZNS1_14transform_implILb0ES3_S5_NS0_18transform_iteratorINS0_17counting_iteratorImlEEZNS1_24adjacent_difference_implIS3_Lb1ELb0EPaN6thrust23THRUST_200600_302600_NS16discard_iteratorINSD_11use_defaultEEENSD_5minusIaEEEE10hipError_tPvRmT2_T3_mT4_P12ihipStream_tbEUlmE_aEESB_NS0_8identityIvEEEESJ_SM_SN_mSO_SQ_bEUlT_E_NS1_11comp_targetILNS1_3genE4ELNS1_11target_archE910ELNS1_3gpuE8ELNS1_3repE0EEENS1_30default_config_static_selectorELNS0_4arch9wavefront6targetE1EEEvT1_
	.p2align	8
	.type	_ZN7rocprim17ROCPRIM_400000_NS6detail17trampoline_kernelINS0_14default_configENS1_25transform_config_selectorIaLb0EEEZNS1_14transform_implILb0ES3_S5_NS0_18transform_iteratorINS0_17counting_iteratorImlEEZNS1_24adjacent_difference_implIS3_Lb1ELb0EPaN6thrust23THRUST_200600_302600_NS16discard_iteratorINSD_11use_defaultEEENSD_5minusIaEEEE10hipError_tPvRmT2_T3_mT4_P12ihipStream_tbEUlmE_aEESB_NS0_8identityIvEEEESJ_SM_SN_mSO_SQ_bEUlT_E_NS1_11comp_targetILNS1_3genE4ELNS1_11target_archE910ELNS1_3gpuE8ELNS1_3repE0EEENS1_30default_config_static_selectorELNS0_4arch9wavefront6targetE1EEEvT1_,@function
_ZN7rocprim17ROCPRIM_400000_NS6detail17trampoline_kernelINS0_14default_configENS1_25transform_config_selectorIaLb0EEEZNS1_14transform_implILb0ES3_S5_NS0_18transform_iteratorINS0_17counting_iteratorImlEEZNS1_24adjacent_difference_implIS3_Lb1ELb0EPaN6thrust23THRUST_200600_302600_NS16discard_iteratorINSD_11use_defaultEEENSD_5minusIaEEEE10hipError_tPvRmT2_T3_mT4_P12ihipStream_tbEUlmE_aEESB_NS0_8identityIvEEEESJ_SM_SN_mSO_SQ_bEUlT_E_NS1_11comp_targetILNS1_3genE4ELNS1_11target_archE910ELNS1_3gpuE8ELNS1_3repE0EEENS1_30default_config_static_selectorELNS0_4arch9wavefront6targetE1EEEvT1_: ; @_ZN7rocprim17ROCPRIM_400000_NS6detail17trampoline_kernelINS0_14default_configENS1_25transform_config_selectorIaLb0EEEZNS1_14transform_implILb0ES3_S5_NS0_18transform_iteratorINS0_17counting_iteratorImlEEZNS1_24adjacent_difference_implIS3_Lb1ELb0EPaN6thrust23THRUST_200600_302600_NS16discard_iteratorINSD_11use_defaultEEENSD_5minusIaEEEE10hipError_tPvRmT2_T3_mT4_P12ihipStream_tbEUlmE_aEESB_NS0_8identityIvEEEESJ_SM_SN_mSO_SQ_bEUlT_E_NS1_11comp_targetILNS1_3genE4ELNS1_11target_archE910ELNS1_3gpuE8ELNS1_3repE0EEENS1_30default_config_static_selectorELNS0_4arch9wavefront6targetE1EEEvT1_
; %bb.0:
	s_load_dwordx4 s[0:3], s[4:5], 0x18
	s_load_dwordx2 s[8:9], s[4:5], 0x28
	s_waitcnt lgkmcnt(0)
	s_load_dword s3, s[4:5], 0x38
	s_load_dwordx4 s[36:39], s[4:5], 0x0
	s_load_dword s40, s[4:5], 0x10
	s_mov_b32 s41, 0
	s_add_u32 s33, s8, s0
	s_addc_u32 s42, s9, s1
	s_lshl_b32 s43, s6, 10
	s_waitcnt lgkmcnt(0)
	s_add_i32 s3, s3, -1
	s_add_u32 s4, s36, s43
	s_addc_u32 s5, s37, 0
	s_add_u32 s44, s4, s0
	s_addc_u32 s45, s5, s1
	s_cmp_lg_u32 s6, s3
	s_cbranch_scc0 .LBB668_2
; %bb.1:
	v_add_co_u32_e32 v4, vcc, s44, v0
	v_pk_mov_b32 v[2:3], s[38:39], s[38:39] op_sel:[0,1]
	v_mov_b32_e32 v1, s45
	v_mad_u64_u32 v[2:3], s[0:1], v4, s40, v[2:3]
	v_addc_co_u32_e32 v1, vcc, 0, v1, vcc
	v_mov_b32_e32 v4, v3
	v_mad_u64_u32 v[4:5], s[0:1], v1, s40, v[4:5]
	v_mov_b32_e32 v3, v4
	s_lshl_b64 s[0:1], s[40:41], 6
	global_load_ubyte v1, v[2:3], off
	v_mov_b32_e32 v10, s1
	v_add_co_u32_e32 v2, vcc, s0, v2
	v_addc_co_u32_e32 v3, vcc, v3, v10, vcc
	v_add_co_u32_e32 v4, vcc, s0, v2
	v_addc_co_u32_e32 v5, vcc, v3, v10, vcc
	;; [unrolled: 2-line block ×4, first 2 shown]
	global_load_ubyte v11, v[2:3], off
	global_load_ubyte v12, v[4:5], off
	;; [unrolled: 1-line block ×4, first 2 shown]
	v_add_co_u32_e32 v2, vcc, s0, v8
	v_addc_co_u32_e32 v3, vcc, v9, v10, vcc
	global_load_ubyte v5, v[2:3], off
	v_add_co_u32_e32 v2, vcc, s0, v2
	v_addc_co_u32_e32 v3, vcc, v3, v10, vcc
	global_load_ubyte v6, v[2:3], off
	;; [unrolled: 3-line block ×11, first 2 shown]
	s_add_u32 s0, s33, s43
	s_addc_u32 s1, s42, 0
	v_mov_b32_e32 v3, s1
	v_add_co_u32_e32 v2, vcc, s0, v0
	v_addc_co_u32_e32 v3, vcc, 0, v3, vcc
	s_mov_b64 s[34:35], -1
	s_waitcnt vmcnt(15)
	global_store_byte v0, v1, s[0:1]
	s_waitcnt vmcnt(15)
	global_store_byte v0, v11, s[0:1] offset:64
	s_waitcnt vmcnt(15)
	global_store_byte v0, v12, s[0:1] offset:128
	;; [unrolled: 2-line block ×14, first 2 shown]
	s_cbranch_execz .LBB668_3
	s_branch .LBB668_68
.LBB668_2:
	s_mov_b64 s[34:35], 0
                                        ; implicit-def: $vgpr4
                                        ; implicit-def: $vgpr2_vgpr3
.LBB668_3:
	s_sub_i32 s36, s2, s43
	v_cmp_gt_u32_e32 vcc, s36, v0
                                        ; implicit-def: $vgpr1
	s_and_saveexec_b64 s[2:3], vcc
	s_cbranch_execz .LBB668_5
; %bb.4:
	v_mov_b32_e32 v1, s45
	s_waitcnt vmcnt(15)
	v_add_co_u32_e64 v4, s[0:1], s44, v0
	v_pk_mov_b32 v[2:3], s[38:39], s[38:39] op_sel:[0,1]
	v_addc_co_u32_e64 v1, s[0:1], 0, v1, s[0:1]
	v_mad_u64_u32 v[2:3], s[0:1], v4, s40, v[2:3]
	v_mov_b32_e32 v4, v3
	v_mad_u64_u32 v[4:5], s[0:1], v1, s40, v[4:5]
	v_mov_b32_e32 v3, v4
	global_load_ubyte v1, v[2:3], off
.LBB668_5:
	s_or_b64 exec, exec, s[2:3]
	v_or_b32_e32 v3, 64, v0
	v_cmp_gt_u32_e64 s[0:1], s36, v3
                                        ; implicit-def: $vgpr2
	s_and_saveexec_b64 s[4:5], s[0:1]
	s_cbranch_execz .LBB668_7
; %bb.6:
	v_mov_b32_e32 v2, s45
	s_waitcnt vmcnt(15)
	v_add_co_u32_e64 v4, s[2:3], s44, v3
	v_addc_co_u32_e64 v5, s[2:3], 0, v2, s[2:3]
	v_pk_mov_b32 v[2:3], s[38:39], s[38:39] op_sel:[0,1]
	v_mad_u64_u32 v[2:3], s[2:3], v4, s40, v[2:3]
	v_mov_b32_e32 v4, v3
	v_mad_u64_u32 v[4:5], s[2:3], v5, s40, v[4:5]
	v_mov_b32_e32 v3, v4
	global_load_ubyte v2, v[2:3], off
.LBB668_7:
	s_or_b64 exec, exec, s[4:5]
	s_waitcnt vmcnt(15)
	v_or_b32_e32 v4, 0x80, v0
	v_cmp_gt_u32_e64 s[2:3], s36, v4
                                        ; implicit-def: $vgpr3
	s_and_saveexec_b64 s[6:7], s[2:3]
	s_cbranch_execz .LBB668_9
; %bb.8:
	v_mov_b32_e32 v3, s45
	v_add_co_u32_e64 v6, s[4:5], s44, v4
	v_pk_mov_b32 v[4:5], s[38:39], s[38:39] op_sel:[0,1]
	v_addc_co_u32_e64 v3, s[4:5], 0, v3, s[4:5]
	v_mad_u64_u32 v[4:5], s[4:5], v6, s40, v[4:5]
	v_mov_b32_e32 v6, v5
	v_mad_u64_u32 v[6:7], s[4:5], v3, s40, v[6:7]
	v_mov_b32_e32 v5, v6
	global_load_ubyte v3, v[4:5], off
.LBB668_9:
	s_or_b64 exec, exec, s[6:7]
	v_or_b32_e32 v5, 0xc0, v0
	v_cmp_gt_u32_e64 s[4:5], s36, v5
                                        ; implicit-def: $vgpr4
	s_and_saveexec_b64 s[8:9], s[4:5]
	s_cbranch_execz .LBB668_11
; %bb.10:
	v_mov_b32_e32 v4, s45
	v_add_co_u32_e64 v6, s[6:7], s44, v5
	v_addc_co_u32_e64 v7, s[6:7], 0, v4, s[6:7]
	v_pk_mov_b32 v[4:5], s[38:39], s[38:39] op_sel:[0,1]
	v_mad_u64_u32 v[4:5], s[6:7], v6, s40, v[4:5]
	v_mov_b32_e32 v6, v5
	v_mad_u64_u32 v[6:7], s[6:7], v7, s40, v[6:7]
	v_mov_b32_e32 v5, v6
	global_load_ubyte v4, v[4:5], off
.LBB668_11:
	s_or_b64 exec, exec, s[8:9]
	v_or_b32_e32 v6, 0x100, v0
	v_cmp_gt_u32_e64 s[6:7], s36, v6
                                        ; implicit-def: $vgpr5
	s_and_saveexec_b64 s[10:11], s[6:7]
	s_cbranch_execz .LBB668_13
; %bb.12:
	v_mov_b32_e32 v5, s45
	v_add_co_u32_e64 v8, s[8:9], s44, v6
	v_pk_mov_b32 v[6:7], s[38:39], s[38:39] op_sel:[0,1]
	v_addc_co_u32_e64 v5, s[8:9], 0, v5, s[8:9]
	v_mad_u64_u32 v[6:7], s[8:9], v8, s40, v[6:7]
	v_mov_b32_e32 v8, v7
	v_mad_u64_u32 v[8:9], s[8:9], v5, s40, v[8:9]
	v_mov_b32_e32 v7, v8
	global_load_ubyte v5, v[6:7], off
.LBB668_13:
	s_or_b64 exec, exec, s[10:11]
	v_or_b32_e32 v7, 0x140, v0
	v_cmp_gt_u32_e64 s[8:9], s36, v7
                                        ; implicit-def: $vgpr6
	s_and_saveexec_b64 s[12:13], s[8:9]
	s_cbranch_execz .LBB668_15
; %bb.14:
	v_mov_b32_e32 v6, s45
	v_add_co_u32_e64 v8, s[10:11], s44, v7
	v_addc_co_u32_e64 v9, s[10:11], 0, v6, s[10:11]
	v_pk_mov_b32 v[6:7], s[38:39], s[38:39] op_sel:[0,1]
	v_mad_u64_u32 v[6:7], s[10:11], v8, s40, v[6:7]
	v_mov_b32_e32 v8, v7
	v_mad_u64_u32 v[8:9], s[10:11], v9, s40, v[8:9]
	v_mov_b32_e32 v7, v8
	global_load_ubyte v6, v[6:7], off
.LBB668_15:
	s_or_b64 exec, exec, s[12:13]
	v_or_b32_e32 v8, 0x180, v0
	v_cmp_gt_u32_e64 s[10:11], s36, v8
                                        ; implicit-def: $vgpr7
	s_and_saveexec_b64 s[14:15], s[10:11]
	s_cbranch_execz .LBB668_17
; %bb.16:
	v_mov_b32_e32 v7, s45
	v_add_co_u32_e64 v10, s[12:13], s44, v8
	v_pk_mov_b32 v[8:9], s[38:39], s[38:39] op_sel:[0,1]
	v_addc_co_u32_e64 v7, s[12:13], 0, v7, s[12:13]
	v_mad_u64_u32 v[8:9], s[12:13], v10, s40, v[8:9]
	v_mov_b32_e32 v10, v9
	v_mad_u64_u32 v[10:11], s[12:13], v7, s40, v[10:11]
	v_mov_b32_e32 v9, v10
	global_load_ubyte v7, v[8:9], off
.LBB668_17:
	s_or_b64 exec, exec, s[14:15]
	v_or_b32_e32 v9, 0x1c0, v0
	v_cmp_gt_u32_e64 s[12:13], s36, v9
                                        ; implicit-def: $vgpr8
	s_and_saveexec_b64 s[16:17], s[12:13]
	s_cbranch_execz .LBB668_19
; %bb.18:
	v_mov_b32_e32 v8, s45
	v_add_co_u32_e64 v10, s[14:15], s44, v9
	v_addc_co_u32_e64 v11, s[14:15], 0, v8, s[14:15]
	v_pk_mov_b32 v[8:9], s[38:39], s[38:39] op_sel:[0,1]
	v_mad_u64_u32 v[8:9], s[14:15], v10, s40, v[8:9]
	v_mov_b32_e32 v10, v9
	v_mad_u64_u32 v[10:11], s[14:15], v11, s40, v[10:11]
	v_mov_b32_e32 v9, v10
	global_load_ubyte v8, v[8:9], off
.LBB668_19:
	s_or_b64 exec, exec, s[16:17]
	v_or_b32_e32 v10, 0x200, v0
	v_cmp_gt_u32_e64 s[14:15], s36, v10
                                        ; implicit-def: $vgpr9
	s_and_saveexec_b64 s[18:19], s[14:15]
	s_cbranch_execz .LBB668_21
; %bb.20:
	v_mov_b32_e32 v9, s45
	v_add_co_u32_e64 v12, s[16:17], s44, v10
	v_pk_mov_b32 v[10:11], s[38:39], s[38:39] op_sel:[0,1]
	v_addc_co_u32_e64 v9, s[16:17], 0, v9, s[16:17]
	v_mad_u64_u32 v[10:11], s[16:17], v12, s40, v[10:11]
	v_mov_b32_e32 v12, v11
	v_mad_u64_u32 v[12:13], s[16:17], v9, s40, v[12:13]
	v_mov_b32_e32 v11, v12
	global_load_ubyte v9, v[10:11], off
.LBB668_21:
	s_or_b64 exec, exec, s[18:19]
	v_or_b32_e32 v11, 0x240, v0
	v_cmp_gt_u32_e64 s[16:17], s36, v11
                                        ; implicit-def: $vgpr10
	s_and_saveexec_b64 s[20:21], s[16:17]
	s_cbranch_execz .LBB668_23
; %bb.22:
	v_mov_b32_e32 v10, s45
	v_add_co_u32_e64 v12, s[18:19], s44, v11
	v_addc_co_u32_e64 v13, s[18:19], 0, v10, s[18:19]
	v_pk_mov_b32 v[10:11], s[38:39], s[38:39] op_sel:[0,1]
	v_mad_u64_u32 v[10:11], s[18:19], v12, s40, v[10:11]
	v_mov_b32_e32 v12, v11
	v_mad_u64_u32 v[12:13], s[18:19], v13, s40, v[12:13]
	v_mov_b32_e32 v11, v12
	global_load_ubyte v10, v[10:11], off
.LBB668_23:
	s_or_b64 exec, exec, s[20:21]
	v_or_b32_e32 v12, 0x280, v0
	v_cmp_gt_u32_e64 s[18:19], s36, v12
                                        ; implicit-def: $vgpr11
	s_and_saveexec_b64 s[22:23], s[18:19]
	s_cbranch_execz .LBB668_25
; %bb.24:
	v_mov_b32_e32 v11, s45
	v_add_co_u32_e64 v14, s[20:21], s44, v12
	v_pk_mov_b32 v[12:13], s[38:39], s[38:39] op_sel:[0,1]
	v_addc_co_u32_e64 v11, s[20:21], 0, v11, s[20:21]
	v_mad_u64_u32 v[12:13], s[20:21], v14, s40, v[12:13]
	v_mov_b32_e32 v14, v13
	v_mad_u64_u32 v[14:15], s[20:21], v11, s40, v[14:15]
	v_mov_b32_e32 v13, v14
	global_load_ubyte v11, v[12:13], off
.LBB668_25:
	s_or_b64 exec, exec, s[22:23]
	v_or_b32_e32 v13, 0x2c0, v0
	v_cmp_gt_u32_e64 s[20:21], s36, v13
                                        ; implicit-def: $vgpr12
	s_and_saveexec_b64 s[24:25], s[20:21]
	s_cbranch_execz .LBB668_27
; %bb.26:
	v_mov_b32_e32 v12, s45
	v_add_co_u32_e64 v14, s[22:23], s44, v13
	v_addc_co_u32_e64 v15, s[22:23], 0, v12, s[22:23]
	v_pk_mov_b32 v[12:13], s[38:39], s[38:39] op_sel:[0,1]
	v_mad_u64_u32 v[12:13], s[22:23], v14, s40, v[12:13]
	v_mov_b32_e32 v14, v13
	v_mad_u64_u32 v[14:15], s[22:23], v15, s40, v[14:15]
	v_mov_b32_e32 v13, v14
	global_load_ubyte v12, v[12:13], off
.LBB668_27:
	s_or_b64 exec, exec, s[24:25]
	v_or_b32_e32 v14, 0x300, v0
	v_cmp_gt_u32_e64 s[22:23], s36, v14
                                        ; implicit-def: $vgpr13
	s_and_saveexec_b64 s[26:27], s[22:23]
	s_cbranch_execz .LBB668_29
; %bb.28:
	v_mov_b32_e32 v13, s45
	v_add_co_u32_e64 v16, s[24:25], s44, v14
	v_pk_mov_b32 v[14:15], s[38:39], s[38:39] op_sel:[0,1]
	v_addc_co_u32_e64 v13, s[24:25], 0, v13, s[24:25]
	v_mad_u64_u32 v[14:15], s[24:25], v16, s40, v[14:15]
	v_mov_b32_e32 v16, v15
	v_mad_u64_u32 v[16:17], s[24:25], v13, s40, v[16:17]
	v_mov_b32_e32 v15, v16
	global_load_ubyte v13, v[14:15], off
.LBB668_29:
	s_or_b64 exec, exec, s[26:27]
	v_or_b32_e32 v15, 0x340, v0
	v_cmp_gt_u32_e64 s[24:25], s36, v15
                                        ; implicit-def: $vgpr14
	s_and_saveexec_b64 s[28:29], s[24:25]
	s_cbranch_execz .LBB668_31
; %bb.30:
	v_mov_b32_e32 v14, s45
	v_add_co_u32_e64 v16, s[26:27], s44, v15
	v_addc_co_u32_e64 v17, s[26:27], 0, v14, s[26:27]
	v_pk_mov_b32 v[14:15], s[38:39], s[38:39] op_sel:[0,1]
	v_mad_u64_u32 v[14:15], s[26:27], v16, s40, v[14:15]
	v_mov_b32_e32 v16, v15
	v_mad_u64_u32 v[16:17], s[26:27], v17, s40, v[16:17]
	v_mov_b32_e32 v15, v16
	global_load_ubyte v14, v[14:15], off
.LBB668_31:
	s_or_b64 exec, exec, s[28:29]
	v_or_b32_e32 v16, 0x380, v0
	v_cmp_gt_u32_e64 s[26:27], s36, v16
                                        ; implicit-def: $vgpr15
	s_and_saveexec_b64 s[30:31], s[26:27]
	s_cbranch_execz .LBB668_33
; %bb.32:
	v_mov_b32_e32 v15, s45
	v_add_co_u32_e64 v18, s[28:29], s44, v16
	v_pk_mov_b32 v[16:17], s[38:39], s[38:39] op_sel:[0,1]
	v_addc_co_u32_e64 v15, s[28:29], 0, v15, s[28:29]
	v_mad_u64_u32 v[16:17], s[28:29], v18, s40, v[16:17]
	v_mov_b32_e32 v18, v17
	v_mad_u64_u32 v[18:19], s[28:29], v15, s40, v[18:19]
	v_mov_b32_e32 v17, v18
	global_load_ubyte v15, v[16:17], off
.LBB668_33:
	s_or_b64 exec, exec, s[30:31]
	v_or_b32_e32 v17, 0x3c0, v0
	v_cmp_gt_u32_e64 s[28:29], s36, v17
                                        ; implicit-def: $vgpr16
	s_and_saveexec_b64 s[36:37], s[28:29]
	s_cbranch_execz .LBB668_35
; %bb.34:
	v_mov_b32_e32 v16, s45
	v_add_co_u32_e64 v18, s[30:31], s44, v17
	v_addc_co_u32_e64 v19, s[30:31], 0, v16, s[30:31]
	v_pk_mov_b32 v[16:17], s[38:39], s[38:39] op_sel:[0,1]
	v_mad_u64_u32 v[16:17], s[30:31], v18, s40, v[16:17]
	v_mov_b32_e32 v18, v17
	v_mad_u64_u32 v[18:19], s[30:31], v19, s40, v[18:19]
	v_mov_b32_e32 v17, v18
	global_load_ubyte v16, v[16:17], off
.LBB668_35:
	s_or_b64 exec, exec, s[36:37]
	s_waitcnt vmcnt(0)
	v_lshlrev_b16_e32 v2, 8, v2
	v_or_b32_sdwa v1, v1, v2 dst_sel:DWORD dst_unused:UNUSED_PAD src0_sel:BYTE_0 src1_sel:DWORD
	v_lshlrev_b16_e32 v2, 8, v4
	v_or_b32_sdwa v2, v3, v2 dst_sel:WORD_1 dst_unused:UNUSED_PAD src0_sel:BYTE_0 src1_sel:DWORD
	v_or_b32_sdwa v17, v1, v2 dst_sel:DWORD dst_unused:UNUSED_PAD src0_sel:WORD_0 src1_sel:DWORD
	v_lshlrev_b16_e32 v1, 8, v6
	v_lshlrev_b16_e32 v2, 8, v8
	v_or_b32_sdwa v1, v5, v1 dst_sel:DWORD dst_unused:UNUSED_PAD src0_sel:BYTE_0 src1_sel:DWORD
	v_or_b32_sdwa v2, v7, v2 dst_sel:WORD_1 dst_unused:UNUSED_PAD src0_sel:BYTE_0 src1_sel:DWORD
	v_or_b32_sdwa v5, v1, v2 dst_sel:DWORD dst_unused:UNUSED_PAD src0_sel:WORD_0 src1_sel:DWORD
	v_lshlrev_b16_e32 v1, 8, v10
	v_lshlrev_b16_e32 v2, 8, v12
	v_or_b32_sdwa v1, v9, v1 dst_sel:DWORD dst_unused:UNUSED_PAD src0_sel:BYTE_0 src1_sel:DWORD
	v_or_b32_sdwa v2, v11, v2 dst_sel:WORD_1 dst_unused:UNUSED_PAD src0_sel:BYTE_0 src1_sel:DWORD
	v_or_b32_sdwa v4, v1, v2 dst_sel:DWORD dst_unused:UNUSED_PAD src0_sel:WORD_0 src1_sel:DWORD
	v_lshlrev_b16_e32 v1, 8, v14
	v_lshlrev_b16_e32 v2, 8, v16
	s_add_u32 s30, s33, s43
	v_or_b32_sdwa v1, v13, v1 dst_sel:DWORD dst_unused:UNUSED_PAD src0_sel:BYTE_0 src1_sel:DWORD
	v_or_b32_sdwa v2, v15, v2 dst_sel:WORD_1 dst_unused:UNUSED_PAD src0_sel:BYTE_0 src1_sel:DWORD
	s_addc_u32 s31, s42, 0
	v_or_b32_sdwa v1, v1, v2 dst_sel:DWORD dst_unused:UNUSED_PAD src0_sel:WORD_0 src1_sel:DWORD
	v_mov_b32_e32 v3, s31
	v_add_co_u32_e64 v2, s[30:31], s30, v0
	v_addc_co_u32_e64 v3, s[30:31], 0, v3, s[30:31]
	s_and_saveexec_b64 s[30:31], vcc
	s_cbranch_execz .LBB668_37
; %bb.36:
	global_store_byte v[2:3], v17, off
.LBB668_37:
	s_or_b64 exec, exec, s[30:31]
	s_and_saveexec_b64 s[30:31], s[0:1]
	s_cbranch_execz .LBB668_39
; %bb.38:
	v_lshrrev_b32_e32 v0, 8, v17
	global_store_byte v[2:3], v0, off offset:64
.LBB668_39:
	s_or_b64 exec, exec, s[30:31]
	s_mov_b32 s0, 0x7060104
	v_perm_b32 v0, v17, v17, s0
	v_cndmask_b32_e64 v6, v0, v17, s[2:3]
	s_and_saveexec_b64 s[0:1], s[2:3]
	s_cbranch_execz .LBB668_41
; %bb.40:
	global_store_byte_d16_hi v[2:3], v6, off offset:128
.LBB668_41:
	s_or_b64 exec, exec, s[0:1]
	s_mov_b32 s0, 0x7020504
	v_perm_b32 v0, v0, v6, s0
	v_cndmask_b32_e64 v0, v0, v17, s[4:5]
	s_and_saveexec_b64 s[0:1], s[4:5]
	s_cbranch_execz .LBB668_43
; %bb.42:
	v_lshrrev_b32_e32 v0, 24, v0
	global_store_byte v[2:3], v0, off offset:192
.LBB668_43:
	s_or_b64 exec, exec, s[0:1]
	s_and_saveexec_b64 s[0:1], s[6:7]
	s_cbranch_execz .LBB668_45
; %bb.44:
	global_store_byte v[2:3], v5, off offset:256
.LBB668_45:
	s_or_b64 exec, exec, s[0:1]
	s_mov_b32 s0, 0x3020104
	v_perm_b32 v0, v5, v5, s0
	v_cndmask_b32_e64 v6, v0, v5, s[8:9]
	s_and_saveexec_b64 s[0:1], s[8:9]
	s_cbranch_execz .LBB668_47
; %bb.46:
	v_lshrrev_b32_e32 v7, 8, v6
	global_store_byte v[2:3], v7, off offset:320
.LBB668_47:
	s_or_b64 exec, exec, s[0:1]
	s_mov_b32 s0, 0x7060104
	v_perm_b32 v0, v0, v6, s0
	v_cndmask_b32_e64 v6, v0, v5, s[10:11]
	s_and_saveexec_b64 s[0:1], s[10:11]
	s_cbranch_execz .LBB668_49
; %bb.48:
	global_store_byte_d16_hi v[2:3], v6, off offset:384
.LBB668_49:
	s_or_b64 exec, exec, s[0:1]
	s_mov_b32 s0, 0x7020504
	v_perm_b32 v0, v0, v6, s0
	v_cndmask_b32_e64 v0, v0, v5, s[12:13]
	s_and_saveexec_b64 s[0:1], s[12:13]
	s_cbranch_execz .LBB668_51
; %bb.50:
	v_lshrrev_b32_e32 v0, 24, v0
	global_store_byte v[2:3], v0, off offset:448
.LBB668_51:
	s_or_b64 exec, exec, s[0:1]
	s_and_saveexec_b64 s[0:1], s[14:15]
	s_cbranch_execz .LBB668_53
; %bb.52:
	global_store_byte v[2:3], v4, off offset:512
.LBB668_53:
	s_or_b64 exec, exec, s[0:1]
	s_mov_b32 s0, 0x3020104
	v_perm_b32 v0, v4, v4, s0
	v_cndmask_b32_e64 v5, v0, v4, s[16:17]
	;; [unrolled: 35-line block ×3, first 2 shown]
	s_and_saveexec_b64 s[0:1], s[24:25]
	s_cbranch_execz .LBB668_63
; %bb.62:
	v_lshrrev_b32_e32 v5, 8, v4
	global_store_byte v[2:3], v5, off offset:832
.LBB668_63:
	s_or_b64 exec, exec, s[0:1]
	s_mov_b32 s0, 0x7060104
	v_perm_b32 v0, v0, v4, s0
	s_and_saveexec_b64 s[0:1], s[26:27]
	s_cbranch_execz .LBB668_65
; %bb.64:
	v_cndmask_b32_e64 v4, v0, v1, s[26:27]
	global_store_byte_d16_hi v[2:3], v4, off offset:896
.LBB668_65:
	s_or_b64 exec, exec, s[0:1]
                                        ; implicit-def: $vgpr4
	s_and_saveexec_b64 s[0:1], s[28:29]
; %bb.66:
	v_cndmask_b32_e64 v0, v0, v1, s[28:29]
	v_lshrrev_b32_e32 v4, 24, v0
	s_or_b64 s[34:35], s[34:35], exec
; %bb.67:
	s_or_b64 exec, exec, s[0:1]
.LBB668_68:
	s_and_saveexec_b64 s[0:1], s[34:35]
	s_cbranch_execnz .LBB668_70
; %bb.69:
	s_endpgm
.LBB668_70:
	s_waitcnt vmcnt(15)
	global_store_byte v[2:3], v4, off offset:960
	s_endpgm
	.section	.rodata,"a",@progbits
	.p2align	6, 0x0
	.amdhsa_kernel _ZN7rocprim17ROCPRIM_400000_NS6detail17trampoline_kernelINS0_14default_configENS1_25transform_config_selectorIaLb0EEEZNS1_14transform_implILb0ES3_S5_NS0_18transform_iteratorINS0_17counting_iteratorImlEEZNS1_24adjacent_difference_implIS3_Lb1ELb0EPaN6thrust23THRUST_200600_302600_NS16discard_iteratorINSD_11use_defaultEEENSD_5minusIaEEEE10hipError_tPvRmT2_T3_mT4_P12ihipStream_tbEUlmE_aEESB_NS0_8identityIvEEEESJ_SM_SN_mSO_SQ_bEUlT_E_NS1_11comp_targetILNS1_3genE4ELNS1_11target_archE910ELNS1_3gpuE8ELNS1_3repE0EEENS1_30default_config_static_selectorELNS0_4arch9wavefront6targetE1EEEvT1_
		.amdhsa_group_segment_fixed_size 0
		.amdhsa_private_segment_fixed_size 0
		.amdhsa_kernarg_size 312
		.amdhsa_user_sgpr_count 6
		.amdhsa_user_sgpr_private_segment_buffer 1
		.amdhsa_user_sgpr_dispatch_ptr 0
		.amdhsa_user_sgpr_queue_ptr 0
		.amdhsa_user_sgpr_kernarg_segment_ptr 1
		.amdhsa_user_sgpr_dispatch_id 0
		.amdhsa_user_sgpr_flat_scratch_init 0
		.amdhsa_user_sgpr_kernarg_preload_length 0
		.amdhsa_user_sgpr_kernarg_preload_offset 0
		.amdhsa_user_sgpr_private_segment_size 0
		.amdhsa_uses_dynamic_stack 0
		.amdhsa_system_sgpr_private_segment_wavefront_offset 0
		.amdhsa_system_sgpr_workgroup_id_x 1
		.amdhsa_system_sgpr_workgroup_id_y 0
		.amdhsa_system_sgpr_workgroup_id_z 0
		.amdhsa_system_sgpr_workgroup_info 0
		.amdhsa_system_vgpr_workitem_id 0
		.amdhsa_next_free_vgpr 20
		.amdhsa_next_free_sgpr 46
		.amdhsa_accum_offset 20
		.amdhsa_reserve_vcc 1
		.amdhsa_reserve_flat_scratch 0
		.amdhsa_float_round_mode_32 0
		.amdhsa_float_round_mode_16_64 0
		.amdhsa_float_denorm_mode_32 3
		.amdhsa_float_denorm_mode_16_64 3
		.amdhsa_dx10_clamp 1
		.amdhsa_ieee_mode 1
		.amdhsa_fp16_overflow 0
		.amdhsa_tg_split 0
		.amdhsa_exception_fp_ieee_invalid_op 0
		.amdhsa_exception_fp_denorm_src 0
		.amdhsa_exception_fp_ieee_div_zero 0
		.amdhsa_exception_fp_ieee_overflow 0
		.amdhsa_exception_fp_ieee_underflow 0
		.amdhsa_exception_fp_ieee_inexact 0
		.amdhsa_exception_int_div_zero 0
	.end_amdhsa_kernel
	.section	.text._ZN7rocprim17ROCPRIM_400000_NS6detail17trampoline_kernelINS0_14default_configENS1_25transform_config_selectorIaLb0EEEZNS1_14transform_implILb0ES3_S5_NS0_18transform_iteratorINS0_17counting_iteratorImlEEZNS1_24adjacent_difference_implIS3_Lb1ELb0EPaN6thrust23THRUST_200600_302600_NS16discard_iteratorINSD_11use_defaultEEENSD_5minusIaEEEE10hipError_tPvRmT2_T3_mT4_P12ihipStream_tbEUlmE_aEESB_NS0_8identityIvEEEESJ_SM_SN_mSO_SQ_bEUlT_E_NS1_11comp_targetILNS1_3genE4ELNS1_11target_archE910ELNS1_3gpuE8ELNS1_3repE0EEENS1_30default_config_static_selectorELNS0_4arch9wavefront6targetE1EEEvT1_,"axG",@progbits,_ZN7rocprim17ROCPRIM_400000_NS6detail17trampoline_kernelINS0_14default_configENS1_25transform_config_selectorIaLb0EEEZNS1_14transform_implILb0ES3_S5_NS0_18transform_iteratorINS0_17counting_iteratorImlEEZNS1_24adjacent_difference_implIS3_Lb1ELb0EPaN6thrust23THRUST_200600_302600_NS16discard_iteratorINSD_11use_defaultEEENSD_5minusIaEEEE10hipError_tPvRmT2_T3_mT4_P12ihipStream_tbEUlmE_aEESB_NS0_8identityIvEEEESJ_SM_SN_mSO_SQ_bEUlT_E_NS1_11comp_targetILNS1_3genE4ELNS1_11target_archE910ELNS1_3gpuE8ELNS1_3repE0EEENS1_30default_config_static_selectorELNS0_4arch9wavefront6targetE1EEEvT1_,comdat
.Lfunc_end668:
	.size	_ZN7rocprim17ROCPRIM_400000_NS6detail17trampoline_kernelINS0_14default_configENS1_25transform_config_selectorIaLb0EEEZNS1_14transform_implILb0ES3_S5_NS0_18transform_iteratorINS0_17counting_iteratorImlEEZNS1_24adjacent_difference_implIS3_Lb1ELb0EPaN6thrust23THRUST_200600_302600_NS16discard_iteratorINSD_11use_defaultEEENSD_5minusIaEEEE10hipError_tPvRmT2_T3_mT4_P12ihipStream_tbEUlmE_aEESB_NS0_8identityIvEEEESJ_SM_SN_mSO_SQ_bEUlT_E_NS1_11comp_targetILNS1_3genE4ELNS1_11target_archE910ELNS1_3gpuE8ELNS1_3repE0EEENS1_30default_config_static_selectorELNS0_4arch9wavefront6targetE1EEEvT1_, .Lfunc_end668-_ZN7rocprim17ROCPRIM_400000_NS6detail17trampoline_kernelINS0_14default_configENS1_25transform_config_selectorIaLb0EEEZNS1_14transform_implILb0ES3_S5_NS0_18transform_iteratorINS0_17counting_iteratorImlEEZNS1_24adjacent_difference_implIS3_Lb1ELb0EPaN6thrust23THRUST_200600_302600_NS16discard_iteratorINSD_11use_defaultEEENSD_5minusIaEEEE10hipError_tPvRmT2_T3_mT4_P12ihipStream_tbEUlmE_aEESB_NS0_8identityIvEEEESJ_SM_SN_mSO_SQ_bEUlT_E_NS1_11comp_targetILNS1_3genE4ELNS1_11target_archE910ELNS1_3gpuE8ELNS1_3repE0EEENS1_30default_config_static_selectorELNS0_4arch9wavefront6targetE1EEEvT1_
                                        ; -- End function
	.section	.AMDGPU.csdata,"",@progbits
; Kernel info:
; codeLenInByte = 2796
; NumSgprs: 50
; NumVgprs: 20
; NumAgprs: 0
; TotalNumVgprs: 20
; ScratchSize: 0
; MemoryBound: 0
; FloatMode: 240
; IeeeMode: 1
; LDSByteSize: 0 bytes/workgroup (compile time only)
; SGPRBlocks: 6
; VGPRBlocks: 2
; NumSGPRsForWavesPerEU: 50
; NumVGPRsForWavesPerEU: 20
; AccumOffset: 20
; Occupancy: 8
; WaveLimiterHint : 0
; COMPUTE_PGM_RSRC2:SCRATCH_EN: 0
; COMPUTE_PGM_RSRC2:USER_SGPR: 6
; COMPUTE_PGM_RSRC2:TRAP_HANDLER: 0
; COMPUTE_PGM_RSRC2:TGID_X_EN: 1
; COMPUTE_PGM_RSRC2:TGID_Y_EN: 0
; COMPUTE_PGM_RSRC2:TGID_Z_EN: 0
; COMPUTE_PGM_RSRC2:TIDIG_COMP_CNT: 0
; COMPUTE_PGM_RSRC3_GFX90A:ACCUM_OFFSET: 4
; COMPUTE_PGM_RSRC3_GFX90A:TG_SPLIT: 0
	.section	.text._ZN7rocprim17ROCPRIM_400000_NS6detail17trampoline_kernelINS0_14default_configENS1_25transform_config_selectorIaLb0EEEZNS1_14transform_implILb0ES3_S5_NS0_18transform_iteratorINS0_17counting_iteratorImlEEZNS1_24adjacent_difference_implIS3_Lb1ELb0EPaN6thrust23THRUST_200600_302600_NS16discard_iteratorINSD_11use_defaultEEENSD_5minusIaEEEE10hipError_tPvRmT2_T3_mT4_P12ihipStream_tbEUlmE_aEESB_NS0_8identityIvEEEESJ_SM_SN_mSO_SQ_bEUlT_E_NS1_11comp_targetILNS1_3genE3ELNS1_11target_archE908ELNS1_3gpuE7ELNS1_3repE0EEENS1_30default_config_static_selectorELNS0_4arch9wavefront6targetE1EEEvT1_,"axG",@progbits,_ZN7rocprim17ROCPRIM_400000_NS6detail17trampoline_kernelINS0_14default_configENS1_25transform_config_selectorIaLb0EEEZNS1_14transform_implILb0ES3_S5_NS0_18transform_iteratorINS0_17counting_iteratorImlEEZNS1_24adjacent_difference_implIS3_Lb1ELb0EPaN6thrust23THRUST_200600_302600_NS16discard_iteratorINSD_11use_defaultEEENSD_5minusIaEEEE10hipError_tPvRmT2_T3_mT4_P12ihipStream_tbEUlmE_aEESB_NS0_8identityIvEEEESJ_SM_SN_mSO_SQ_bEUlT_E_NS1_11comp_targetILNS1_3genE3ELNS1_11target_archE908ELNS1_3gpuE7ELNS1_3repE0EEENS1_30default_config_static_selectorELNS0_4arch9wavefront6targetE1EEEvT1_,comdat
	.protected	_ZN7rocprim17ROCPRIM_400000_NS6detail17trampoline_kernelINS0_14default_configENS1_25transform_config_selectorIaLb0EEEZNS1_14transform_implILb0ES3_S5_NS0_18transform_iteratorINS0_17counting_iteratorImlEEZNS1_24adjacent_difference_implIS3_Lb1ELb0EPaN6thrust23THRUST_200600_302600_NS16discard_iteratorINSD_11use_defaultEEENSD_5minusIaEEEE10hipError_tPvRmT2_T3_mT4_P12ihipStream_tbEUlmE_aEESB_NS0_8identityIvEEEESJ_SM_SN_mSO_SQ_bEUlT_E_NS1_11comp_targetILNS1_3genE3ELNS1_11target_archE908ELNS1_3gpuE7ELNS1_3repE0EEENS1_30default_config_static_selectorELNS0_4arch9wavefront6targetE1EEEvT1_ ; -- Begin function _ZN7rocprim17ROCPRIM_400000_NS6detail17trampoline_kernelINS0_14default_configENS1_25transform_config_selectorIaLb0EEEZNS1_14transform_implILb0ES3_S5_NS0_18transform_iteratorINS0_17counting_iteratorImlEEZNS1_24adjacent_difference_implIS3_Lb1ELb0EPaN6thrust23THRUST_200600_302600_NS16discard_iteratorINSD_11use_defaultEEENSD_5minusIaEEEE10hipError_tPvRmT2_T3_mT4_P12ihipStream_tbEUlmE_aEESB_NS0_8identityIvEEEESJ_SM_SN_mSO_SQ_bEUlT_E_NS1_11comp_targetILNS1_3genE3ELNS1_11target_archE908ELNS1_3gpuE7ELNS1_3repE0EEENS1_30default_config_static_selectorELNS0_4arch9wavefront6targetE1EEEvT1_
	.globl	_ZN7rocprim17ROCPRIM_400000_NS6detail17trampoline_kernelINS0_14default_configENS1_25transform_config_selectorIaLb0EEEZNS1_14transform_implILb0ES3_S5_NS0_18transform_iteratorINS0_17counting_iteratorImlEEZNS1_24adjacent_difference_implIS3_Lb1ELb0EPaN6thrust23THRUST_200600_302600_NS16discard_iteratorINSD_11use_defaultEEENSD_5minusIaEEEE10hipError_tPvRmT2_T3_mT4_P12ihipStream_tbEUlmE_aEESB_NS0_8identityIvEEEESJ_SM_SN_mSO_SQ_bEUlT_E_NS1_11comp_targetILNS1_3genE3ELNS1_11target_archE908ELNS1_3gpuE7ELNS1_3repE0EEENS1_30default_config_static_selectorELNS0_4arch9wavefront6targetE1EEEvT1_
	.p2align	8
	.type	_ZN7rocprim17ROCPRIM_400000_NS6detail17trampoline_kernelINS0_14default_configENS1_25transform_config_selectorIaLb0EEEZNS1_14transform_implILb0ES3_S5_NS0_18transform_iteratorINS0_17counting_iteratorImlEEZNS1_24adjacent_difference_implIS3_Lb1ELb0EPaN6thrust23THRUST_200600_302600_NS16discard_iteratorINSD_11use_defaultEEENSD_5minusIaEEEE10hipError_tPvRmT2_T3_mT4_P12ihipStream_tbEUlmE_aEESB_NS0_8identityIvEEEESJ_SM_SN_mSO_SQ_bEUlT_E_NS1_11comp_targetILNS1_3genE3ELNS1_11target_archE908ELNS1_3gpuE7ELNS1_3repE0EEENS1_30default_config_static_selectorELNS0_4arch9wavefront6targetE1EEEvT1_,@function
_ZN7rocprim17ROCPRIM_400000_NS6detail17trampoline_kernelINS0_14default_configENS1_25transform_config_selectorIaLb0EEEZNS1_14transform_implILb0ES3_S5_NS0_18transform_iteratorINS0_17counting_iteratorImlEEZNS1_24adjacent_difference_implIS3_Lb1ELb0EPaN6thrust23THRUST_200600_302600_NS16discard_iteratorINSD_11use_defaultEEENSD_5minusIaEEEE10hipError_tPvRmT2_T3_mT4_P12ihipStream_tbEUlmE_aEESB_NS0_8identityIvEEEESJ_SM_SN_mSO_SQ_bEUlT_E_NS1_11comp_targetILNS1_3genE3ELNS1_11target_archE908ELNS1_3gpuE7ELNS1_3repE0EEENS1_30default_config_static_selectorELNS0_4arch9wavefront6targetE1EEEvT1_: ; @_ZN7rocprim17ROCPRIM_400000_NS6detail17trampoline_kernelINS0_14default_configENS1_25transform_config_selectorIaLb0EEEZNS1_14transform_implILb0ES3_S5_NS0_18transform_iteratorINS0_17counting_iteratorImlEEZNS1_24adjacent_difference_implIS3_Lb1ELb0EPaN6thrust23THRUST_200600_302600_NS16discard_iteratorINSD_11use_defaultEEENSD_5minusIaEEEE10hipError_tPvRmT2_T3_mT4_P12ihipStream_tbEUlmE_aEESB_NS0_8identityIvEEEESJ_SM_SN_mSO_SQ_bEUlT_E_NS1_11comp_targetILNS1_3genE3ELNS1_11target_archE908ELNS1_3gpuE7ELNS1_3repE0EEENS1_30default_config_static_selectorELNS0_4arch9wavefront6targetE1EEEvT1_
; %bb.0:
	.section	.rodata,"a",@progbits
	.p2align	6, 0x0
	.amdhsa_kernel _ZN7rocprim17ROCPRIM_400000_NS6detail17trampoline_kernelINS0_14default_configENS1_25transform_config_selectorIaLb0EEEZNS1_14transform_implILb0ES3_S5_NS0_18transform_iteratorINS0_17counting_iteratorImlEEZNS1_24adjacent_difference_implIS3_Lb1ELb0EPaN6thrust23THRUST_200600_302600_NS16discard_iteratorINSD_11use_defaultEEENSD_5minusIaEEEE10hipError_tPvRmT2_T3_mT4_P12ihipStream_tbEUlmE_aEESB_NS0_8identityIvEEEESJ_SM_SN_mSO_SQ_bEUlT_E_NS1_11comp_targetILNS1_3genE3ELNS1_11target_archE908ELNS1_3gpuE7ELNS1_3repE0EEENS1_30default_config_static_selectorELNS0_4arch9wavefront6targetE1EEEvT1_
		.amdhsa_group_segment_fixed_size 0
		.amdhsa_private_segment_fixed_size 0
		.amdhsa_kernarg_size 56
		.amdhsa_user_sgpr_count 6
		.amdhsa_user_sgpr_private_segment_buffer 1
		.amdhsa_user_sgpr_dispatch_ptr 0
		.amdhsa_user_sgpr_queue_ptr 0
		.amdhsa_user_sgpr_kernarg_segment_ptr 1
		.amdhsa_user_sgpr_dispatch_id 0
		.amdhsa_user_sgpr_flat_scratch_init 0
		.amdhsa_user_sgpr_kernarg_preload_length 0
		.amdhsa_user_sgpr_kernarg_preload_offset 0
		.amdhsa_user_sgpr_private_segment_size 0
		.amdhsa_uses_dynamic_stack 0
		.amdhsa_system_sgpr_private_segment_wavefront_offset 0
		.amdhsa_system_sgpr_workgroup_id_x 1
		.amdhsa_system_sgpr_workgroup_id_y 0
		.amdhsa_system_sgpr_workgroup_id_z 0
		.amdhsa_system_sgpr_workgroup_info 0
		.amdhsa_system_vgpr_workitem_id 0
		.amdhsa_next_free_vgpr 1
		.amdhsa_next_free_sgpr 0
		.amdhsa_accum_offset 4
		.amdhsa_reserve_vcc 0
		.amdhsa_reserve_flat_scratch 0
		.amdhsa_float_round_mode_32 0
		.amdhsa_float_round_mode_16_64 0
		.amdhsa_float_denorm_mode_32 3
		.amdhsa_float_denorm_mode_16_64 3
		.amdhsa_dx10_clamp 1
		.amdhsa_ieee_mode 1
		.amdhsa_fp16_overflow 0
		.amdhsa_tg_split 0
		.amdhsa_exception_fp_ieee_invalid_op 0
		.amdhsa_exception_fp_denorm_src 0
		.amdhsa_exception_fp_ieee_div_zero 0
		.amdhsa_exception_fp_ieee_overflow 0
		.amdhsa_exception_fp_ieee_underflow 0
		.amdhsa_exception_fp_ieee_inexact 0
		.amdhsa_exception_int_div_zero 0
	.end_amdhsa_kernel
	.section	.text._ZN7rocprim17ROCPRIM_400000_NS6detail17trampoline_kernelINS0_14default_configENS1_25transform_config_selectorIaLb0EEEZNS1_14transform_implILb0ES3_S5_NS0_18transform_iteratorINS0_17counting_iteratorImlEEZNS1_24adjacent_difference_implIS3_Lb1ELb0EPaN6thrust23THRUST_200600_302600_NS16discard_iteratorINSD_11use_defaultEEENSD_5minusIaEEEE10hipError_tPvRmT2_T3_mT4_P12ihipStream_tbEUlmE_aEESB_NS0_8identityIvEEEESJ_SM_SN_mSO_SQ_bEUlT_E_NS1_11comp_targetILNS1_3genE3ELNS1_11target_archE908ELNS1_3gpuE7ELNS1_3repE0EEENS1_30default_config_static_selectorELNS0_4arch9wavefront6targetE1EEEvT1_,"axG",@progbits,_ZN7rocprim17ROCPRIM_400000_NS6detail17trampoline_kernelINS0_14default_configENS1_25transform_config_selectorIaLb0EEEZNS1_14transform_implILb0ES3_S5_NS0_18transform_iteratorINS0_17counting_iteratorImlEEZNS1_24adjacent_difference_implIS3_Lb1ELb0EPaN6thrust23THRUST_200600_302600_NS16discard_iteratorINSD_11use_defaultEEENSD_5minusIaEEEE10hipError_tPvRmT2_T3_mT4_P12ihipStream_tbEUlmE_aEESB_NS0_8identityIvEEEESJ_SM_SN_mSO_SQ_bEUlT_E_NS1_11comp_targetILNS1_3genE3ELNS1_11target_archE908ELNS1_3gpuE7ELNS1_3repE0EEENS1_30default_config_static_selectorELNS0_4arch9wavefront6targetE1EEEvT1_,comdat
.Lfunc_end669:
	.size	_ZN7rocprim17ROCPRIM_400000_NS6detail17trampoline_kernelINS0_14default_configENS1_25transform_config_selectorIaLb0EEEZNS1_14transform_implILb0ES3_S5_NS0_18transform_iteratorINS0_17counting_iteratorImlEEZNS1_24adjacent_difference_implIS3_Lb1ELb0EPaN6thrust23THRUST_200600_302600_NS16discard_iteratorINSD_11use_defaultEEENSD_5minusIaEEEE10hipError_tPvRmT2_T3_mT4_P12ihipStream_tbEUlmE_aEESB_NS0_8identityIvEEEESJ_SM_SN_mSO_SQ_bEUlT_E_NS1_11comp_targetILNS1_3genE3ELNS1_11target_archE908ELNS1_3gpuE7ELNS1_3repE0EEENS1_30default_config_static_selectorELNS0_4arch9wavefront6targetE1EEEvT1_, .Lfunc_end669-_ZN7rocprim17ROCPRIM_400000_NS6detail17trampoline_kernelINS0_14default_configENS1_25transform_config_selectorIaLb0EEEZNS1_14transform_implILb0ES3_S5_NS0_18transform_iteratorINS0_17counting_iteratorImlEEZNS1_24adjacent_difference_implIS3_Lb1ELb0EPaN6thrust23THRUST_200600_302600_NS16discard_iteratorINSD_11use_defaultEEENSD_5minusIaEEEE10hipError_tPvRmT2_T3_mT4_P12ihipStream_tbEUlmE_aEESB_NS0_8identityIvEEEESJ_SM_SN_mSO_SQ_bEUlT_E_NS1_11comp_targetILNS1_3genE3ELNS1_11target_archE908ELNS1_3gpuE7ELNS1_3repE0EEENS1_30default_config_static_selectorELNS0_4arch9wavefront6targetE1EEEvT1_
                                        ; -- End function
	.section	.AMDGPU.csdata,"",@progbits
; Kernel info:
; codeLenInByte = 0
; NumSgprs: 4
; NumVgprs: 0
; NumAgprs: 0
; TotalNumVgprs: 0
; ScratchSize: 0
; MemoryBound: 0
; FloatMode: 240
; IeeeMode: 1
; LDSByteSize: 0 bytes/workgroup (compile time only)
; SGPRBlocks: 0
; VGPRBlocks: 0
; NumSGPRsForWavesPerEU: 4
; NumVGPRsForWavesPerEU: 1
; AccumOffset: 4
; Occupancy: 8
; WaveLimiterHint : 0
; COMPUTE_PGM_RSRC2:SCRATCH_EN: 0
; COMPUTE_PGM_RSRC2:USER_SGPR: 6
; COMPUTE_PGM_RSRC2:TRAP_HANDLER: 0
; COMPUTE_PGM_RSRC2:TGID_X_EN: 1
; COMPUTE_PGM_RSRC2:TGID_Y_EN: 0
; COMPUTE_PGM_RSRC2:TGID_Z_EN: 0
; COMPUTE_PGM_RSRC2:TIDIG_COMP_CNT: 0
; COMPUTE_PGM_RSRC3_GFX90A:ACCUM_OFFSET: 0
; COMPUTE_PGM_RSRC3_GFX90A:TG_SPLIT: 0
	.section	.text._ZN7rocprim17ROCPRIM_400000_NS6detail17trampoline_kernelINS0_14default_configENS1_25transform_config_selectorIaLb0EEEZNS1_14transform_implILb0ES3_S5_NS0_18transform_iteratorINS0_17counting_iteratorImlEEZNS1_24adjacent_difference_implIS3_Lb1ELb0EPaN6thrust23THRUST_200600_302600_NS16discard_iteratorINSD_11use_defaultEEENSD_5minusIaEEEE10hipError_tPvRmT2_T3_mT4_P12ihipStream_tbEUlmE_aEESB_NS0_8identityIvEEEESJ_SM_SN_mSO_SQ_bEUlT_E_NS1_11comp_targetILNS1_3genE2ELNS1_11target_archE906ELNS1_3gpuE6ELNS1_3repE0EEENS1_30default_config_static_selectorELNS0_4arch9wavefront6targetE1EEEvT1_,"axG",@progbits,_ZN7rocprim17ROCPRIM_400000_NS6detail17trampoline_kernelINS0_14default_configENS1_25transform_config_selectorIaLb0EEEZNS1_14transform_implILb0ES3_S5_NS0_18transform_iteratorINS0_17counting_iteratorImlEEZNS1_24adjacent_difference_implIS3_Lb1ELb0EPaN6thrust23THRUST_200600_302600_NS16discard_iteratorINSD_11use_defaultEEENSD_5minusIaEEEE10hipError_tPvRmT2_T3_mT4_P12ihipStream_tbEUlmE_aEESB_NS0_8identityIvEEEESJ_SM_SN_mSO_SQ_bEUlT_E_NS1_11comp_targetILNS1_3genE2ELNS1_11target_archE906ELNS1_3gpuE6ELNS1_3repE0EEENS1_30default_config_static_selectorELNS0_4arch9wavefront6targetE1EEEvT1_,comdat
	.protected	_ZN7rocprim17ROCPRIM_400000_NS6detail17trampoline_kernelINS0_14default_configENS1_25transform_config_selectorIaLb0EEEZNS1_14transform_implILb0ES3_S5_NS0_18transform_iteratorINS0_17counting_iteratorImlEEZNS1_24adjacent_difference_implIS3_Lb1ELb0EPaN6thrust23THRUST_200600_302600_NS16discard_iteratorINSD_11use_defaultEEENSD_5minusIaEEEE10hipError_tPvRmT2_T3_mT4_P12ihipStream_tbEUlmE_aEESB_NS0_8identityIvEEEESJ_SM_SN_mSO_SQ_bEUlT_E_NS1_11comp_targetILNS1_3genE2ELNS1_11target_archE906ELNS1_3gpuE6ELNS1_3repE0EEENS1_30default_config_static_selectorELNS0_4arch9wavefront6targetE1EEEvT1_ ; -- Begin function _ZN7rocprim17ROCPRIM_400000_NS6detail17trampoline_kernelINS0_14default_configENS1_25transform_config_selectorIaLb0EEEZNS1_14transform_implILb0ES3_S5_NS0_18transform_iteratorINS0_17counting_iteratorImlEEZNS1_24adjacent_difference_implIS3_Lb1ELb0EPaN6thrust23THRUST_200600_302600_NS16discard_iteratorINSD_11use_defaultEEENSD_5minusIaEEEE10hipError_tPvRmT2_T3_mT4_P12ihipStream_tbEUlmE_aEESB_NS0_8identityIvEEEESJ_SM_SN_mSO_SQ_bEUlT_E_NS1_11comp_targetILNS1_3genE2ELNS1_11target_archE906ELNS1_3gpuE6ELNS1_3repE0EEENS1_30default_config_static_selectorELNS0_4arch9wavefront6targetE1EEEvT1_
	.globl	_ZN7rocprim17ROCPRIM_400000_NS6detail17trampoline_kernelINS0_14default_configENS1_25transform_config_selectorIaLb0EEEZNS1_14transform_implILb0ES3_S5_NS0_18transform_iteratorINS0_17counting_iteratorImlEEZNS1_24adjacent_difference_implIS3_Lb1ELb0EPaN6thrust23THRUST_200600_302600_NS16discard_iteratorINSD_11use_defaultEEENSD_5minusIaEEEE10hipError_tPvRmT2_T3_mT4_P12ihipStream_tbEUlmE_aEESB_NS0_8identityIvEEEESJ_SM_SN_mSO_SQ_bEUlT_E_NS1_11comp_targetILNS1_3genE2ELNS1_11target_archE906ELNS1_3gpuE6ELNS1_3repE0EEENS1_30default_config_static_selectorELNS0_4arch9wavefront6targetE1EEEvT1_
	.p2align	8
	.type	_ZN7rocprim17ROCPRIM_400000_NS6detail17trampoline_kernelINS0_14default_configENS1_25transform_config_selectorIaLb0EEEZNS1_14transform_implILb0ES3_S5_NS0_18transform_iteratorINS0_17counting_iteratorImlEEZNS1_24adjacent_difference_implIS3_Lb1ELb0EPaN6thrust23THRUST_200600_302600_NS16discard_iteratorINSD_11use_defaultEEENSD_5minusIaEEEE10hipError_tPvRmT2_T3_mT4_P12ihipStream_tbEUlmE_aEESB_NS0_8identityIvEEEESJ_SM_SN_mSO_SQ_bEUlT_E_NS1_11comp_targetILNS1_3genE2ELNS1_11target_archE906ELNS1_3gpuE6ELNS1_3repE0EEENS1_30default_config_static_selectorELNS0_4arch9wavefront6targetE1EEEvT1_,@function
_ZN7rocprim17ROCPRIM_400000_NS6detail17trampoline_kernelINS0_14default_configENS1_25transform_config_selectorIaLb0EEEZNS1_14transform_implILb0ES3_S5_NS0_18transform_iteratorINS0_17counting_iteratorImlEEZNS1_24adjacent_difference_implIS3_Lb1ELb0EPaN6thrust23THRUST_200600_302600_NS16discard_iteratorINSD_11use_defaultEEENSD_5minusIaEEEE10hipError_tPvRmT2_T3_mT4_P12ihipStream_tbEUlmE_aEESB_NS0_8identityIvEEEESJ_SM_SN_mSO_SQ_bEUlT_E_NS1_11comp_targetILNS1_3genE2ELNS1_11target_archE906ELNS1_3gpuE6ELNS1_3repE0EEENS1_30default_config_static_selectorELNS0_4arch9wavefront6targetE1EEEvT1_: ; @_ZN7rocprim17ROCPRIM_400000_NS6detail17trampoline_kernelINS0_14default_configENS1_25transform_config_selectorIaLb0EEEZNS1_14transform_implILb0ES3_S5_NS0_18transform_iteratorINS0_17counting_iteratorImlEEZNS1_24adjacent_difference_implIS3_Lb1ELb0EPaN6thrust23THRUST_200600_302600_NS16discard_iteratorINSD_11use_defaultEEENSD_5minusIaEEEE10hipError_tPvRmT2_T3_mT4_P12ihipStream_tbEUlmE_aEESB_NS0_8identityIvEEEESJ_SM_SN_mSO_SQ_bEUlT_E_NS1_11comp_targetILNS1_3genE2ELNS1_11target_archE906ELNS1_3gpuE6ELNS1_3repE0EEENS1_30default_config_static_selectorELNS0_4arch9wavefront6targetE1EEEvT1_
; %bb.0:
	.section	.rodata,"a",@progbits
	.p2align	6, 0x0
	.amdhsa_kernel _ZN7rocprim17ROCPRIM_400000_NS6detail17trampoline_kernelINS0_14default_configENS1_25transform_config_selectorIaLb0EEEZNS1_14transform_implILb0ES3_S5_NS0_18transform_iteratorINS0_17counting_iteratorImlEEZNS1_24adjacent_difference_implIS3_Lb1ELb0EPaN6thrust23THRUST_200600_302600_NS16discard_iteratorINSD_11use_defaultEEENSD_5minusIaEEEE10hipError_tPvRmT2_T3_mT4_P12ihipStream_tbEUlmE_aEESB_NS0_8identityIvEEEESJ_SM_SN_mSO_SQ_bEUlT_E_NS1_11comp_targetILNS1_3genE2ELNS1_11target_archE906ELNS1_3gpuE6ELNS1_3repE0EEENS1_30default_config_static_selectorELNS0_4arch9wavefront6targetE1EEEvT1_
		.amdhsa_group_segment_fixed_size 0
		.amdhsa_private_segment_fixed_size 0
		.amdhsa_kernarg_size 56
		.amdhsa_user_sgpr_count 6
		.amdhsa_user_sgpr_private_segment_buffer 1
		.amdhsa_user_sgpr_dispatch_ptr 0
		.amdhsa_user_sgpr_queue_ptr 0
		.amdhsa_user_sgpr_kernarg_segment_ptr 1
		.amdhsa_user_sgpr_dispatch_id 0
		.amdhsa_user_sgpr_flat_scratch_init 0
		.amdhsa_user_sgpr_kernarg_preload_length 0
		.amdhsa_user_sgpr_kernarg_preload_offset 0
		.amdhsa_user_sgpr_private_segment_size 0
		.amdhsa_uses_dynamic_stack 0
		.amdhsa_system_sgpr_private_segment_wavefront_offset 0
		.amdhsa_system_sgpr_workgroup_id_x 1
		.amdhsa_system_sgpr_workgroup_id_y 0
		.amdhsa_system_sgpr_workgroup_id_z 0
		.amdhsa_system_sgpr_workgroup_info 0
		.amdhsa_system_vgpr_workitem_id 0
		.amdhsa_next_free_vgpr 1
		.amdhsa_next_free_sgpr 0
		.amdhsa_accum_offset 4
		.amdhsa_reserve_vcc 0
		.amdhsa_reserve_flat_scratch 0
		.amdhsa_float_round_mode_32 0
		.amdhsa_float_round_mode_16_64 0
		.amdhsa_float_denorm_mode_32 3
		.amdhsa_float_denorm_mode_16_64 3
		.amdhsa_dx10_clamp 1
		.amdhsa_ieee_mode 1
		.amdhsa_fp16_overflow 0
		.amdhsa_tg_split 0
		.amdhsa_exception_fp_ieee_invalid_op 0
		.amdhsa_exception_fp_denorm_src 0
		.amdhsa_exception_fp_ieee_div_zero 0
		.amdhsa_exception_fp_ieee_overflow 0
		.amdhsa_exception_fp_ieee_underflow 0
		.amdhsa_exception_fp_ieee_inexact 0
		.amdhsa_exception_int_div_zero 0
	.end_amdhsa_kernel
	.section	.text._ZN7rocprim17ROCPRIM_400000_NS6detail17trampoline_kernelINS0_14default_configENS1_25transform_config_selectorIaLb0EEEZNS1_14transform_implILb0ES3_S5_NS0_18transform_iteratorINS0_17counting_iteratorImlEEZNS1_24adjacent_difference_implIS3_Lb1ELb0EPaN6thrust23THRUST_200600_302600_NS16discard_iteratorINSD_11use_defaultEEENSD_5minusIaEEEE10hipError_tPvRmT2_T3_mT4_P12ihipStream_tbEUlmE_aEESB_NS0_8identityIvEEEESJ_SM_SN_mSO_SQ_bEUlT_E_NS1_11comp_targetILNS1_3genE2ELNS1_11target_archE906ELNS1_3gpuE6ELNS1_3repE0EEENS1_30default_config_static_selectorELNS0_4arch9wavefront6targetE1EEEvT1_,"axG",@progbits,_ZN7rocprim17ROCPRIM_400000_NS6detail17trampoline_kernelINS0_14default_configENS1_25transform_config_selectorIaLb0EEEZNS1_14transform_implILb0ES3_S5_NS0_18transform_iteratorINS0_17counting_iteratorImlEEZNS1_24adjacent_difference_implIS3_Lb1ELb0EPaN6thrust23THRUST_200600_302600_NS16discard_iteratorINSD_11use_defaultEEENSD_5minusIaEEEE10hipError_tPvRmT2_T3_mT4_P12ihipStream_tbEUlmE_aEESB_NS0_8identityIvEEEESJ_SM_SN_mSO_SQ_bEUlT_E_NS1_11comp_targetILNS1_3genE2ELNS1_11target_archE906ELNS1_3gpuE6ELNS1_3repE0EEENS1_30default_config_static_selectorELNS0_4arch9wavefront6targetE1EEEvT1_,comdat
.Lfunc_end670:
	.size	_ZN7rocprim17ROCPRIM_400000_NS6detail17trampoline_kernelINS0_14default_configENS1_25transform_config_selectorIaLb0EEEZNS1_14transform_implILb0ES3_S5_NS0_18transform_iteratorINS0_17counting_iteratorImlEEZNS1_24adjacent_difference_implIS3_Lb1ELb0EPaN6thrust23THRUST_200600_302600_NS16discard_iteratorINSD_11use_defaultEEENSD_5minusIaEEEE10hipError_tPvRmT2_T3_mT4_P12ihipStream_tbEUlmE_aEESB_NS0_8identityIvEEEESJ_SM_SN_mSO_SQ_bEUlT_E_NS1_11comp_targetILNS1_3genE2ELNS1_11target_archE906ELNS1_3gpuE6ELNS1_3repE0EEENS1_30default_config_static_selectorELNS0_4arch9wavefront6targetE1EEEvT1_, .Lfunc_end670-_ZN7rocprim17ROCPRIM_400000_NS6detail17trampoline_kernelINS0_14default_configENS1_25transform_config_selectorIaLb0EEEZNS1_14transform_implILb0ES3_S5_NS0_18transform_iteratorINS0_17counting_iteratorImlEEZNS1_24adjacent_difference_implIS3_Lb1ELb0EPaN6thrust23THRUST_200600_302600_NS16discard_iteratorINSD_11use_defaultEEENSD_5minusIaEEEE10hipError_tPvRmT2_T3_mT4_P12ihipStream_tbEUlmE_aEESB_NS0_8identityIvEEEESJ_SM_SN_mSO_SQ_bEUlT_E_NS1_11comp_targetILNS1_3genE2ELNS1_11target_archE906ELNS1_3gpuE6ELNS1_3repE0EEENS1_30default_config_static_selectorELNS0_4arch9wavefront6targetE1EEEvT1_
                                        ; -- End function
	.section	.AMDGPU.csdata,"",@progbits
; Kernel info:
; codeLenInByte = 0
; NumSgprs: 4
; NumVgprs: 0
; NumAgprs: 0
; TotalNumVgprs: 0
; ScratchSize: 0
; MemoryBound: 0
; FloatMode: 240
; IeeeMode: 1
; LDSByteSize: 0 bytes/workgroup (compile time only)
; SGPRBlocks: 0
; VGPRBlocks: 0
; NumSGPRsForWavesPerEU: 4
; NumVGPRsForWavesPerEU: 1
; AccumOffset: 4
; Occupancy: 8
; WaveLimiterHint : 0
; COMPUTE_PGM_RSRC2:SCRATCH_EN: 0
; COMPUTE_PGM_RSRC2:USER_SGPR: 6
; COMPUTE_PGM_RSRC2:TRAP_HANDLER: 0
; COMPUTE_PGM_RSRC2:TGID_X_EN: 1
; COMPUTE_PGM_RSRC2:TGID_Y_EN: 0
; COMPUTE_PGM_RSRC2:TGID_Z_EN: 0
; COMPUTE_PGM_RSRC2:TIDIG_COMP_CNT: 0
; COMPUTE_PGM_RSRC3_GFX90A:ACCUM_OFFSET: 0
; COMPUTE_PGM_RSRC3_GFX90A:TG_SPLIT: 0
	.section	.text._ZN7rocprim17ROCPRIM_400000_NS6detail17trampoline_kernelINS0_14default_configENS1_25transform_config_selectorIaLb0EEEZNS1_14transform_implILb0ES3_S5_NS0_18transform_iteratorINS0_17counting_iteratorImlEEZNS1_24adjacent_difference_implIS3_Lb1ELb0EPaN6thrust23THRUST_200600_302600_NS16discard_iteratorINSD_11use_defaultEEENSD_5minusIaEEEE10hipError_tPvRmT2_T3_mT4_P12ihipStream_tbEUlmE_aEESB_NS0_8identityIvEEEESJ_SM_SN_mSO_SQ_bEUlT_E_NS1_11comp_targetILNS1_3genE10ELNS1_11target_archE1201ELNS1_3gpuE5ELNS1_3repE0EEENS1_30default_config_static_selectorELNS0_4arch9wavefront6targetE1EEEvT1_,"axG",@progbits,_ZN7rocprim17ROCPRIM_400000_NS6detail17trampoline_kernelINS0_14default_configENS1_25transform_config_selectorIaLb0EEEZNS1_14transform_implILb0ES3_S5_NS0_18transform_iteratorINS0_17counting_iteratorImlEEZNS1_24adjacent_difference_implIS3_Lb1ELb0EPaN6thrust23THRUST_200600_302600_NS16discard_iteratorINSD_11use_defaultEEENSD_5minusIaEEEE10hipError_tPvRmT2_T3_mT4_P12ihipStream_tbEUlmE_aEESB_NS0_8identityIvEEEESJ_SM_SN_mSO_SQ_bEUlT_E_NS1_11comp_targetILNS1_3genE10ELNS1_11target_archE1201ELNS1_3gpuE5ELNS1_3repE0EEENS1_30default_config_static_selectorELNS0_4arch9wavefront6targetE1EEEvT1_,comdat
	.protected	_ZN7rocprim17ROCPRIM_400000_NS6detail17trampoline_kernelINS0_14default_configENS1_25transform_config_selectorIaLb0EEEZNS1_14transform_implILb0ES3_S5_NS0_18transform_iteratorINS0_17counting_iteratorImlEEZNS1_24adjacent_difference_implIS3_Lb1ELb0EPaN6thrust23THRUST_200600_302600_NS16discard_iteratorINSD_11use_defaultEEENSD_5minusIaEEEE10hipError_tPvRmT2_T3_mT4_P12ihipStream_tbEUlmE_aEESB_NS0_8identityIvEEEESJ_SM_SN_mSO_SQ_bEUlT_E_NS1_11comp_targetILNS1_3genE10ELNS1_11target_archE1201ELNS1_3gpuE5ELNS1_3repE0EEENS1_30default_config_static_selectorELNS0_4arch9wavefront6targetE1EEEvT1_ ; -- Begin function _ZN7rocprim17ROCPRIM_400000_NS6detail17trampoline_kernelINS0_14default_configENS1_25transform_config_selectorIaLb0EEEZNS1_14transform_implILb0ES3_S5_NS0_18transform_iteratorINS0_17counting_iteratorImlEEZNS1_24adjacent_difference_implIS3_Lb1ELb0EPaN6thrust23THRUST_200600_302600_NS16discard_iteratorINSD_11use_defaultEEENSD_5minusIaEEEE10hipError_tPvRmT2_T3_mT4_P12ihipStream_tbEUlmE_aEESB_NS0_8identityIvEEEESJ_SM_SN_mSO_SQ_bEUlT_E_NS1_11comp_targetILNS1_3genE10ELNS1_11target_archE1201ELNS1_3gpuE5ELNS1_3repE0EEENS1_30default_config_static_selectorELNS0_4arch9wavefront6targetE1EEEvT1_
	.globl	_ZN7rocprim17ROCPRIM_400000_NS6detail17trampoline_kernelINS0_14default_configENS1_25transform_config_selectorIaLb0EEEZNS1_14transform_implILb0ES3_S5_NS0_18transform_iteratorINS0_17counting_iteratorImlEEZNS1_24adjacent_difference_implIS3_Lb1ELb0EPaN6thrust23THRUST_200600_302600_NS16discard_iteratorINSD_11use_defaultEEENSD_5minusIaEEEE10hipError_tPvRmT2_T3_mT4_P12ihipStream_tbEUlmE_aEESB_NS0_8identityIvEEEESJ_SM_SN_mSO_SQ_bEUlT_E_NS1_11comp_targetILNS1_3genE10ELNS1_11target_archE1201ELNS1_3gpuE5ELNS1_3repE0EEENS1_30default_config_static_selectorELNS0_4arch9wavefront6targetE1EEEvT1_
	.p2align	8
	.type	_ZN7rocprim17ROCPRIM_400000_NS6detail17trampoline_kernelINS0_14default_configENS1_25transform_config_selectorIaLb0EEEZNS1_14transform_implILb0ES3_S5_NS0_18transform_iteratorINS0_17counting_iteratorImlEEZNS1_24adjacent_difference_implIS3_Lb1ELb0EPaN6thrust23THRUST_200600_302600_NS16discard_iteratorINSD_11use_defaultEEENSD_5minusIaEEEE10hipError_tPvRmT2_T3_mT4_P12ihipStream_tbEUlmE_aEESB_NS0_8identityIvEEEESJ_SM_SN_mSO_SQ_bEUlT_E_NS1_11comp_targetILNS1_3genE10ELNS1_11target_archE1201ELNS1_3gpuE5ELNS1_3repE0EEENS1_30default_config_static_selectorELNS0_4arch9wavefront6targetE1EEEvT1_,@function
_ZN7rocprim17ROCPRIM_400000_NS6detail17trampoline_kernelINS0_14default_configENS1_25transform_config_selectorIaLb0EEEZNS1_14transform_implILb0ES3_S5_NS0_18transform_iteratorINS0_17counting_iteratorImlEEZNS1_24adjacent_difference_implIS3_Lb1ELb0EPaN6thrust23THRUST_200600_302600_NS16discard_iteratorINSD_11use_defaultEEENSD_5minusIaEEEE10hipError_tPvRmT2_T3_mT4_P12ihipStream_tbEUlmE_aEESB_NS0_8identityIvEEEESJ_SM_SN_mSO_SQ_bEUlT_E_NS1_11comp_targetILNS1_3genE10ELNS1_11target_archE1201ELNS1_3gpuE5ELNS1_3repE0EEENS1_30default_config_static_selectorELNS0_4arch9wavefront6targetE1EEEvT1_: ; @_ZN7rocprim17ROCPRIM_400000_NS6detail17trampoline_kernelINS0_14default_configENS1_25transform_config_selectorIaLb0EEEZNS1_14transform_implILb0ES3_S5_NS0_18transform_iteratorINS0_17counting_iteratorImlEEZNS1_24adjacent_difference_implIS3_Lb1ELb0EPaN6thrust23THRUST_200600_302600_NS16discard_iteratorINSD_11use_defaultEEENSD_5minusIaEEEE10hipError_tPvRmT2_T3_mT4_P12ihipStream_tbEUlmE_aEESB_NS0_8identityIvEEEESJ_SM_SN_mSO_SQ_bEUlT_E_NS1_11comp_targetILNS1_3genE10ELNS1_11target_archE1201ELNS1_3gpuE5ELNS1_3repE0EEENS1_30default_config_static_selectorELNS0_4arch9wavefront6targetE1EEEvT1_
; %bb.0:
	.section	.rodata,"a",@progbits
	.p2align	6, 0x0
	.amdhsa_kernel _ZN7rocprim17ROCPRIM_400000_NS6detail17trampoline_kernelINS0_14default_configENS1_25transform_config_selectorIaLb0EEEZNS1_14transform_implILb0ES3_S5_NS0_18transform_iteratorINS0_17counting_iteratorImlEEZNS1_24adjacent_difference_implIS3_Lb1ELb0EPaN6thrust23THRUST_200600_302600_NS16discard_iteratorINSD_11use_defaultEEENSD_5minusIaEEEE10hipError_tPvRmT2_T3_mT4_P12ihipStream_tbEUlmE_aEESB_NS0_8identityIvEEEESJ_SM_SN_mSO_SQ_bEUlT_E_NS1_11comp_targetILNS1_3genE10ELNS1_11target_archE1201ELNS1_3gpuE5ELNS1_3repE0EEENS1_30default_config_static_selectorELNS0_4arch9wavefront6targetE1EEEvT1_
		.amdhsa_group_segment_fixed_size 0
		.amdhsa_private_segment_fixed_size 0
		.amdhsa_kernarg_size 56
		.amdhsa_user_sgpr_count 6
		.amdhsa_user_sgpr_private_segment_buffer 1
		.amdhsa_user_sgpr_dispatch_ptr 0
		.amdhsa_user_sgpr_queue_ptr 0
		.amdhsa_user_sgpr_kernarg_segment_ptr 1
		.amdhsa_user_sgpr_dispatch_id 0
		.amdhsa_user_sgpr_flat_scratch_init 0
		.amdhsa_user_sgpr_kernarg_preload_length 0
		.amdhsa_user_sgpr_kernarg_preload_offset 0
		.amdhsa_user_sgpr_private_segment_size 0
		.amdhsa_uses_dynamic_stack 0
		.amdhsa_system_sgpr_private_segment_wavefront_offset 0
		.amdhsa_system_sgpr_workgroup_id_x 1
		.amdhsa_system_sgpr_workgroup_id_y 0
		.amdhsa_system_sgpr_workgroup_id_z 0
		.amdhsa_system_sgpr_workgroup_info 0
		.amdhsa_system_vgpr_workitem_id 0
		.amdhsa_next_free_vgpr 1
		.amdhsa_next_free_sgpr 0
		.amdhsa_accum_offset 4
		.amdhsa_reserve_vcc 0
		.amdhsa_reserve_flat_scratch 0
		.amdhsa_float_round_mode_32 0
		.amdhsa_float_round_mode_16_64 0
		.amdhsa_float_denorm_mode_32 3
		.amdhsa_float_denorm_mode_16_64 3
		.amdhsa_dx10_clamp 1
		.amdhsa_ieee_mode 1
		.amdhsa_fp16_overflow 0
		.amdhsa_tg_split 0
		.amdhsa_exception_fp_ieee_invalid_op 0
		.amdhsa_exception_fp_denorm_src 0
		.amdhsa_exception_fp_ieee_div_zero 0
		.amdhsa_exception_fp_ieee_overflow 0
		.amdhsa_exception_fp_ieee_underflow 0
		.amdhsa_exception_fp_ieee_inexact 0
		.amdhsa_exception_int_div_zero 0
	.end_amdhsa_kernel
	.section	.text._ZN7rocprim17ROCPRIM_400000_NS6detail17trampoline_kernelINS0_14default_configENS1_25transform_config_selectorIaLb0EEEZNS1_14transform_implILb0ES3_S5_NS0_18transform_iteratorINS0_17counting_iteratorImlEEZNS1_24adjacent_difference_implIS3_Lb1ELb0EPaN6thrust23THRUST_200600_302600_NS16discard_iteratorINSD_11use_defaultEEENSD_5minusIaEEEE10hipError_tPvRmT2_T3_mT4_P12ihipStream_tbEUlmE_aEESB_NS0_8identityIvEEEESJ_SM_SN_mSO_SQ_bEUlT_E_NS1_11comp_targetILNS1_3genE10ELNS1_11target_archE1201ELNS1_3gpuE5ELNS1_3repE0EEENS1_30default_config_static_selectorELNS0_4arch9wavefront6targetE1EEEvT1_,"axG",@progbits,_ZN7rocprim17ROCPRIM_400000_NS6detail17trampoline_kernelINS0_14default_configENS1_25transform_config_selectorIaLb0EEEZNS1_14transform_implILb0ES3_S5_NS0_18transform_iteratorINS0_17counting_iteratorImlEEZNS1_24adjacent_difference_implIS3_Lb1ELb0EPaN6thrust23THRUST_200600_302600_NS16discard_iteratorINSD_11use_defaultEEENSD_5minusIaEEEE10hipError_tPvRmT2_T3_mT4_P12ihipStream_tbEUlmE_aEESB_NS0_8identityIvEEEESJ_SM_SN_mSO_SQ_bEUlT_E_NS1_11comp_targetILNS1_3genE10ELNS1_11target_archE1201ELNS1_3gpuE5ELNS1_3repE0EEENS1_30default_config_static_selectorELNS0_4arch9wavefront6targetE1EEEvT1_,comdat
.Lfunc_end671:
	.size	_ZN7rocprim17ROCPRIM_400000_NS6detail17trampoline_kernelINS0_14default_configENS1_25transform_config_selectorIaLb0EEEZNS1_14transform_implILb0ES3_S5_NS0_18transform_iteratorINS0_17counting_iteratorImlEEZNS1_24adjacent_difference_implIS3_Lb1ELb0EPaN6thrust23THRUST_200600_302600_NS16discard_iteratorINSD_11use_defaultEEENSD_5minusIaEEEE10hipError_tPvRmT2_T3_mT4_P12ihipStream_tbEUlmE_aEESB_NS0_8identityIvEEEESJ_SM_SN_mSO_SQ_bEUlT_E_NS1_11comp_targetILNS1_3genE10ELNS1_11target_archE1201ELNS1_3gpuE5ELNS1_3repE0EEENS1_30default_config_static_selectorELNS0_4arch9wavefront6targetE1EEEvT1_, .Lfunc_end671-_ZN7rocprim17ROCPRIM_400000_NS6detail17trampoline_kernelINS0_14default_configENS1_25transform_config_selectorIaLb0EEEZNS1_14transform_implILb0ES3_S5_NS0_18transform_iteratorINS0_17counting_iteratorImlEEZNS1_24adjacent_difference_implIS3_Lb1ELb0EPaN6thrust23THRUST_200600_302600_NS16discard_iteratorINSD_11use_defaultEEENSD_5minusIaEEEE10hipError_tPvRmT2_T3_mT4_P12ihipStream_tbEUlmE_aEESB_NS0_8identityIvEEEESJ_SM_SN_mSO_SQ_bEUlT_E_NS1_11comp_targetILNS1_3genE10ELNS1_11target_archE1201ELNS1_3gpuE5ELNS1_3repE0EEENS1_30default_config_static_selectorELNS0_4arch9wavefront6targetE1EEEvT1_
                                        ; -- End function
	.section	.AMDGPU.csdata,"",@progbits
; Kernel info:
; codeLenInByte = 0
; NumSgprs: 4
; NumVgprs: 0
; NumAgprs: 0
; TotalNumVgprs: 0
; ScratchSize: 0
; MemoryBound: 0
; FloatMode: 240
; IeeeMode: 1
; LDSByteSize: 0 bytes/workgroup (compile time only)
; SGPRBlocks: 0
; VGPRBlocks: 0
; NumSGPRsForWavesPerEU: 4
; NumVGPRsForWavesPerEU: 1
; AccumOffset: 4
; Occupancy: 8
; WaveLimiterHint : 0
; COMPUTE_PGM_RSRC2:SCRATCH_EN: 0
; COMPUTE_PGM_RSRC2:USER_SGPR: 6
; COMPUTE_PGM_RSRC2:TRAP_HANDLER: 0
; COMPUTE_PGM_RSRC2:TGID_X_EN: 1
; COMPUTE_PGM_RSRC2:TGID_Y_EN: 0
; COMPUTE_PGM_RSRC2:TGID_Z_EN: 0
; COMPUTE_PGM_RSRC2:TIDIG_COMP_CNT: 0
; COMPUTE_PGM_RSRC3_GFX90A:ACCUM_OFFSET: 0
; COMPUTE_PGM_RSRC3_GFX90A:TG_SPLIT: 0
	.section	.text._ZN7rocprim17ROCPRIM_400000_NS6detail17trampoline_kernelINS0_14default_configENS1_25transform_config_selectorIaLb0EEEZNS1_14transform_implILb0ES3_S5_NS0_18transform_iteratorINS0_17counting_iteratorImlEEZNS1_24adjacent_difference_implIS3_Lb1ELb0EPaN6thrust23THRUST_200600_302600_NS16discard_iteratorINSD_11use_defaultEEENSD_5minusIaEEEE10hipError_tPvRmT2_T3_mT4_P12ihipStream_tbEUlmE_aEESB_NS0_8identityIvEEEESJ_SM_SN_mSO_SQ_bEUlT_E_NS1_11comp_targetILNS1_3genE10ELNS1_11target_archE1200ELNS1_3gpuE4ELNS1_3repE0EEENS1_30default_config_static_selectorELNS0_4arch9wavefront6targetE1EEEvT1_,"axG",@progbits,_ZN7rocprim17ROCPRIM_400000_NS6detail17trampoline_kernelINS0_14default_configENS1_25transform_config_selectorIaLb0EEEZNS1_14transform_implILb0ES3_S5_NS0_18transform_iteratorINS0_17counting_iteratorImlEEZNS1_24adjacent_difference_implIS3_Lb1ELb0EPaN6thrust23THRUST_200600_302600_NS16discard_iteratorINSD_11use_defaultEEENSD_5minusIaEEEE10hipError_tPvRmT2_T3_mT4_P12ihipStream_tbEUlmE_aEESB_NS0_8identityIvEEEESJ_SM_SN_mSO_SQ_bEUlT_E_NS1_11comp_targetILNS1_3genE10ELNS1_11target_archE1200ELNS1_3gpuE4ELNS1_3repE0EEENS1_30default_config_static_selectorELNS0_4arch9wavefront6targetE1EEEvT1_,comdat
	.protected	_ZN7rocprim17ROCPRIM_400000_NS6detail17trampoline_kernelINS0_14default_configENS1_25transform_config_selectorIaLb0EEEZNS1_14transform_implILb0ES3_S5_NS0_18transform_iteratorINS0_17counting_iteratorImlEEZNS1_24adjacent_difference_implIS3_Lb1ELb0EPaN6thrust23THRUST_200600_302600_NS16discard_iteratorINSD_11use_defaultEEENSD_5minusIaEEEE10hipError_tPvRmT2_T3_mT4_P12ihipStream_tbEUlmE_aEESB_NS0_8identityIvEEEESJ_SM_SN_mSO_SQ_bEUlT_E_NS1_11comp_targetILNS1_3genE10ELNS1_11target_archE1200ELNS1_3gpuE4ELNS1_3repE0EEENS1_30default_config_static_selectorELNS0_4arch9wavefront6targetE1EEEvT1_ ; -- Begin function _ZN7rocprim17ROCPRIM_400000_NS6detail17trampoline_kernelINS0_14default_configENS1_25transform_config_selectorIaLb0EEEZNS1_14transform_implILb0ES3_S5_NS0_18transform_iteratorINS0_17counting_iteratorImlEEZNS1_24adjacent_difference_implIS3_Lb1ELb0EPaN6thrust23THRUST_200600_302600_NS16discard_iteratorINSD_11use_defaultEEENSD_5minusIaEEEE10hipError_tPvRmT2_T3_mT4_P12ihipStream_tbEUlmE_aEESB_NS0_8identityIvEEEESJ_SM_SN_mSO_SQ_bEUlT_E_NS1_11comp_targetILNS1_3genE10ELNS1_11target_archE1200ELNS1_3gpuE4ELNS1_3repE0EEENS1_30default_config_static_selectorELNS0_4arch9wavefront6targetE1EEEvT1_
	.globl	_ZN7rocprim17ROCPRIM_400000_NS6detail17trampoline_kernelINS0_14default_configENS1_25transform_config_selectorIaLb0EEEZNS1_14transform_implILb0ES3_S5_NS0_18transform_iteratorINS0_17counting_iteratorImlEEZNS1_24adjacent_difference_implIS3_Lb1ELb0EPaN6thrust23THRUST_200600_302600_NS16discard_iteratorINSD_11use_defaultEEENSD_5minusIaEEEE10hipError_tPvRmT2_T3_mT4_P12ihipStream_tbEUlmE_aEESB_NS0_8identityIvEEEESJ_SM_SN_mSO_SQ_bEUlT_E_NS1_11comp_targetILNS1_3genE10ELNS1_11target_archE1200ELNS1_3gpuE4ELNS1_3repE0EEENS1_30default_config_static_selectorELNS0_4arch9wavefront6targetE1EEEvT1_
	.p2align	8
	.type	_ZN7rocprim17ROCPRIM_400000_NS6detail17trampoline_kernelINS0_14default_configENS1_25transform_config_selectorIaLb0EEEZNS1_14transform_implILb0ES3_S5_NS0_18transform_iteratorINS0_17counting_iteratorImlEEZNS1_24adjacent_difference_implIS3_Lb1ELb0EPaN6thrust23THRUST_200600_302600_NS16discard_iteratorINSD_11use_defaultEEENSD_5minusIaEEEE10hipError_tPvRmT2_T3_mT4_P12ihipStream_tbEUlmE_aEESB_NS0_8identityIvEEEESJ_SM_SN_mSO_SQ_bEUlT_E_NS1_11comp_targetILNS1_3genE10ELNS1_11target_archE1200ELNS1_3gpuE4ELNS1_3repE0EEENS1_30default_config_static_selectorELNS0_4arch9wavefront6targetE1EEEvT1_,@function
_ZN7rocprim17ROCPRIM_400000_NS6detail17trampoline_kernelINS0_14default_configENS1_25transform_config_selectorIaLb0EEEZNS1_14transform_implILb0ES3_S5_NS0_18transform_iteratorINS0_17counting_iteratorImlEEZNS1_24adjacent_difference_implIS3_Lb1ELb0EPaN6thrust23THRUST_200600_302600_NS16discard_iteratorINSD_11use_defaultEEENSD_5minusIaEEEE10hipError_tPvRmT2_T3_mT4_P12ihipStream_tbEUlmE_aEESB_NS0_8identityIvEEEESJ_SM_SN_mSO_SQ_bEUlT_E_NS1_11comp_targetILNS1_3genE10ELNS1_11target_archE1200ELNS1_3gpuE4ELNS1_3repE0EEENS1_30default_config_static_selectorELNS0_4arch9wavefront6targetE1EEEvT1_: ; @_ZN7rocprim17ROCPRIM_400000_NS6detail17trampoline_kernelINS0_14default_configENS1_25transform_config_selectorIaLb0EEEZNS1_14transform_implILb0ES3_S5_NS0_18transform_iteratorINS0_17counting_iteratorImlEEZNS1_24adjacent_difference_implIS3_Lb1ELb0EPaN6thrust23THRUST_200600_302600_NS16discard_iteratorINSD_11use_defaultEEENSD_5minusIaEEEE10hipError_tPvRmT2_T3_mT4_P12ihipStream_tbEUlmE_aEESB_NS0_8identityIvEEEESJ_SM_SN_mSO_SQ_bEUlT_E_NS1_11comp_targetILNS1_3genE10ELNS1_11target_archE1200ELNS1_3gpuE4ELNS1_3repE0EEENS1_30default_config_static_selectorELNS0_4arch9wavefront6targetE1EEEvT1_
; %bb.0:
	.section	.rodata,"a",@progbits
	.p2align	6, 0x0
	.amdhsa_kernel _ZN7rocprim17ROCPRIM_400000_NS6detail17trampoline_kernelINS0_14default_configENS1_25transform_config_selectorIaLb0EEEZNS1_14transform_implILb0ES3_S5_NS0_18transform_iteratorINS0_17counting_iteratorImlEEZNS1_24adjacent_difference_implIS3_Lb1ELb0EPaN6thrust23THRUST_200600_302600_NS16discard_iteratorINSD_11use_defaultEEENSD_5minusIaEEEE10hipError_tPvRmT2_T3_mT4_P12ihipStream_tbEUlmE_aEESB_NS0_8identityIvEEEESJ_SM_SN_mSO_SQ_bEUlT_E_NS1_11comp_targetILNS1_3genE10ELNS1_11target_archE1200ELNS1_3gpuE4ELNS1_3repE0EEENS1_30default_config_static_selectorELNS0_4arch9wavefront6targetE1EEEvT1_
		.amdhsa_group_segment_fixed_size 0
		.amdhsa_private_segment_fixed_size 0
		.amdhsa_kernarg_size 56
		.amdhsa_user_sgpr_count 6
		.amdhsa_user_sgpr_private_segment_buffer 1
		.amdhsa_user_sgpr_dispatch_ptr 0
		.amdhsa_user_sgpr_queue_ptr 0
		.amdhsa_user_sgpr_kernarg_segment_ptr 1
		.amdhsa_user_sgpr_dispatch_id 0
		.amdhsa_user_sgpr_flat_scratch_init 0
		.amdhsa_user_sgpr_kernarg_preload_length 0
		.amdhsa_user_sgpr_kernarg_preload_offset 0
		.amdhsa_user_sgpr_private_segment_size 0
		.amdhsa_uses_dynamic_stack 0
		.amdhsa_system_sgpr_private_segment_wavefront_offset 0
		.amdhsa_system_sgpr_workgroup_id_x 1
		.amdhsa_system_sgpr_workgroup_id_y 0
		.amdhsa_system_sgpr_workgroup_id_z 0
		.amdhsa_system_sgpr_workgroup_info 0
		.amdhsa_system_vgpr_workitem_id 0
		.amdhsa_next_free_vgpr 1
		.amdhsa_next_free_sgpr 0
		.amdhsa_accum_offset 4
		.amdhsa_reserve_vcc 0
		.amdhsa_reserve_flat_scratch 0
		.amdhsa_float_round_mode_32 0
		.amdhsa_float_round_mode_16_64 0
		.amdhsa_float_denorm_mode_32 3
		.amdhsa_float_denorm_mode_16_64 3
		.amdhsa_dx10_clamp 1
		.amdhsa_ieee_mode 1
		.amdhsa_fp16_overflow 0
		.amdhsa_tg_split 0
		.amdhsa_exception_fp_ieee_invalid_op 0
		.amdhsa_exception_fp_denorm_src 0
		.amdhsa_exception_fp_ieee_div_zero 0
		.amdhsa_exception_fp_ieee_overflow 0
		.amdhsa_exception_fp_ieee_underflow 0
		.amdhsa_exception_fp_ieee_inexact 0
		.amdhsa_exception_int_div_zero 0
	.end_amdhsa_kernel
	.section	.text._ZN7rocprim17ROCPRIM_400000_NS6detail17trampoline_kernelINS0_14default_configENS1_25transform_config_selectorIaLb0EEEZNS1_14transform_implILb0ES3_S5_NS0_18transform_iteratorINS0_17counting_iteratorImlEEZNS1_24adjacent_difference_implIS3_Lb1ELb0EPaN6thrust23THRUST_200600_302600_NS16discard_iteratorINSD_11use_defaultEEENSD_5minusIaEEEE10hipError_tPvRmT2_T3_mT4_P12ihipStream_tbEUlmE_aEESB_NS0_8identityIvEEEESJ_SM_SN_mSO_SQ_bEUlT_E_NS1_11comp_targetILNS1_3genE10ELNS1_11target_archE1200ELNS1_3gpuE4ELNS1_3repE0EEENS1_30default_config_static_selectorELNS0_4arch9wavefront6targetE1EEEvT1_,"axG",@progbits,_ZN7rocprim17ROCPRIM_400000_NS6detail17trampoline_kernelINS0_14default_configENS1_25transform_config_selectorIaLb0EEEZNS1_14transform_implILb0ES3_S5_NS0_18transform_iteratorINS0_17counting_iteratorImlEEZNS1_24adjacent_difference_implIS3_Lb1ELb0EPaN6thrust23THRUST_200600_302600_NS16discard_iteratorINSD_11use_defaultEEENSD_5minusIaEEEE10hipError_tPvRmT2_T3_mT4_P12ihipStream_tbEUlmE_aEESB_NS0_8identityIvEEEESJ_SM_SN_mSO_SQ_bEUlT_E_NS1_11comp_targetILNS1_3genE10ELNS1_11target_archE1200ELNS1_3gpuE4ELNS1_3repE0EEENS1_30default_config_static_selectorELNS0_4arch9wavefront6targetE1EEEvT1_,comdat
.Lfunc_end672:
	.size	_ZN7rocprim17ROCPRIM_400000_NS6detail17trampoline_kernelINS0_14default_configENS1_25transform_config_selectorIaLb0EEEZNS1_14transform_implILb0ES3_S5_NS0_18transform_iteratorINS0_17counting_iteratorImlEEZNS1_24adjacent_difference_implIS3_Lb1ELb0EPaN6thrust23THRUST_200600_302600_NS16discard_iteratorINSD_11use_defaultEEENSD_5minusIaEEEE10hipError_tPvRmT2_T3_mT4_P12ihipStream_tbEUlmE_aEESB_NS0_8identityIvEEEESJ_SM_SN_mSO_SQ_bEUlT_E_NS1_11comp_targetILNS1_3genE10ELNS1_11target_archE1200ELNS1_3gpuE4ELNS1_3repE0EEENS1_30default_config_static_selectorELNS0_4arch9wavefront6targetE1EEEvT1_, .Lfunc_end672-_ZN7rocprim17ROCPRIM_400000_NS6detail17trampoline_kernelINS0_14default_configENS1_25transform_config_selectorIaLb0EEEZNS1_14transform_implILb0ES3_S5_NS0_18transform_iteratorINS0_17counting_iteratorImlEEZNS1_24adjacent_difference_implIS3_Lb1ELb0EPaN6thrust23THRUST_200600_302600_NS16discard_iteratorINSD_11use_defaultEEENSD_5minusIaEEEE10hipError_tPvRmT2_T3_mT4_P12ihipStream_tbEUlmE_aEESB_NS0_8identityIvEEEESJ_SM_SN_mSO_SQ_bEUlT_E_NS1_11comp_targetILNS1_3genE10ELNS1_11target_archE1200ELNS1_3gpuE4ELNS1_3repE0EEENS1_30default_config_static_selectorELNS0_4arch9wavefront6targetE1EEEvT1_
                                        ; -- End function
	.section	.AMDGPU.csdata,"",@progbits
; Kernel info:
; codeLenInByte = 0
; NumSgprs: 4
; NumVgprs: 0
; NumAgprs: 0
; TotalNumVgprs: 0
; ScratchSize: 0
; MemoryBound: 0
; FloatMode: 240
; IeeeMode: 1
; LDSByteSize: 0 bytes/workgroup (compile time only)
; SGPRBlocks: 0
; VGPRBlocks: 0
; NumSGPRsForWavesPerEU: 4
; NumVGPRsForWavesPerEU: 1
; AccumOffset: 4
; Occupancy: 8
; WaveLimiterHint : 0
; COMPUTE_PGM_RSRC2:SCRATCH_EN: 0
; COMPUTE_PGM_RSRC2:USER_SGPR: 6
; COMPUTE_PGM_RSRC2:TRAP_HANDLER: 0
; COMPUTE_PGM_RSRC2:TGID_X_EN: 1
; COMPUTE_PGM_RSRC2:TGID_Y_EN: 0
; COMPUTE_PGM_RSRC2:TGID_Z_EN: 0
; COMPUTE_PGM_RSRC2:TIDIG_COMP_CNT: 0
; COMPUTE_PGM_RSRC3_GFX90A:ACCUM_OFFSET: 0
; COMPUTE_PGM_RSRC3_GFX90A:TG_SPLIT: 0
	.section	.text._ZN7rocprim17ROCPRIM_400000_NS6detail17trampoline_kernelINS0_14default_configENS1_25transform_config_selectorIaLb0EEEZNS1_14transform_implILb0ES3_S5_NS0_18transform_iteratorINS0_17counting_iteratorImlEEZNS1_24adjacent_difference_implIS3_Lb1ELb0EPaN6thrust23THRUST_200600_302600_NS16discard_iteratorINSD_11use_defaultEEENSD_5minusIaEEEE10hipError_tPvRmT2_T3_mT4_P12ihipStream_tbEUlmE_aEESB_NS0_8identityIvEEEESJ_SM_SN_mSO_SQ_bEUlT_E_NS1_11comp_targetILNS1_3genE9ELNS1_11target_archE1100ELNS1_3gpuE3ELNS1_3repE0EEENS1_30default_config_static_selectorELNS0_4arch9wavefront6targetE1EEEvT1_,"axG",@progbits,_ZN7rocprim17ROCPRIM_400000_NS6detail17trampoline_kernelINS0_14default_configENS1_25transform_config_selectorIaLb0EEEZNS1_14transform_implILb0ES3_S5_NS0_18transform_iteratorINS0_17counting_iteratorImlEEZNS1_24adjacent_difference_implIS3_Lb1ELb0EPaN6thrust23THRUST_200600_302600_NS16discard_iteratorINSD_11use_defaultEEENSD_5minusIaEEEE10hipError_tPvRmT2_T3_mT4_P12ihipStream_tbEUlmE_aEESB_NS0_8identityIvEEEESJ_SM_SN_mSO_SQ_bEUlT_E_NS1_11comp_targetILNS1_3genE9ELNS1_11target_archE1100ELNS1_3gpuE3ELNS1_3repE0EEENS1_30default_config_static_selectorELNS0_4arch9wavefront6targetE1EEEvT1_,comdat
	.protected	_ZN7rocprim17ROCPRIM_400000_NS6detail17trampoline_kernelINS0_14default_configENS1_25transform_config_selectorIaLb0EEEZNS1_14transform_implILb0ES3_S5_NS0_18transform_iteratorINS0_17counting_iteratorImlEEZNS1_24adjacent_difference_implIS3_Lb1ELb0EPaN6thrust23THRUST_200600_302600_NS16discard_iteratorINSD_11use_defaultEEENSD_5minusIaEEEE10hipError_tPvRmT2_T3_mT4_P12ihipStream_tbEUlmE_aEESB_NS0_8identityIvEEEESJ_SM_SN_mSO_SQ_bEUlT_E_NS1_11comp_targetILNS1_3genE9ELNS1_11target_archE1100ELNS1_3gpuE3ELNS1_3repE0EEENS1_30default_config_static_selectorELNS0_4arch9wavefront6targetE1EEEvT1_ ; -- Begin function _ZN7rocprim17ROCPRIM_400000_NS6detail17trampoline_kernelINS0_14default_configENS1_25transform_config_selectorIaLb0EEEZNS1_14transform_implILb0ES3_S5_NS0_18transform_iteratorINS0_17counting_iteratorImlEEZNS1_24adjacent_difference_implIS3_Lb1ELb0EPaN6thrust23THRUST_200600_302600_NS16discard_iteratorINSD_11use_defaultEEENSD_5minusIaEEEE10hipError_tPvRmT2_T3_mT4_P12ihipStream_tbEUlmE_aEESB_NS0_8identityIvEEEESJ_SM_SN_mSO_SQ_bEUlT_E_NS1_11comp_targetILNS1_3genE9ELNS1_11target_archE1100ELNS1_3gpuE3ELNS1_3repE0EEENS1_30default_config_static_selectorELNS0_4arch9wavefront6targetE1EEEvT1_
	.globl	_ZN7rocprim17ROCPRIM_400000_NS6detail17trampoline_kernelINS0_14default_configENS1_25transform_config_selectorIaLb0EEEZNS1_14transform_implILb0ES3_S5_NS0_18transform_iteratorINS0_17counting_iteratorImlEEZNS1_24adjacent_difference_implIS3_Lb1ELb0EPaN6thrust23THRUST_200600_302600_NS16discard_iteratorINSD_11use_defaultEEENSD_5minusIaEEEE10hipError_tPvRmT2_T3_mT4_P12ihipStream_tbEUlmE_aEESB_NS0_8identityIvEEEESJ_SM_SN_mSO_SQ_bEUlT_E_NS1_11comp_targetILNS1_3genE9ELNS1_11target_archE1100ELNS1_3gpuE3ELNS1_3repE0EEENS1_30default_config_static_selectorELNS0_4arch9wavefront6targetE1EEEvT1_
	.p2align	8
	.type	_ZN7rocprim17ROCPRIM_400000_NS6detail17trampoline_kernelINS0_14default_configENS1_25transform_config_selectorIaLb0EEEZNS1_14transform_implILb0ES3_S5_NS0_18transform_iteratorINS0_17counting_iteratorImlEEZNS1_24adjacent_difference_implIS3_Lb1ELb0EPaN6thrust23THRUST_200600_302600_NS16discard_iteratorINSD_11use_defaultEEENSD_5minusIaEEEE10hipError_tPvRmT2_T3_mT4_P12ihipStream_tbEUlmE_aEESB_NS0_8identityIvEEEESJ_SM_SN_mSO_SQ_bEUlT_E_NS1_11comp_targetILNS1_3genE9ELNS1_11target_archE1100ELNS1_3gpuE3ELNS1_3repE0EEENS1_30default_config_static_selectorELNS0_4arch9wavefront6targetE1EEEvT1_,@function
_ZN7rocprim17ROCPRIM_400000_NS6detail17trampoline_kernelINS0_14default_configENS1_25transform_config_selectorIaLb0EEEZNS1_14transform_implILb0ES3_S5_NS0_18transform_iteratorINS0_17counting_iteratorImlEEZNS1_24adjacent_difference_implIS3_Lb1ELb0EPaN6thrust23THRUST_200600_302600_NS16discard_iteratorINSD_11use_defaultEEENSD_5minusIaEEEE10hipError_tPvRmT2_T3_mT4_P12ihipStream_tbEUlmE_aEESB_NS0_8identityIvEEEESJ_SM_SN_mSO_SQ_bEUlT_E_NS1_11comp_targetILNS1_3genE9ELNS1_11target_archE1100ELNS1_3gpuE3ELNS1_3repE0EEENS1_30default_config_static_selectorELNS0_4arch9wavefront6targetE1EEEvT1_: ; @_ZN7rocprim17ROCPRIM_400000_NS6detail17trampoline_kernelINS0_14default_configENS1_25transform_config_selectorIaLb0EEEZNS1_14transform_implILb0ES3_S5_NS0_18transform_iteratorINS0_17counting_iteratorImlEEZNS1_24adjacent_difference_implIS3_Lb1ELb0EPaN6thrust23THRUST_200600_302600_NS16discard_iteratorINSD_11use_defaultEEENSD_5minusIaEEEE10hipError_tPvRmT2_T3_mT4_P12ihipStream_tbEUlmE_aEESB_NS0_8identityIvEEEESJ_SM_SN_mSO_SQ_bEUlT_E_NS1_11comp_targetILNS1_3genE9ELNS1_11target_archE1100ELNS1_3gpuE3ELNS1_3repE0EEENS1_30default_config_static_selectorELNS0_4arch9wavefront6targetE1EEEvT1_
; %bb.0:
	.section	.rodata,"a",@progbits
	.p2align	6, 0x0
	.amdhsa_kernel _ZN7rocprim17ROCPRIM_400000_NS6detail17trampoline_kernelINS0_14default_configENS1_25transform_config_selectorIaLb0EEEZNS1_14transform_implILb0ES3_S5_NS0_18transform_iteratorINS0_17counting_iteratorImlEEZNS1_24adjacent_difference_implIS3_Lb1ELb0EPaN6thrust23THRUST_200600_302600_NS16discard_iteratorINSD_11use_defaultEEENSD_5minusIaEEEE10hipError_tPvRmT2_T3_mT4_P12ihipStream_tbEUlmE_aEESB_NS0_8identityIvEEEESJ_SM_SN_mSO_SQ_bEUlT_E_NS1_11comp_targetILNS1_3genE9ELNS1_11target_archE1100ELNS1_3gpuE3ELNS1_3repE0EEENS1_30default_config_static_selectorELNS0_4arch9wavefront6targetE1EEEvT1_
		.amdhsa_group_segment_fixed_size 0
		.amdhsa_private_segment_fixed_size 0
		.amdhsa_kernarg_size 56
		.amdhsa_user_sgpr_count 6
		.amdhsa_user_sgpr_private_segment_buffer 1
		.amdhsa_user_sgpr_dispatch_ptr 0
		.amdhsa_user_sgpr_queue_ptr 0
		.amdhsa_user_sgpr_kernarg_segment_ptr 1
		.amdhsa_user_sgpr_dispatch_id 0
		.amdhsa_user_sgpr_flat_scratch_init 0
		.amdhsa_user_sgpr_kernarg_preload_length 0
		.amdhsa_user_sgpr_kernarg_preload_offset 0
		.amdhsa_user_sgpr_private_segment_size 0
		.amdhsa_uses_dynamic_stack 0
		.amdhsa_system_sgpr_private_segment_wavefront_offset 0
		.amdhsa_system_sgpr_workgroup_id_x 1
		.amdhsa_system_sgpr_workgroup_id_y 0
		.amdhsa_system_sgpr_workgroup_id_z 0
		.amdhsa_system_sgpr_workgroup_info 0
		.amdhsa_system_vgpr_workitem_id 0
		.amdhsa_next_free_vgpr 1
		.amdhsa_next_free_sgpr 0
		.amdhsa_accum_offset 4
		.amdhsa_reserve_vcc 0
		.amdhsa_reserve_flat_scratch 0
		.amdhsa_float_round_mode_32 0
		.amdhsa_float_round_mode_16_64 0
		.amdhsa_float_denorm_mode_32 3
		.amdhsa_float_denorm_mode_16_64 3
		.amdhsa_dx10_clamp 1
		.amdhsa_ieee_mode 1
		.amdhsa_fp16_overflow 0
		.amdhsa_tg_split 0
		.amdhsa_exception_fp_ieee_invalid_op 0
		.amdhsa_exception_fp_denorm_src 0
		.amdhsa_exception_fp_ieee_div_zero 0
		.amdhsa_exception_fp_ieee_overflow 0
		.amdhsa_exception_fp_ieee_underflow 0
		.amdhsa_exception_fp_ieee_inexact 0
		.amdhsa_exception_int_div_zero 0
	.end_amdhsa_kernel
	.section	.text._ZN7rocprim17ROCPRIM_400000_NS6detail17trampoline_kernelINS0_14default_configENS1_25transform_config_selectorIaLb0EEEZNS1_14transform_implILb0ES3_S5_NS0_18transform_iteratorINS0_17counting_iteratorImlEEZNS1_24adjacent_difference_implIS3_Lb1ELb0EPaN6thrust23THRUST_200600_302600_NS16discard_iteratorINSD_11use_defaultEEENSD_5minusIaEEEE10hipError_tPvRmT2_T3_mT4_P12ihipStream_tbEUlmE_aEESB_NS0_8identityIvEEEESJ_SM_SN_mSO_SQ_bEUlT_E_NS1_11comp_targetILNS1_3genE9ELNS1_11target_archE1100ELNS1_3gpuE3ELNS1_3repE0EEENS1_30default_config_static_selectorELNS0_4arch9wavefront6targetE1EEEvT1_,"axG",@progbits,_ZN7rocprim17ROCPRIM_400000_NS6detail17trampoline_kernelINS0_14default_configENS1_25transform_config_selectorIaLb0EEEZNS1_14transform_implILb0ES3_S5_NS0_18transform_iteratorINS0_17counting_iteratorImlEEZNS1_24adjacent_difference_implIS3_Lb1ELb0EPaN6thrust23THRUST_200600_302600_NS16discard_iteratorINSD_11use_defaultEEENSD_5minusIaEEEE10hipError_tPvRmT2_T3_mT4_P12ihipStream_tbEUlmE_aEESB_NS0_8identityIvEEEESJ_SM_SN_mSO_SQ_bEUlT_E_NS1_11comp_targetILNS1_3genE9ELNS1_11target_archE1100ELNS1_3gpuE3ELNS1_3repE0EEENS1_30default_config_static_selectorELNS0_4arch9wavefront6targetE1EEEvT1_,comdat
.Lfunc_end673:
	.size	_ZN7rocprim17ROCPRIM_400000_NS6detail17trampoline_kernelINS0_14default_configENS1_25transform_config_selectorIaLb0EEEZNS1_14transform_implILb0ES3_S5_NS0_18transform_iteratorINS0_17counting_iteratorImlEEZNS1_24adjacent_difference_implIS3_Lb1ELb0EPaN6thrust23THRUST_200600_302600_NS16discard_iteratorINSD_11use_defaultEEENSD_5minusIaEEEE10hipError_tPvRmT2_T3_mT4_P12ihipStream_tbEUlmE_aEESB_NS0_8identityIvEEEESJ_SM_SN_mSO_SQ_bEUlT_E_NS1_11comp_targetILNS1_3genE9ELNS1_11target_archE1100ELNS1_3gpuE3ELNS1_3repE0EEENS1_30default_config_static_selectorELNS0_4arch9wavefront6targetE1EEEvT1_, .Lfunc_end673-_ZN7rocprim17ROCPRIM_400000_NS6detail17trampoline_kernelINS0_14default_configENS1_25transform_config_selectorIaLb0EEEZNS1_14transform_implILb0ES3_S5_NS0_18transform_iteratorINS0_17counting_iteratorImlEEZNS1_24adjacent_difference_implIS3_Lb1ELb0EPaN6thrust23THRUST_200600_302600_NS16discard_iteratorINSD_11use_defaultEEENSD_5minusIaEEEE10hipError_tPvRmT2_T3_mT4_P12ihipStream_tbEUlmE_aEESB_NS0_8identityIvEEEESJ_SM_SN_mSO_SQ_bEUlT_E_NS1_11comp_targetILNS1_3genE9ELNS1_11target_archE1100ELNS1_3gpuE3ELNS1_3repE0EEENS1_30default_config_static_selectorELNS0_4arch9wavefront6targetE1EEEvT1_
                                        ; -- End function
	.section	.AMDGPU.csdata,"",@progbits
; Kernel info:
; codeLenInByte = 0
; NumSgprs: 4
; NumVgprs: 0
; NumAgprs: 0
; TotalNumVgprs: 0
; ScratchSize: 0
; MemoryBound: 0
; FloatMode: 240
; IeeeMode: 1
; LDSByteSize: 0 bytes/workgroup (compile time only)
; SGPRBlocks: 0
; VGPRBlocks: 0
; NumSGPRsForWavesPerEU: 4
; NumVGPRsForWavesPerEU: 1
; AccumOffset: 4
; Occupancy: 8
; WaveLimiterHint : 0
; COMPUTE_PGM_RSRC2:SCRATCH_EN: 0
; COMPUTE_PGM_RSRC2:USER_SGPR: 6
; COMPUTE_PGM_RSRC2:TRAP_HANDLER: 0
; COMPUTE_PGM_RSRC2:TGID_X_EN: 1
; COMPUTE_PGM_RSRC2:TGID_Y_EN: 0
; COMPUTE_PGM_RSRC2:TGID_Z_EN: 0
; COMPUTE_PGM_RSRC2:TIDIG_COMP_CNT: 0
; COMPUTE_PGM_RSRC3_GFX90A:ACCUM_OFFSET: 0
; COMPUTE_PGM_RSRC3_GFX90A:TG_SPLIT: 0
	.section	.text._ZN7rocprim17ROCPRIM_400000_NS6detail17trampoline_kernelINS0_14default_configENS1_25transform_config_selectorIaLb0EEEZNS1_14transform_implILb0ES3_S5_NS0_18transform_iteratorINS0_17counting_iteratorImlEEZNS1_24adjacent_difference_implIS3_Lb1ELb0EPaN6thrust23THRUST_200600_302600_NS16discard_iteratorINSD_11use_defaultEEENSD_5minusIaEEEE10hipError_tPvRmT2_T3_mT4_P12ihipStream_tbEUlmE_aEESB_NS0_8identityIvEEEESJ_SM_SN_mSO_SQ_bEUlT_E_NS1_11comp_targetILNS1_3genE8ELNS1_11target_archE1030ELNS1_3gpuE2ELNS1_3repE0EEENS1_30default_config_static_selectorELNS0_4arch9wavefront6targetE1EEEvT1_,"axG",@progbits,_ZN7rocprim17ROCPRIM_400000_NS6detail17trampoline_kernelINS0_14default_configENS1_25transform_config_selectorIaLb0EEEZNS1_14transform_implILb0ES3_S5_NS0_18transform_iteratorINS0_17counting_iteratorImlEEZNS1_24adjacent_difference_implIS3_Lb1ELb0EPaN6thrust23THRUST_200600_302600_NS16discard_iteratorINSD_11use_defaultEEENSD_5minusIaEEEE10hipError_tPvRmT2_T3_mT4_P12ihipStream_tbEUlmE_aEESB_NS0_8identityIvEEEESJ_SM_SN_mSO_SQ_bEUlT_E_NS1_11comp_targetILNS1_3genE8ELNS1_11target_archE1030ELNS1_3gpuE2ELNS1_3repE0EEENS1_30default_config_static_selectorELNS0_4arch9wavefront6targetE1EEEvT1_,comdat
	.protected	_ZN7rocprim17ROCPRIM_400000_NS6detail17trampoline_kernelINS0_14default_configENS1_25transform_config_selectorIaLb0EEEZNS1_14transform_implILb0ES3_S5_NS0_18transform_iteratorINS0_17counting_iteratorImlEEZNS1_24adjacent_difference_implIS3_Lb1ELb0EPaN6thrust23THRUST_200600_302600_NS16discard_iteratorINSD_11use_defaultEEENSD_5minusIaEEEE10hipError_tPvRmT2_T3_mT4_P12ihipStream_tbEUlmE_aEESB_NS0_8identityIvEEEESJ_SM_SN_mSO_SQ_bEUlT_E_NS1_11comp_targetILNS1_3genE8ELNS1_11target_archE1030ELNS1_3gpuE2ELNS1_3repE0EEENS1_30default_config_static_selectorELNS0_4arch9wavefront6targetE1EEEvT1_ ; -- Begin function _ZN7rocprim17ROCPRIM_400000_NS6detail17trampoline_kernelINS0_14default_configENS1_25transform_config_selectorIaLb0EEEZNS1_14transform_implILb0ES3_S5_NS0_18transform_iteratorINS0_17counting_iteratorImlEEZNS1_24adjacent_difference_implIS3_Lb1ELb0EPaN6thrust23THRUST_200600_302600_NS16discard_iteratorINSD_11use_defaultEEENSD_5minusIaEEEE10hipError_tPvRmT2_T3_mT4_P12ihipStream_tbEUlmE_aEESB_NS0_8identityIvEEEESJ_SM_SN_mSO_SQ_bEUlT_E_NS1_11comp_targetILNS1_3genE8ELNS1_11target_archE1030ELNS1_3gpuE2ELNS1_3repE0EEENS1_30default_config_static_selectorELNS0_4arch9wavefront6targetE1EEEvT1_
	.globl	_ZN7rocprim17ROCPRIM_400000_NS6detail17trampoline_kernelINS0_14default_configENS1_25transform_config_selectorIaLb0EEEZNS1_14transform_implILb0ES3_S5_NS0_18transform_iteratorINS0_17counting_iteratorImlEEZNS1_24adjacent_difference_implIS3_Lb1ELb0EPaN6thrust23THRUST_200600_302600_NS16discard_iteratorINSD_11use_defaultEEENSD_5minusIaEEEE10hipError_tPvRmT2_T3_mT4_P12ihipStream_tbEUlmE_aEESB_NS0_8identityIvEEEESJ_SM_SN_mSO_SQ_bEUlT_E_NS1_11comp_targetILNS1_3genE8ELNS1_11target_archE1030ELNS1_3gpuE2ELNS1_3repE0EEENS1_30default_config_static_selectorELNS0_4arch9wavefront6targetE1EEEvT1_
	.p2align	8
	.type	_ZN7rocprim17ROCPRIM_400000_NS6detail17trampoline_kernelINS0_14default_configENS1_25transform_config_selectorIaLb0EEEZNS1_14transform_implILb0ES3_S5_NS0_18transform_iteratorINS0_17counting_iteratorImlEEZNS1_24adjacent_difference_implIS3_Lb1ELb0EPaN6thrust23THRUST_200600_302600_NS16discard_iteratorINSD_11use_defaultEEENSD_5minusIaEEEE10hipError_tPvRmT2_T3_mT4_P12ihipStream_tbEUlmE_aEESB_NS0_8identityIvEEEESJ_SM_SN_mSO_SQ_bEUlT_E_NS1_11comp_targetILNS1_3genE8ELNS1_11target_archE1030ELNS1_3gpuE2ELNS1_3repE0EEENS1_30default_config_static_selectorELNS0_4arch9wavefront6targetE1EEEvT1_,@function
_ZN7rocprim17ROCPRIM_400000_NS6detail17trampoline_kernelINS0_14default_configENS1_25transform_config_selectorIaLb0EEEZNS1_14transform_implILb0ES3_S5_NS0_18transform_iteratorINS0_17counting_iteratorImlEEZNS1_24adjacent_difference_implIS3_Lb1ELb0EPaN6thrust23THRUST_200600_302600_NS16discard_iteratorINSD_11use_defaultEEENSD_5minusIaEEEE10hipError_tPvRmT2_T3_mT4_P12ihipStream_tbEUlmE_aEESB_NS0_8identityIvEEEESJ_SM_SN_mSO_SQ_bEUlT_E_NS1_11comp_targetILNS1_3genE8ELNS1_11target_archE1030ELNS1_3gpuE2ELNS1_3repE0EEENS1_30default_config_static_selectorELNS0_4arch9wavefront6targetE1EEEvT1_: ; @_ZN7rocprim17ROCPRIM_400000_NS6detail17trampoline_kernelINS0_14default_configENS1_25transform_config_selectorIaLb0EEEZNS1_14transform_implILb0ES3_S5_NS0_18transform_iteratorINS0_17counting_iteratorImlEEZNS1_24adjacent_difference_implIS3_Lb1ELb0EPaN6thrust23THRUST_200600_302600_NS16discard_iteratorINSD_11use_defaultEEENSD_5minusIaEEEE10hipError_tPvRmT2_T3_mT4_P12ihipStream_tbEUlmE_aEESB_NS0_8identityIvEEEESJ_SM_SN_mSO_SQ_bEUlT_E_NS1_11comp_targetILNS1_3genE8ELNS1_11target_archE1030ELNS1_3gpuE2ELNS1_3repE0EEENS1_30default_config_static_selectorELNS0_4arch9wavefront6targetE1EEEvT1_
; %bb.0:
	.section	.rodata,"a",@progbits
	.p2align	6, 0x0
	.amdhsa_kernel _ZN7rocprim17ROCPRIM_400000_NS6detail17trampoline_kernelINS0_14default_configENS1_25transform_config_selectorIaLb0EEEZNS1_14transform_implILb0ES3_S5_NS0_18transform_iteratorINS0_17counting_iteratorImlEEZNS1_24adjacent_difference_implIS3_Lb1ELb0EPaN6thrust23THRUST_200600_302600_NS16discard_iteratorINSD_11use_defaultEEENSD_5minusIaEEEE10hipError_tPvRmT2_T3_mT4_P12ihipStream_tbEUlmE_aEESB_NS0_8identityIvEEEESJ_SM_SN_mSO_SQ_bEUlT_E_NS1_11comp_targetILNS1_3genE8ELNS1_11target_archE1030ELNS1_3gpuE2ELNS1_3repE0EEENS1_30default_config_static_selectorELNS0_4arch9wavefront6targetE1EEEvT1_
		.amdhsa_group_segment_fixed_size 0
		.amdhsa_private_segment_fixed_size 0
		.amdhsa_kernarg_size 56
		.amdhsa_user_sgpr_count 6
		.amdhsa_user_sgpr_private_segment_buffer 1
		.amdhsa_user_sgpr_dispatch_ptr 0
		.amdhsa_user_sgpr_queue_ptr 0
		.amdhsa_user_sgpr_kernarg_segment_ptr 1
		.amdhsa_user_sgpr_dispatch_id 0
		.amdhsa_user_sgpr_flat_scratch_init 0
		.amdhsa_user_sgpr_kernarg_preload_length 0
		.amdhsa_user_sgpr_kernarg_preload_offset 0
		.amdhsa_user_sgpr_private_segment_size 0
		.amdhsa_uses_dynamic_stack 0
		.amdhsa_system_sgpr_private_segment_wavefront_offset 0
		.amdhsa_system_sgpr_workgroup_id_x 1
		.amdhsa_system_sgpr_workgroup_id_y 0
		.amdhsa_system_sgpr_workgroup_id_z 0
		.amdhsa_system_sgpr_workgroup_info 0
		.amdhsa_system_vgpr_workitem_id 0
		.amdhsa_next_free_vgpr 1
		.amdhsa_next_free_sgpr 0
		.amdhsa_accum_offset 4
		.amdhsa_reserve_vcc 0
		.amdhsa_reserve_flat_scratch 0
		.amdhsa_float_round_mode_32 0
		.amdhsa_float_round_mode_16_64 0
		.amdhsa_float_denorm_mode_32 3
		.amdhsa_float_denorm_mode_16_64 3
		.amdhsa_dx10_clamp 1
		.amdhsa_ieee_mode 1
		.amdhsa_fp16_overflow 0
		.amdhsa_tg_split 0
		.amdhsa_exception_fp_ieee_invalid_op 0
		.amdhsa_exception_fp_denorm_src 0
		.amdhsa_exception_fp_ieee_div_zero 0
		.amdhsa_exception_fp_ieee_overflow 0
		.amdhsa_exception_fp_ieee_underflow 0
		.amdhsa_exception_fp_ieee_inexact 0
		.amdhsa_exception_int_div_zero 0
	.end_amdhsa_kernel
	.section	.text._ZN7rocprim17ROCPRIM_400000_NS6detail17trampoline_kernelINS0_14default_configENS1_25transform_config_selectorIaLb0EEEZNS1_14transform_implILb0ES3_S5_NS0_18transform_iteratorINS0_17counting_iteratorImlEEZNS1_24adjacent_difference_implIS3_Lb1ELb0EPaN6thrust23THRUST_200600_302600_NS16discard_iteratorINSD_11use_defaultEEENSD_5minusIaEEEE10hipError_tPvRmT2_T3_mT4_P12ihipStream_tbEUlmE_aEESB_NS0_8identityIvEEEESJ_SM_SN_mSO_SQ_bEUlT_E_NS1_11comp_targetILNS1_3genE8ELNS1_11target_archE1030ELNS1_3gpuE2ELNS1_3repE0EEENS1_30default_config_static_selectorELNS0_4arch9wavefront6targetE1EEEvT1_,"axG",@progbits,_ZN7rocprim17ROCPRIM_400000_NS6detail17trampoline_kernelINS0_14default_configENS1_25transform_config_selectorIaLb0EEEZNS1_14transform_implILb0ES3_S5_NS0_18transform_iteratorINS0_17counting_iteratorImlEEZNS1_24adjacent_difference_implIS3_Lb1ELb0EPaN6thrust23THRUST_200600_302600_NS16discard_iteratorINSD_11use_defaultEEENSD_5minusIaEEEE10hipError_tPvRmT2_T3_mT4_P12ihipStream_tbEUlmE_aEESB_NS0_8identityIvEEEESJ_SM_SN_mSO_SQ_bEUlT_E_NS1_11comp_targetILNS1_3genE8ELNS1_11target_archE1030ELNS1_3gpuE2ELNS1_3repE0EEENS1_30default_config_static_selectorELNS0_4arch9wavefront6targetE1EEEvT1_,comdat
.Lfunc_end674:
	.size	_ZN7rocprim17ROCPRIM_400000_NS6detail17trampoline_kernelINS0_14default_configENS1_25transform_config_selectorIaLb0EEEZNS1_14transform_implILb0ES3_S5_NS0_18transform_iteratorINS0_17counting_iteratorImlEEZNS1_24adjacent_difference_implIS3_Lb1ELb0EPaN6thrust23THRUST_200600_302600_NS16discard_iteratorINSD_11use_defaultEEENSD_5minusIaEEEE10hipError_tPvRmT2_T3_mT4_P12ihipStream_tbEUlmE_aEESB_NS0_8identityIvEEEESJ_SM_SN_mSO_SQ_bEUlT_E_NS1_11comp_targetILNS1_3genE8ELNS1_11target_archE1030ELNS1_3gpuE2ELNS1_3repE0EEENS1_30default_config_static_selectorELNS0_4arch9wavefront6targetE1EEEvT1_, .Lfunc_end674-_ZN7rocprim17ROCPRIM_400000_NS6detail17trampoline_kernelINS0_14default_configENS1_25transform_config_selectorIaLb0EEEZNS1_14transform_implILb0ES3_S5_NS0_18transform_iteratorINS0_17counting_iteratorImlEEZNS1_24adjacent_difference_implIS3_Lb1ELb0EPaN6thrust23THRUST_200600_302600_NS16discard_iteratorINSD_11use_defaultEEENSD_5minusIaEEEE10hipError_tPvRmT2_T3_mT4_P12ihipStream_tbEUlmE_aEESB_NS0_8identityIvEEEESJ_SM_SN_mSO_SQ_bEUlT_E_NS1_11comp_targetILNS1_3genE8ELNS1_11target_archE1030ELNS1_3gpuE2ELNS1_3repE0EEENS1_30default_config_static_selectorELNS0_4arch9wavefront6targetE1EEEvT1_
                                        ; -- End function
	.section	.AMDGPU.csdata,"",@progbits
; Kernel info:
; codeLenInByte = 0
; NumSgprs: 4
; NumVgprs: 0
; NumAgprs: 0
; TotalNumVgprs: 0
; ScratchSize: 0
; MemoryBound: 0
; FloatMode: 240
; IeeeMode: 1
; LDSByteSize: 0 bytes/workgroup (compile time only)
; SGPRBlocks: 0
; VGPRBlocks: 0
; NumSGPRsForWavesPerEU: 4
; NumVGPRsForWavesPerEU: 1
; AccumOffset: 4
; Occupancy: 8
; WaveLimiterHint : 0
; COMPUTE_PGM_RSRC2:SCRATCH_EN: 0
; COMPUTE_PGM_RSRC2:USER_SGPR: 6
; COMPUTE_PGM_RSRC2:TRAP_HANDLER: 0
; COMPUTE_PGM_RSRC2:TGID_X_EN: 1
; COMPUTE_PGM_RSRC2:TGID_Y_EN: 0
; COMPUTE_PGM_RSRC2:TGID_Z_EN: 0
; COMPUTE_PGM_RSRC2:TIDIG_COMP_CNT: 0
; COMPUTE_PGM_RSRC3_GFX90A:ACCUM_OFFSET: 0
; COMPUTE_PGM_RSRC3_GFX90A:TG_SPLIT: 0
	.section	.text._ZN7rocprim17ROCPRIM_400000_NS6detail17trampoline_kernelINS0_14default_configENS1_35adjacent_difference_config_selectorILb1EaEEZNS1_24adjacent_difference_implIS3_Lb1ELb0EPaN6thrust23THRUST_200600_302600_NS16discard_iteratorINS9_11use_defaultEEENS9_5minusIaEEEE10hipError_tPvRmT2_T3_mT4_P12ihipStream_tbEUlT_E_NS1_11comp_targetILNS1_3genE0ELNS1_11target_archE4294967295ELNS1_3gpuE0ELNS1_3repE0EEENS1_30default_config_static_selectorELNS0_4arch9wavefront6targetE1EEEvT1_,"axG",@progbits,_ZN7rocprim17ROCPRIM_400000_NS6detail17trampoline_kernelINS0_14default_configENS1_35adjacent_difference_config_selectorILb1EaEEZNS1_24adjacent_difference_implIS3_Lb1ELb0EPaN6thrust23THRUST_200600_302600_NS16discard_iteratorINS9_11use_defaultEEENS9_5minusIaEEEE10hipError_tPvRmT2_T3_mT4_P12ihipStream_tbEUlT_E_NS1_11comp_targetILNS1_3genE0ELNS1_11target_archE4294967295ELNS1_3gpuE0ELNS1_3repE0EEENS1_30default_config_static_selectorELNS0_4arch9wavefront6targetE1EEEvT1_,comdat
	.protected	_ZN7rocprim17ROCPRIM_400000_NS6detail17trampoline_kernelINS0_14default_configENS1_35adjacent_difference_config_selectorILb1EaEEZNS1_24adjacent_difference_implIS3_Lb1ELb0EPaN6thrust23THRUST_200600_302600_NS16discard_iteratorINS9_11use_defaultEEENS9_5minusIaEEEE10hipError_tPvRmT2_T3_mT4_P12ihipStream_tbEUlT_E_NS1_11comp_targetILNS1_3genE0ELNS1_11target_archE4294967295ELNS1_3gpuE0ELNS1_3repE0EEENS1_30default_config_static_selectorELNS0_4arch9wavefront6targetE1EEEvT1_ ; -- Begin function _ZN7rocprim17ROCPRIM_400000_NS6detail17trampoline_kernelINS0_14default_configENS1_35adjacent_difference_config_selectorILb1EaEEZNS1_24adjacent_difference_implIS3_Lb1ELb0EPaN6thrust23THRUST_200600_302600_NS16discard_iteratorINS9_11use_defaultEEENS9_5minusIaEEEE10hipError_tPvRmT2_T3_mT4_P12ihipStream_tbEUlT_E_NS1_11comp_targetILNS1_3genE0ELNS1_11target_archE4294967295ELNS1_3gpuE0ELNS1_3repE0EEENS1_30default_config_static_selectorELNS0_4arch9wavefront6targetE1EEEvT1_
	.globl	_ZN7rocprim17ROCPRIM_400000_NS6detail17trampoline_kernelINS0_14default_configENS1_35adjacent_difference_config_selectorILb1EaEEZNS1_24adjacent_difference_implIS3_Lb1ELb0EPaN6thrust23THRUST_200600_302600_NS16discard_iteratorINS9_11use_defaultEEENS9_5minusIaEEEE10hipError_tPvRmT2_T3_mT4_P12ihipStream_tbEUlT_E_NS1_11comp_targetILNS1_3genE0ELNS1_11target_archE4294967295ELNS1_3gpuE0ELNS1_3repE0EEENS1_30default_config_static_selectorELNS0_4arch9wavefront6targetE1EEEvT1_
	.p2align	8
	.type	_ZN7rocprim17ROCPRIM_400000_NS6detail17trampoline_kernelINS0_14default_configENS1_35adjacent_difference_config_selectorILb1EaEEZNS1_24adjacent_difference_implIS3_Lb1ELb0EPaN6thrust23THRUST_200600_302600_NS16discard_iteratorINS9_11use_defaultEEENS9_5minusIaEEEE10hipError_tPvRmT2_T3_mT4_P12ihipStream_tbEUlT_E_NS1_11comp_targetILNS1_3genE0ELNS1_11target_archE4294967295ELNS1_3gpuE0ELNS1_3repE0EEENS1_30default_config_static_selectorELNS0_4arch9wavefront6targetE1EEEvT1_,@function
_ZN7rocprim17ROCPRIM_400000_NS6detail17trampoline_kernelINS0_14default_configENS1_35adjacent_difference_config_selectorILb1EaEEZNS1_24adjacent_difference_implIS3_Lb1ELb0EPaN6thrust23THRUST_200600_302600_NS16discard_iteratorINS9_11use_defaultEEENS9_5minusIaEEEE10hipError_tPvRmT2_T3_mT4_P12ihipStream_tbEUlT_E_NS1_11comp_targetILNS1_3genE0ELNS1_11target_archE4294967295ELNS1_3gpuE0ELNS1_3repE0EEENS1_30default_config_static_selectorELNS0_4arch9wavefront6targetE1EEEvT1_: ; @_ZN7rocprim17ROCPRIM_400000_NS6detail17trampoline_kernelINS0_14default_configENS1_35adjacent_difference_config_selectorILb1EaEEZNS1_24adjacent_difference_implIS3_Lb1ELb0EPaN6thrust23THRUST_200600_302600_NS16discard_iteratorINS9_11use_defaultEEENS9_5minusIaEEEE10hipError_tPvRmT2_T3_mT4_P12ihipStream_tbEUlT_E_NS1_11comp_targetILNS1_3genE0ELNS1_11target_archE4294967295ELNS1_3gpuE0ELNS1_3repE0EEENS1_30default_config_static_selectorELNS0_4arch9wavefront6targetE1EEEvT1_
; %bb.0:
	.section	.rodata,"a",@progbits
	.p2align	6, 0x0
	.amdhsa_kernel _ZN7rocprim17ROCPRIM_400000_NS6detail17trampoline_kernelINS0_14default_configENS1_35adjacent_difference_config_selectorILb1EaEEZNS1_24adjacent_difference_implIS3_Lb1ELb0EPaN6thrust23THRUST_200600_302600_NS16discard_iteratorINS9_11use_defaultEEENS9_5minusIaEEEE10hipError_tPvRmT2_T3_mT4_P12ihipStream_tbEUlT_E_NS1_11comp_targetILNS1_3genE0ELNS1_11target_archE4294967295ELNS1_3gpuE0ELNS1_3repE0EEENS1_30default_config_static_selectorELNS0_4arch9wavefront6targetE1EEEvT1_
		.amdhsa_group_segment_fixed_size 0
		.amdhsa_private_segment_fixed_size 0
		.amdhsa_kernarg_size 64
		.amdhsa_user_sgpr_count 6
		.amdhsa_user_sgpr_private_segment_buffer 1
		.amdhsa_user_sgpr_dispatch_ptr 0
		.amdhsa_user_sgpr_queue_ptr 0
		.amdhsa_user_sgpr_kernarg_segment_ptr 1
		.amdhsa_user_sgpr_dispatch_id 0
		.amdhsa_user_sgpr_flat_scratch_init 0
		.amdhsa_user_sgpr_kernarg_preload_length 0
		.amdhsa_user_sgpr_kernarg_preload_offset 0
		.amdhsa_user_sgpr_private_segment_size 0
		.amdhsa_uses_dynamic_stack 0
		.amdhsa_system_sgpr_private_segment_wavefront_offset 0
		.amdhsa_system_sgpr_workgroup_id_x 1
		.amdhsa_system_sgpr_workgroup_id_y 0
		.amdhsa_system_sgpr_workgroup_id_z 0
		.amdhsa_system_sgpr_workgroup_info 0
		.amdhsa_system_vgpr_workitem_id 0
		.amdhsa_next_free_vgpr 1
		.amdhsa_next_free_sgpr 0
		.amdhsa_accum_offset 4
		.amdhsa_reserve_vcc 0
		.amdhsa_reserve_flat_scratch 0
		.amdhsa_float_round_mode_32 0
		.amdhsa_float_round_mode_16_64 0
		.amdhsa_float_denorm_mode_32 3
		.amdhsa_float_denorm_mode_16_64 3
		.amdhsa_dx10_clamp 1
		.amdhsa_ieee_mode 1
		.amdhsa_fp16_overflow 0
		.amdhsa_tg_split 0
		.amdhsa_exception_fp_ieee_invalid_op 0
		.amdhsa_exception_fp_denorm_src 0
		.amdhsa_exception_fp_ieee_div_zero 0
		.amdhsa_exception_fp_ieee_overflow 0
		.amdhsa_exception_fp_ieee_underflow 0
		.amdhsa_exception_fp_ieee_inexact 0
		.amdhsa_exception_int_div_zero 0
	.end_amdhsa_kernel
	.section	.text._ZN7rocprim17ROCPRIM_400000_NS6detail17trampoline_kernelINS0_14default_configENS1_35adjacent_difference_config_selectorILb1EaEEZNS1_24adjacent_difference_implIS3_Lb1ELb0EPaN6thrust23THRUST_200600_302600_NS16discard_iteratorINS9_11use_defaultEEENS9_5minusIaEEEE10hipError_tPvRmT2_T3_mT4_P12ihipStream_tbEUlT_E_NS1_11comp_targetILNS1_3genE0ELNS1_11target_archE4294967295ELNS1_3gpuE0ELNS1_3repE0EEENS1_30default_config_static_selectorELNS0_4arch9wavefront6targetE1EEEvT1_,"axG",@progbits,_ZN7rocprim17ROCPRIM_400000_NS6detail17trampoline_kernelINS0_14default_configENS1_35adjacent_difference_config_selectorILb1EaEEZNS1_24adjacent_difference_implIS3_Lb1ELb0EPaN6thrust23THRUST_200600_302600_NS16discard_iteratorINS9_11use_defaultEEENS9_5minusIaEEEE10hipError_tPvRmT2_T3_mT4_P12ihipStream_tbEUlT_E_NS1_11comp_targetILNS1_3genE0ELNS1_11target_archE4294967295ELNS1_3gpuE0ELNS1_3repE0EEENS1_30default_config_static_selectorELNS0_4arch9wavefront6targetE1EEEvT1_,comdat
.Lfunc_end675:
	.size	_ZN7rocprim17ROCPRIM_400000_NS6detail17trampoline_kernelINS0_14default_configENS1_35adjacent_difference_config_selectorILb1EaEEZNS1_24adjacent_difference_implIS3_Lb1ELb0EPaN6thrust23THRUST_200600_302600_NS16discard_iteratorINS9_11use_defaultEEENS9_5minusIaEEEE10hipError_tPvRmT2_T3_mT4_P12ihipStream_tbEUlT_E_NS1_11comp_targetILNS1_3genE0ELNS1_11target_archE4294967295ELNS1_3gpuE0ELNS1_3repE0EEENS1_30default_config_static_selectorELNS0_4arch9wavefront6targetE1EEEvT1_, .Lfunc_end675-_ZN7rocprim17ROCPRIM_400000_NS6detail17trampoline_kernelINS0_14default_configENS1_35adjacent_difference_config_selectorILb1EaEEZNS1_24adjacent_difference_implIS3_Lb1ELb0EPaN6thrust23THRUST_200600_302600_NS16discard_iteratorINS9_11use_defaultEEENS9_5minusIaEEEE10hipError_tPvRmT2_T3_mT4_P12ihipStream_tbEUlT_E_NS1_11comp_targetILNS1_3genE0ELNS1_11target_archE4294967295ELNS1_3gpuE0ELNS1_3repE0EEENS1_30default_config_static_selectorELNS0_4arch9wavefront6targetE1EEEvT1_
                                        ; -- End function
	.section	.AMDGPU.csdata,"",@progbits
; Kernel info:
; codeLenInByte = 0
; NumSgprs: 4
; NumVgprs: 0
; NumAgprs: 0
; TotalNumVgprs: 0
; ScratchSize: 0
; MemoryBound: 0
; FloatMode: 240
; IeeeMode: 1
; LDSByteSize: 0 bytes/workgroup (compile time only)
; SGPRBlocks: 0
; VGPRBlocks: 0
; NumSGPRsForWavesPerEU: 4
; NumVGPRsForWavesPerEU: 1
; AccumOffset: 4
; Occupancy: 8
; WaveLimiterHint : 0
; COMPUTE_PGM_RSRC2:SCRATCH_EN: 0
; COMPUTE_PGM_RSRC2:USER_SGPR: 6
; COMPUTE_PGM_RSRC2:TRAP_HANDLER: 0
; COMPUTE_PGM_RSRC2:TGID_X_EN: 1
; COMPUTE_PGM_RSRC2:TGID_Y_EN: 0
; COMPUTE_PGM_RSRC2:TGID_Z_EN: 0
; COMPUTE_PGM_RSRC2:TIDIG_COMP_CNT: 0
; COMPUTE_PGM_RSRC3_GFX90A:ACCUM_OFFSET: 0
; COMPUTE_PGM_RSRC3_GFX90A:TG_SPLIT: 0
	.section	.text._ZN7rocprim17ROCPRIM_400000_NS6detail17trampoline_kernelINS0_14default_configENS1_35adjacent_difference_config_selectorILb1EaEEZNS1_24adjacent_difference_implIS3_Lb1ELb0EPaN6thrust23THRUST_200600_302600_NS16discard_iteratorINS9_11use_defaultEEENS9_5minusIaEEEE10hipError_tPvRmT2_T3_mT4_P12ihipStream_tbEUlT_E_NS1_11comp_targetILNS1_3genE10ELNS1_11target_archE1201ELNS1_3gpuE5ELNS1_3repE0EEENS1_30default_config_static_selectorELNS0_4arch9wavefront6targetE1EEEvT1_,"axG",@progbits,_ZN7rocprim17ROCPRIM_400000_NS6detail17trampoline_kernelINS0_14default_configENS1_35adjacent_difference_config_selectorILb1EaEEZNS1_24adjacent_difference_implIS3_Lb1ELb0EPaN6thrust23THRUST_200600_302600_NS16discard_iteratorINS9_11use_defaultEEENS9_5minusIaEEEE10hipError_tPvRmT2_T3_mT4_P12ihipStream_tbEUlT_E_NS1_11comp_targetILNS1_3genE10ELNS1_11target_archE1201ELNS1_3gpuE5ELNS1_3repE0EEENS1_30default_config_static_selectorELNS0_4arch9wavefront6targetE1EEEvT1_,comdat
	.protected	_ZN7rocprim17ROCPRIM_400000_NS6detail17trampoline_kernelINS0_14default_configENS1_35adjacent_difference_config_selectorILb1EaEEZNS1_24adjacent_difference_implIS3_Lb1ELb0EPaN6thrust23THRUST_200600_302600_NS16discard_iteratorINS9_11use_defaultEEENS9_5minusIaEEEE10hipError_tPvRmT2_T3_mT4_P12ihipStream_tbEUlT_E_NS1_11comp_targetILNS1_3genE10ELNS1_11target_archE1201ELNS1_3gpuE5ELNS1_3repE0EEENS1_30default_config_static_selectorELNS0_4arch9wavefront6targetE1EEEvT1_ ; -- Begin function _ZN7rocprim17ROCPRIM_400000_NS6detail17trampoline_kernelINS0_14default_configENS1_35adjacent_difference_config_selectorILb1EaEEZNS1_24adjacent_difference_implIS3_Lb1ELb0EPaN6thrust23THRUST_200600_302600_NS16discard_iteratorINS9_11use_defaultEEENS9_5minusIaEEEE10hipError_tPvRmT2_T3_mT4_P12ihipStream_tbEUlT_E_NS1_11comp_targetILNS1_3genE10ELNS1_11target_archE1201ELNS1_3gpuE5ELNS1_3repE0EEENS1_30default_config_static_selectorELNS0_4arch9wavefront6targetE1EEEvT1_
	.globl	_ZN7rocprim17ROCPRIM_400000_NS6detail17trampoline_kernelINS0_14default_configENS1_35adjacent_difference_config_selectorILb1EaEEZNS1_24adjacent_difference_implIS3_Lb1ELb0EPaN6thrust23THRUST_200600_302600_NS16discard_iteratorINS9_11use_defaultEEENS9_5minusIaEEEE10hipError_tPvRmT2_T3_mT4_P12ihipStream_tbEUlT_E_NS1_11comp_targetILNS1_3genE10ELNS1_11target_archE1201ELNS1_3gpuE5ELNS1_3repE0EEENS1_30default_config_static_selectorELNS0_4arch9wavefront6targetE1EEEvT1_
	.p2align	8
	.type	_ZN7rocprim17ROCPRIM_400000_NS6detail17trampoline_kernelINS0_14default_configENS1_35adjacent_difference_config_selectorILb1EaEEZNS1_24adjacent_difference_implIS3_Lb1ELb0EPaN6thrust23THRUST_200600_302600_NS16discard_iteratorINS9_11use_defaultEEENS9_5minusIaEEEE10hipError_tPvRmT2_T3_mT4_P12ihipStream_tbEUlT_E_NS1_11comp_targetILNS1_3genE10ELNS1_11target_archE1201ELNS1_3gpuE5ELNS1_3repE0EEENS1_30default_config_static_selectorELNS0_4arch9wavefront6targetE1EEEvT1_,@function
_ZN7rocprim17ROCPRIM_400000_NS6detail17trampoline_kernelINS0_14default_configENS1_35adjacent_difference_config_selectorILb1EaEEZNS1_24adjacent_difference_implIS3_Lb1ELb0EPaN6thrust23THRUST_200600_302600_NS16discard_iteratorINS9_11use_defaultEEENS9_5minusIaEEEE10hipError_tPvRmT2_T3_mT4_P12ihipStream_tbEUlT_E_NS1_11comp_targetILNS1_3genE10ELNS1_11target_archE1201ELNS1_3gpuE5ELNS1_3repE0EEENS1_30default_config_static_selectorELNS0_4arch9wavefront6targetE1EEEvT1_: ; @_ZN7rocprim17ROCPRIM_400000_NS6detail17trampoline_kernelINS0_14default_configENS1_35adjacent_difference_config_selectorILb1EaEEZNS1_24adjacent_difference_implIS3_Lb1ELb0EPaN6thrust23THRUST_200600_302600_NS16discard_iteratorINS9_11use_defaultEEENS9_5minusIaEEEE10hipError_tPvRmT2_T3_mT4_P12ihipStream_tbEUlT_E_NS1_11comp_targetILNS1_3genE10ELNS1_11target_archE1201ELNS1_3gpuE5ELNS1_3repE0EEENS1_30default_config_static_selectorELNS0_4arch9wavefront6targetE1EEEvT1_
; %bb.0:
	.section	.rodata,"a",@progbits
	.p2align	6, 0x0
	.amdhsa_kernel _ZN7rocprim17ROCPRIM_400000_NS6detail17trampoline_kernelINS0_14default_configENS1_35adjacent_difference_config_selectorILb1EaEEZNS1_24adjacent_difference_implIS3_Lb1ELb0EPaN6thrust23THRUST_200600_302600_NS16discard_iteratorINS9_11use_defaultEEENS9_5minusIaEEEE10hipError_tPvRmT2_T3_mT4_P12ihipStream_tbEUlT_E_NS1_11comp_targetILNS1_3genE10ELNS1_11target_archE1201ELNS1_3gpuE5ELNS1_3repE0EEENS1_30default_config_static_selectorELNS0_4arch9wavefront6targetE1EEEvT1_
		.amdhsa_group_segment_fixed_size 0
		.amdhsa_private_segment_fixed_size 0
		.amdhsa_kernarg_size 64
		.amdhsa_user_sgpr_count 6
		.amdhsa_user_sgpr_private_segment_buffer 1
		.amdhsa_user_sgpr_dispatch_ptr 0
		.amdhsa_user_sgpr_queue_ptr 0
		.amdhsa_user_sgpr_kernarg_segment_ptr 1
		.amdhsa_user_sgpr_dispatch_id 0
		.amdhsa_user_sgpr_flat_scratch_init 0
		.amdhsa_user_sgpr_kernarg_preload_length 0
		.amdhsa_user_sgpr_kernarg_preload_offset 0
		.amdhsa_user_sgpr_private_segment_size 0
		.amdhsa_uses_dynamic_stack 0
		.amdhsa_system_sgpr_private_segment_wavefront_offset 0
		.amdhsa_system_sgpr_workgroup_id_x 1
		.amdhsa_system_sgpr_workgroup_id_y 0
		.amdhsa_system_sgpr_workgroup_id_z 0
		.amdhsa_system_sgpr_workgroup_info 0
		.amdhsa_system_vgpr_workitem_id 0
		.amdhsa_next_free_vgpr 1
		.amdhsa_next_free_sgpr 0
		.amdhsa_accum_offset 4
		.amdhsa_reserve_vcc 0
		.amdhsa_reserve_flat_scratch 0
		.amdhsa_float_round_mode_32 0
		.amdhsa_float_round_mode_16_64 0
		.amdhsa_float_denorm_mode_32 3
		.amdhsa_float_denorm_mode_16_64 3
		.amdhsa_dx10_clamp 1
		.amdhsa_ieee_mode 1
		.amdhsa_fp16_overflow 0
		.amdhsa_tg_split 0
		.amdhsa_exception_fp_ieee_invalid_op 0
		.amdhsa_exception_fp_denorm_src 0
		.amdhsa_exception_fp_ieee_div_zero 0
		.amdhsa_exception_fp_ieee_overflow 0
		.amdhsa_exception_fp_ieee_underflow 0
		.amdhsa_exception_fp_ieee_inexact 0
		.amdhsa_exception_int_div_zero 0
	.end_amdhsa_kernel
	.section	.text._ZN7rocprim17ROCPRIM_400000_NS6detail17trampoline_kernelINS0_14default_configENS1_35adjacent_difference_config_selectorILb1EaEEZNS1_24adjacent_difference_implIS3_Lb1ELb0EPaN6thrust23THRUST_200600_302600_NS16discard_iteratorINS9_11use_defaultEEENS9_5minusIaEEEE10hipError_tPvRmT2_T3_mT4_P12ihipStream_tbEUlT_E_NS1_11comp_targetILNS1_3genE10ELNS1_11target_archE1201ELNS1_3gpuE5ELNS1_3repE0EEENS1_30default_config_static_selectorELNS0_4arch9wavefront6targetE1EEEvT1_,"axG",@progbits,_ZN7rocprim17ROCPRIM_400000_NS6detail17trampoline_kernelINS0_14default_configENS1_35adjacent_difference_config_selectorILb1EaEEZNS1_24adjacent_difference_implIS3_Lb1ELb0EPaN6thrust23THRUST_200600_302600_NS16discard_iteratorINS9_11use_defaultEEENS9_5minusIaEEEE10hipError_tPvRmT2_T3_mT4_P12ihipStream_tbEUlT_E_NS1_11comp_targetILNS1_3genE10ELNS1_11target_archE1201ELNS1_3gpuE5ELNS1_3repE0EEENS1_30default_config_static_selectorELNS0_4arch9wavefront6targetE1EEEvT1_,comdat
.Lfunc_end676:
	.size	_ZN7rocprim17ROCPRIM_400000_NS6detail17trampoline_kernelINS0_14default_configENS1_35adjacent_difference_config_selectorILb1EaEEZNS1_24adjacent_difference_implIS3_Lb1ELb0EPaN6thrust23THRUST_200600_302600_NS16discard_iteratorINS9_11use_defaultEEENS9_5minusIaEEEE10hipError_tPvRmT2_T3_mT4_P12ihipStream_tbEUlT_E_NS1_11comp_targetILNS1_3genE10ELNS1_11target_archE1201ELNS1_3gpuE5ELNS1_3repE0EEENS1_30default_config_static_selectorELNS0_4arch9wavefront6targetE1EEEvT1_, .Lfunc_end676-_ZN7rocprim17ROCPRIM_400000_NS6detail17trampoline_kernelINS0_14default_configENS1_35adjacent_difference_config_selectorILb1EaEEZNS1_24adjacent_difference_implIS3_Lb1ELb0EPaN6thrust23THRUST_200600_302600_NS16discard_iteratorINS9_11use_defaultEEENS9_5minusIaEEEE10hipError_tPvRmT2_T3_mT4_P12ihipStream_tbEUlT_E_NS1_11comp_targetILNS1_3genE10ELNS1_11target_archE1201ELNS1_3gpuE5ELNS1_3repE0EEENS1_30default_config_static_selectorELNS0_4arch9wavefront6targetE1EEEvT1_
                                        ; -- End function
	.section	.AMDGPU.csdata,"",@progbits
; Kernel info:
; codeLenInByte = 0
; NumSgprs: 4
; NumVgprs: 0
; NumAgprs: 0
; TotalNumVgprs: 0
; ScratchSize: 0
; MemoryBound: 0
; FloatMode: 240
; IeeeMode: 1
; LDSByteSize: 0 bytes/workgroup (compile time only)
; SGPRBlocks: 0
; VGPRBlocks: 0
; NumSGPRsForWavesPerEU: 4
; NumVGPRsForWavesPerEU: 1
; AccumOffset: 4
; Occupancy: 8
; WaveLimiterHint : 0
; COMPUTE_PGM_RSRC2:SCRATCH_EN: 0
; COMPUTE_PGM_RSRC2:USER_SGPR: 6
; COMPUTE_PGM_RSRC2:TRAP_HANDLER: 0
; COMPUTE_PGM_RSRC2:TGID_X_EN: 1
; COMPUTE_PGM_RSRC2:TGID_Y_EN: 0
; COMPUTE_PGM_RSRC2:TGID_Z_EN: 0
; COMPUTE_PGM_RSRC2:TIDIG_COMP_CNT: 0
; COMPUTE_PGM_RSRC3_GFX90A:ACCUM_OFFSET: 0
; COMPUTE_PGM_RSRC3_GFX90A:TG_SPLIT: 0
	.section	.text._ZN7rocprim17ROCPRIM_400000_NS6detail17trampoline_kernelINS0_14default_configENS1_35adjacent_difference_config_selectorILb1EaEEZNS1_24adjacent_difference_implIS3_Lb1ELb0EPaN6thrust23THRUST_200600_302600_NS16discard_iteratorINS9_11use_defaultEEENS9_5minusIaEEEE10hipError_tPvRmT2_T3_mT4_P12ihipStream_tbEUlT_E_NS1_11comp_targetILNS1_3genE5ELNS1_11target_archE942ELNS1_3gpuE9ELNS1_3repE0EEENS1_30default_config_static_selectorELNS0_4arch9wavefront6targetE1EEEvT1_,"axG",@progbits,_ZN7rocprim17ROCPRIM_400000_NS6detail17trampoline_kernelINS0_14default_configENS1_35adjacent_difference_config_selectorILb1EaEEZNS1_24adjacent_difference_implIS3_Lb1ELb0EPaN6thrust23THRUST_200600_302600_NS16discard_iteratorINS9_11use_defaultEEENS9_5minusIaEEEE10hipError_tPvRmT2_T3_mT4_P12ihipStream_tbEUlT_E_NS1_11comp_targetILNS1_3genE5ELNS1_11target_archE942ELNS1_3gpuE9ELNS1_3repE0EEENS1_30default_config_static_selectorELNS0_4arch9wavefront6targetE1EEEvT1_,comdat
	.protected	_ZN7rocprim17ROCPRIM_400000_NS6detail17trampoline_kernelINS0_14default_configENS1_35adjacent_difference_config_selectorILb1EaEEZNS1_24adjacent_difference_implIS3_Lb1ELb0EPaN6thrust23THRUST_200600_302600_NS16discard_iteratorINS9_11use_defaultEEENS9_5minusIaEEEE10hipError_tPvRmT2_T3_mT4_P12ihipStream_tbEUlT_E_NS1_11comp_targetILNS1_3genE5ELNS1_11target_archE942ELNS1_3gpuE9ELNS1_3repE0EEENS1_30default_config_static_selectorELNS0_4arch9wavefront6targetE1EEEvT1_ ; -- Begin function _ZN7rocprim17ROCPRIM_400000_NS6detail17trampoline_kernelINS0_14default_configENS1_35adjacent_difference_config_selectorILb1EaEEZNS1_24adjacent_difference_implIS3_Lb1ELb0EPaN6thrust23THRUST_200600_302600_NS16discard_iteratorINS9_11use_defaultEEENS9_5minusIaEEEE10hipError_tPvRmT2_T3_mT4_P12ihipStream_tbEUlT_E_NS1_11comp_targetILNS1_3genE5ELNS1_11target_archE942ELNS1_3gpuE9ELNS1_3repE0EEENS1_30default_config_static_selectorELNS0_4arch9wavefront6targetE1EEEvT1_
	.globl	_ZN7rocprim17ROCPRIM_400000_NS6detail17trampoline_kernelINS0_14default_configENS1_35adjacent_difference_config_selectorILb1EaEEZNS1_24adjacent_difference_implIS3_Lb1ELb0EPaN6thrust23THRUST_200600_302600_NS16discard_iteratorINS9_11use_defaultEEENS9_5minusIaEEEE10hipError_tPvRmT2_T3_mT4_P12ihipStream_tbEUlT_E_NS1_11comp_targetILNS1_3genE5ELNS1_11target_archE942ELNS1_3gpuE9ELNS1_3repE0EEENS1_30default_config_static_selectorELNS0_4arch9wavefront6targetE1EEEvT1_
	.p2align	8
	.type	_ZN7rocprim17ROCPRIM_400000_NS6detail17trampoline_kernelINS0_14default_configENS1_35adjacent_difference_config_selectorILb1EaEEZNS1_24adjacent_difference_implIS3_Lb1ELb0EPaN6thrust23THRUST_200600_302600_NS16discard_iteratorINS9_11use_defaultEEENS9_5minusIaEEEE10hipError_tPvRmT2_T3_mT4_P12ihipStream_tbEUlT_E_NS1_11comp_targetILNS1_3genE5ELNS1_11target_archE942ELNS1_3gpuE9ELNS1_3repE0EEENS1_30default_config_static_selectorELNS0_4arch9wavefront6targetE1EEEvT1_,@function
_ZN7rocprim17ROCPRIM_400000_NS6detail17trampoline_kernelINS0_14default_configENS1_35adjacent_difference_config_selectorILb1EaEEZNS1_24adjacent_difference_implIS3_Lb1ELb0EPaN6thrust23THRUST_200600_302600_NS16discard_iteratorINS9_11use_defaultEEENS9_5minusIaEEEE10hipError_tPvRmT2_T3_mT4_P12ihipStream_tbEUlT_E_NS1_11comp_targetILNS1_3genE5ELNS1_11target_archE942ELNS1_3gpuE9ELNS1_3repE0EEENS1_30default_config_static_selectorELNS0_4arch9wavefront6targetE1EEEvT1_: ; @_ZN7rocprim17ROCPRIM_400000_NS6detail17trampoline_kernelINS0_14default_configENS1_35adjacent_difference_config_selectorILb1EaEEZNS1_24adjacent_difference_implIS3_Lb1ELb0EPaN6thrust23THRUST_200600_302600_NS16discard_iteratorINS9_11use_defaultEEENS9_5minusIaEEEE10hipError_tPvRmT2_T3_mT4_P12ihipStream_tbEUlT_E_NS1_11comp_targetILNS1_3genE5ELNS1_11target_archE942ELNS1_3gpuE9ELNS1_3repE0EEENS1_30default_config_static_selectorELNS0_4arch9wavefront6targetE1EEEvT1_
; %bb.0:
	.section	.rodata,"a",@progbits
	.p2align	6, 0x0
	.amdhsa_kernel _ZN7rocprim17ROCPRIM_400000_NS6detail17trampoline_kernelINS0_14default_configENS1_35adjacent_difference_config_selectorILb1EaEEZNS1_24adjacent_difference_implIS3_Lb1ELb0EPaN6thrust23THRUST_200600_302600_NS16discard_iteratorINS9_11use_defaultEEENS9_5minusIaEEEE10hipError_tPvRmT2_T3_mT4_P12ihipStream_tbEUlT_E_NS1_11comp_targetILNS1_3genE5ELNS1_11target_archE942ELNS1_3gpuE9ELNS1_3repE0EEENS1_30default_config_static_selectorELNS0_4arch9wavefront6targetE1EEEvT1_
		.amdhsa_group_segment_fixed_size 0
		.amdhsa_private_segment_fixed_size 0
		.amdhsa_kernarg_size 64
		.amdhsa_user_sgpr_count 6
		.amdhsa_user_sgpr_private_segment_buffer 1
		.amdhsa_user_sgpr_dispatch_ptr 0
		.amdhsa_user_sgpr_queue_ptr 0
		.amdhsa_user_sgpr_kernarg_segment_ptr 1
		.amdhsa_user_sgpr_dispatch_id 0
		.amdhsa_user_sgpr_flat_scratch_init 0
		.amdhsa_user_sgpr_kernarg_preload_length 0
		.amdhsa_user_sgpr_kernarg_preload_offset 0
		.amdhsa_user_sgpr_private_segment_size 0
		.amdhsa_uses_dynamic_stack 0
		.amdhsa_system_sgpr_private_segment_wavefront_offset 0
		.amdhsa_system_sgpr_workgroup_id_x 1
		.amdhsa_system_sgpr_workgroup_id_y 0
		.amdhsa_system_sgpr_workgroup_id_z 0
		.amdhsa_system_sgpr_workgroup_info 0
		.amdhsa_system_vgpr_workitem_id 0
		.amdhsa_next_free_vgpr 1
		.amdhsa_next_free_sgpr 0
		.amdhsa_accum_offset 4
		.amdhsa_reserve_vcc 0
		.amdhsa_reserve_flat_scratch 0
		.amdhsa_float_round_mode_32 0
		.amdhsa_float_round_mode_16_64 0
		.amdhsa_float_denorm_mode_32 3
		.amdhsa_float_denorm_mode_16_64 3
		.amdhsa_dx10_clamp 1
		.amdhsa_ieee_mode 1
		.amdhsa_fp16_overflow 0
		.amdhsa_tg_split 0
		.amdhsa_exception_fp_ieee_invalid_op 0
		.amdhsa_exception_fp_denorm_src 0
		.amdhsa_exception_fp_ieee_div_zero 0
		.amdhsa_exception_fp_ieee_overflow 0
		.amdhsa_exception_fp_ieee_underflow 0
		.amdhsa_exception_fp_ieee_inexact 0
		.amdhsa_exception_int_div_zero 0
	.end_amdhsa_kernel
	.section	.text._ZN7rocprim17ROCPRIM_400000_NS6detail17trampoline_kernelINS0_14default_configENS1_35adjacent_difference_config_selectorILb1EaEEZNS1_24adjacent_difference_implIS3_Lb1ELb0EPaN6thrust23THRUST_200600_302600_NS16discard_iteratorINS9_11use_defaultEEENS9_5minusIaEEEE10hipError_tPvRmT2_T3_mT4_P12ihipStream_tbEUlT_E_NS1_11comp_targetILNS1_3genE5ELNS1_11target_archE942ELNS1_3gpuE9ELNS1_3repE0EEENS1_30default_config_static_selectorELNS0_4arch9wavefront6targetE1EEEvT1_,"axG",@progbits,_ZN7rocprim17ROCPRIM_400000_NS6detail17trampoline_kernelINS0_14default_configENS1_35adjacent_difference_config_selectorILb1EaEEZNS1_24adjacent_difference_implIS3_Lb1ELb0EPaN6thrust23THRUST_200600_302600_NS16discard_iteratorINS9_11use_defaultEEENS9_5minusIaEEEE10hipError_tPvRmT2_T3_mT4_P12ihipStream_tbEUlT_E_NS1_11comp_targetILNS1_3genE5ELNS1_11target_archE942ELNS1_3gpuE9ELNS1_3repE0EEENS1_30default_config_static_selectorELNS0_4arch9wavefront6targetE1EEEvT1_,comdat
.Lfunc_end677:
	.size	_ZN7rocprim17ROCPRIM_400000_NS6detail17trampoline_kernelINS0_14default_configENS1_35adjacent_difference_config_selectorILb1EaEEZNS1_24adjacent_difference_implIS3_Lb1ELb0EPaN6thrust23THRUST_200600_302600_NS16discard_iteratorINS9_11use_defaultEEENS9_5minusIaEEEE10hipError_tPvRmT2_T3_mT4_P12ihipStream_tbEUlT_E_NS1_11comp_targetILNS1_3genE5ELNS1_11target_archE942ELNS1_3gpuE9ELNS1_3repE0EEENS1_30default_config_static_selectorELNS0_4arch9wavefront6targetE1EEEvT1_, .Lfunc_end677-_ZN7rocprim17ROCPRIM_400000_NS6detail17trampoline_kernelINS0_14default_configENS1_35adjacent_difference_config_selectorILb1EaEEZNS1_24adjacent_difference_implIS3_Lb1ELb0EPaN6thrust23THRUST_200600_302600_NS16discard_iteratorINS9_11use_defaultEEENS9_5minusIaEEEE10hipError_tPvRmT2_T3_mT4_P12ihipStream_tbEUlT_E_NS1_11comp_targetILNS1_3genE5ELNS1_11target_archE942ELNS1_3gpuE9ELNS1_3repE0EEENS1_30default_config_static_selectorELNS0_4arch9wavefront6targetE1EEEvT1_
                                        ; -- End function
	.section	.AMDGPU.csdata,"",@progbits
; Kernel info:
; codeLenInByte = 0
; NumSgprs: 4
; NumVgprs: 0
; NumAgprs: 0
; TotalNumVgprs: 0
; ScratchSize: 0
; MemoryBound: 0
; FloatMode: 240
; IeeeMode: 1
; LDSByteSize: 0 bytes/workgroup (compile time only)
; SGPRBlocks: 0
; VGPRBlocks: 0
; NumSGPRsForWavesPerEU: 4
; NumVGPRsForWavesPerEU: 1
; AccumOffset: 4
; Occupancy: 8
; WaveLimiterHint : 0
; COMPUTE_PGM_RSRC2:SCRATCH_EN: 0
; COMPUTE_PGM_RSRC2:USER_SGPR: 6
; COMPUTE_PGM_RSRC2:TRAP_HANDLER: 0
; COMPUTE_PGM_RSRC2:TGID_X_EN: 1
; COMPUTE_PGM_RSRC2:TGID_Y_EN: 0
; COMPUTE_PGM_RSRC2:TGID_Z_EN: 0
; COMPUTE_PGM_RSRC2:TIDIG_COMP_CNT: 0
; COMPUTE_PGM_RSRC3_GFX90A:ACCUM_OFFSET: 0
; COMPUTE_PGM_RSRC3_GFX90A:TG_SPLIT: 0
	.section	.text._ZN7rocprim17ROCPRIM_400000_NS6detail17trampoline_kernelINS0_14default_configENS1_35adjacent_difference_config_selectorILb1EaEEZNS1_24adjacent_difference_implIS3_Lb1ELb0EPaN6thrust23THRUST_200600_302600_NS16discard_iteratorINS9_11use_defaultEEENS9_5minusIaEEEE10hipError_tPvRmT2_T3_mT4_P12ihipStream_tbEUlT_E_NS1_11comp_targetILNS1_3genE4ELNS1_11target_archE910ELNS1_3gpuE8ELNS1_3repE0EEENS1_30default_config_static_selectorELNS0_4arch9wavefront6targetE1EEEvT1_,"axG",@progbits,_ZN7rocprim17ROCPRIM_400000_NS6detail17trampoline_kernelINS0_14default_configENS1_35adjacent_difference_config_selectorILb1EaEEZNS1_24adjacent_difference_implIS3_Lb1ELb0EPaN6thrust23THRUST_200600_302600_NS16discard_iteratorINS9_11use_defaultEEENS9_5minusIaEEEE10hipError_tPvRmT2_T3_mT4_P12ihipStream_tbEUlT_E_NS1_11comp_targetILNS1_3genE4ELNS1_11target_archE910ELNS1_3gpuE8ELNS1_3repE0EEENS1_30default_config_static_selectorELNS0_4arch9wavefront6targetE1EEEvT1_,comdat
	.protected	_ZN7rocprim17ROCPRIM_400000_NS6detail17trampoline_kernelINS0_14default_configENS1_35adjacent_difference_config_selectorILb1EaEEZNS1_24adjacent_difference_implIS3_Lb1ELb0EPaN6thrust23THRUST_200600_302600_NS16discard_iteratorINS9_11use_defaultEEENS9_5minusIaEEEE10hipError_tPvRmT2_T3_mT4_P12ihipStream_tbEUlT_E_NS1_11comp_targetILNS1_3genE4ELNS1_11target_archE910ELNS1_3gpuE8ELNS1_3repE0EEENS1_30default_config_static_selectorELNS0_4arch9wavefront6targetE1EEEvT1_ ; -- Begin function _ZN7rocprim17ROCPRIM_400000_NS6detail17trampoline_kernelINS0_14default_configENS1_35adjacent_difference_config_selectorILb1EaEEZNS1_24adjacent_difference_implIS3_Lb1ELb0EPaN6thrust23THRUST_200600_302600_NS16discard_iteratorINS9_11use_defaultEEENS9_5minusIaEEEE10hipError_tPvRmT2_T3_mT4_P12ihipStream_tbEUlT_E_NS1_11comp_targetILNS1_3genE4ELNS1_11target_archE910ELNS1_3gpuE8ELNS1_3repE0EEENS1_30default_config_static_selectorELNS0_4arch9wavefront6targetE1EEEvT1_
	.globl	_ZN7rocprim17ROCPRIM_400000_NS6detail17trampoline_kernelINS0_14default_configENS1_35adjacent_difference_config_selectorILb1EaEEZNS1_24adjacent_difference_implIS3_Lb1ELb0EPaN6thrust23THRUST_200600_302600_NS16discard_iteratorINS9_11use_defaultEEENS9_5minusIaEEEE10hipError_tPvRmT2_T3_mT4_P12ihipStream_tbEUlT_E_NS1_11comp_targetILNS1_3genE4ELNS1_11target_archE910ELNS1_3gpuE8ELNS1_3repE0EEENS1_30default_config_static_selectorELNS0_4arch9wavefront6targetE1EEEvT1_
	.p2align	8
	.type	_ZN7rocprim17ROCPRIM_400000_NS6detail17trampoline_kernelINS0_14default_configENS1_35adjacent_difference_config_selectorILb1EaEEZNS1_24adjacent_difference_implIS3_Lb1ELb0EPaN6thrust23THRUST_200600_302600_NS16discard_iteratorINS9_11use_defaultEEENS9_5minusIaEEEE10hipError_tPvRmT2_T3_mT4_P12ihipStream_tbEUlT_E_NS1_11comp_targetILNS1_3genE4ELNS1_11target_archE910ELNS1_3gpuE8ELNS1_3repE0EEENS1_30default_config_static_selectorELNS0_4arch9wavefront6targetE1EEEvT1_,@function
_ZN7rocprim17ROCPRIM_400000_NS6detail17trampoline_kernelINS0_14default_configENS1_35adjacent_difference_config_selectorILb1EaEEZNS1_24adjacent_difference_implIS3_Lb1ELb0EPaN6thrust23THRUST_200600_302600_NS16discard_iteratorINS9_11use_defaultEEENS9_5minusIaEEEE10hipError_tPvRmT2_T3_mT4_P12ihipStream_tbEUlT_E_NS1_11comp_targetILNS1_3genE4ELNS1_11target_archE910ELNS1_3gpuE8ELNS1_3repE0EEENS1_30default_config_static_selectorELNS0_4arch9wavefront6targetE1EEEvT1_: ; @_ZN7rocprim17ROCPRIM_400000_NS6detail17trampoline_kernelINS0_14default_configENS1_35adjacent_difference_config_selectorILb1EaEEZNS1_24adjacent_difference_implIS3_Lb1ELb0EPaN6thrust23THRUST_200600_302600_NS16discard_iteratorINS9_11use_defaultEEENS9_5minusIaEEEE10hipError_tPvRmT2_T3_mT4_P12ihipStream_tbEUlT_E_NS1_11comp_targetILNS1_3genE4ELNS1_11target_archE910ELNS1_3gpuE8ELNS1_3repE0EEENS1_30default_config_static_selectorELNS0_4arch9wavefront6targetE1EEEvT1_
; %bb.0:
	s_load_dwordx4 s[0:3], s[4:5], 0x0
	s_load_dwordx2 s[12:13], s[4:5], 0x20
	s_load_dwordx4 s[8:11], s[4:5], 0x30
	v_bfrev_b32_e32 v1, 6
	s_mul_i32 s17, s6, 0x980
	s_waitcnt lgkmcnt(0)
	s_add_u32 s7, s0, s2
	s_addc_u32 s16, s1, s3
	s_mov_b32 s1, 0x5ca1aca0
	s_add_u32 s1, 0x14a, s1
	s_addc_u32 s2, 0, 0
	v_add_co_u32_e32 v1, vcc, s1, v1
	s_cmp_lg_u64 vcc, 0
	v_readfirstlane_b32 s3, v1
	s_addc_u32 s1, s2, 0x1af286
	s_mul_hi_u32 s4, s3, 0xfffff680
	s_mul_i32 s2, s1, 0xfffff680
	s_sub_i32 s4, s4, s3
	s_add_i32 s4, s4, s2
	s_mul_i32 s15, s3, 0xfffff680
	s_mul_hi_u32 s2, s3, s4
	s_mul_i32 s5, s3, s4
	s_mul_hi_u32 s3, s3, s15
	s_add_u32 s3, s3, s5
	s_addc_u32 s2, 0, s2
	s_mul_hi_u32 s18, s1, s15
	s_mul_i32 s15, s1, s15
	s_add_u32 s3, s3, s15
	s_mul_hi_u32 s5, s1, s4
	s_addc_u32 s2, s2, s18
	s_addc_u32 s3, s5, 0
	s_mul_i32 s4, s1, s4
	s_add_u32 s2, s2, s4
	s_addc_u32 s3, 0, s3
	v_add_co_u32_e32 v1, vcc, s2, v1
	s_cmp_lg_u64 vcc, 0
	s_addc_u32 s1, s1, s3
	v_readfirstlane_b32 s4, v1
	s_mul_i32 s3, s12, s1
	s_mul_hi_u32 s5, s12, s4
	s_mul_hi_u32 s2, s12, s1
	s_add_u32 s3, s5, s3
	s_addc_u32 s2, 0, s2
	s_mul_hi_u32 s15, s13, s4
	s_mul_i32 s4, s13, s4
	s_add_u32 s3, s3, s4
	s_mul_hi_u32 s5, s13, s1
	s_addc_u32 s2, s2, s15
	s_addc_u32 s3, s5, 0
	s_mul_i32 s1, s13, s1
	s_add_u32 s1, s2, s1
	s_addc_u32 s2, 0, s3
	s_add_u32 s3, s1, 1
	s_addc_u32 s4, s2, 0
	s_add_u32 s5, s1, 2
	s_mul_i32 s18, s2, 0x980
	s_mul_hi_u32 s19, s1, 0x980
	s_addc_u32 s15, s2, 0
	s_add_i32 s19, s19, s18
	s_mul_i32 s18, s1, 0x980
	v_mov_b32_e32 v1, s18
	v_sub_co_u32_e32 v1, vcc, s12, v1
	s_movk_i32 s0, 0x980
	s_cmp_lg_u64 vcc, 0
	s_subb_u32 s18, s13, s19
	v_subrev_co_u32_e32 v2, vcc, s0, v1
	s_cmp_lg_u64 vcc, 0
	s_subb_u32 s0, s18, 0
	v_readfirstlane_b32 s19, v2
	s_cmpk_gt_u32 s19, 0x97f
	s_cselect_b32 s19, -1, 0
	s_cmp_eq_u32 s0, 0
	s_cselect_b32 s0, s19, -1
	s_cmp_lg_u32 s0, 0
	s_cselect_b32 s0, s5, s3
	s_cselect_b32 s3, s15, s4
	v_readfirstlane_b32 s4, v1
	s_cmpk_gt_u32 s4, 0x97f
	s_cselect_b32 s4, -1, 0
	s_cmp_eq_u32 s18, 0
	s_cselect_b32 s4, s4, -1
	s_cmp_lg_u32 s4, 0
	s_cselect_b32 s2, s3, s2
	s_cselect_b32 s3, s0, s1
	s_mul_i32 s0, s2, 0x980
	s_mul_hi_u32 s1, s3, 0x980
	s_add_i32 s1, s1, s0
	s_mul_i32 s0, s3, 0x980
	s_sub_u32 s0, s12, s0
	s_subb_u32 s1, s13, s1
	s_cmp_lg_u64 s[0:1], 0
	s_cselect_b64 s[0:1], -1, 0
	v_cndmask_b32_e64 v1, 0, 1, s[0:1]
	v_mov_b32_e32 v3, s2
	v_add_co_u32_e32 v2, vcc, s3, v1
	v_addc_co_u32_e32 v3, vcc, 0, v3, vcc
	s_add_u32 s2, s10, s6
	v_add_co_u32_e32 v8, vcc, -1, v2
	s_addc_u32 s3, s11, 0
	v_addc_co_u32_e32 v9, vcc, -1, v3, vcc
	v_cmp_ge_u64_e64 s[0:1], s[2:3], v[8:9]
	s_movk_i32 s14, 0xf680
	s_mov_b64 s[4:5], -1
	s_and_b64 vcc, exec, s[0:1]
	s_cbranch_vccz .LBB678_40
; %bb.1:
	v_mul_lo_u32 v1, v8, s14
	v_add_u32_e32 v4, s12, v1
	s_add_u32 s4, s7, s17
	s_addc_u32 s5, s16, 0
	v_cmp_lt_u32_e32 vcc, v0, v4
                                        ; implicit-def: $vgpr1
	s_and_saveexec_b64 s[14:15], vcc
	s_cbranch_execz .LBB678_3
; %bb.2:
	global_load_ubyte v1, v0, s[4:5]
.LBB678_3:
	s_or_b64 exec, exec, s[14:15]
	v_or_b32_e32 v5, 0x80, v0
	v_cmp_lt_u32_e32 vcc, v5, v4
                                        ; implicit-def: $vgpr5
	s_and_saveexec_b64 s[14:15], vcc
	s_cbranch_execz .LBB678_5
; %bb.4:
	global_load_ubyte v5, v0, s[4:5] offset:128
.LBB678_5:
	s_or_b64 exec, exec, s[14:15]
	v_or_b32_e32 v6, 0x100, v0
	v_cmp_lt_u32_e32 vcc, v6, v4
                                        ; implicit-def: $vgpr6
	s_and_saveexec_b64 s[14:15], vcc
	s_cbranch_execz .LBB678_7
; %bb.6:
	global_load_ubyte v6, v0, s[4:5] offset:256
.LBB678_7:
	s_or_b64 exec, exec, s[14:15]
	v_or_b32_e32 v7, 0x180, v0
	v_cmp_lt_u32_e32 vcc, v7, v4
                                        ; implicit-def: $vgpr7
	s_and_saveexec_b64 s[14:15], vcc
	s_cbranch_execz .LBB678_9
; %bb.8:
	global_load_ubyte v7, v0, s[4:5] offset:384
.LBB678_9:
	s_or_b64 exec, exec, s[14:15]
	v_or_b32_e32 v10, 0x200, v0
	v_cmp_lt_u32_e32 vcc, v10, v4
                                        ; implicit-def: $vgpr10
	s_and_saveexec_b64 s[14:15], vcc
	s_cbranch_execz .LBB678_11
; %bb.10:
	global_load_ubyte v10, v0, s[4:5] offset:512
.LBB678_11:
	s_or_b64 exec, exec, s[14:15]
	v_or_b32_e32 v11, 0x280, v0
	v_cmp_lt_u32_e32 vcc, v11, v4
                                        ; implicit-def: $vgpr11
	s_and_saveexec_b64 s[14:15], vcc
	s_cbranch_execz .LBB678_13
; %bb.12:
	global_load_ubyte v11, v0, s[4:5] offset:640
.LBB678_13:
	s_or_b64 exec, exec, s[14:15]
	v_or_b32_e32 v12, 0x300, v0
	v_cmp_lt_u32_e32 vcc, v12, v4
                                        ; implicit-def: $vgpr12
	s_and_saveexec_b64 s[14:15], vcc
	s_cbranch_execz .LBB678_15
; %bb.14:
	global_load_ubyte v12, v0, s[4:5] offset:768
.LBB678_15:
	s_or_b64 exec, exec, s[14:15]
	v_or_b32_e32 v13, 0x380, v0
	v_cmp_lt_u32_e32 vcc, v13, v4
                                        ; implicit-def: $vgpr13
	s_and_saveexec_b64 s[14:15], vcc
	s_cbranch_execz .LBB678_17
; %bb.16:
	global_load_ubyte v13, v0, s[4:5] offset:896
.LBB678_17:
	s_or_b64 exec, exec, s[14:15]
	v_or_b32_e32 v14, 0x400, v0
	v_cmp_lt_u32_e32 vcc, v14, v4
                                        ; implicit-def: $vgpr14
	s_and_saveexec_b64 s[14:15], vcc
	s_cbranch_execz .LBB678_19
; %bb.18:
	global_load_ubyte v14, v0, s[4:5] offset:1024
.LBB678_19:
	s_or_b64 exec, exec, s[14:15]
	v_or_b32_e32 v15, 0x480, v0
	v_cmp_lt_u32_e32 vcc, v15, v4
                                        ; implicit-def: $vgpr15
	s_and_saveexec_b64 s[14:15], vcc
	s_cbranch_execz .LBB678_21
; %bb.20:
	global_load_ubyte v15, v0, s[4:5] offset:1152
.LBB678_21:
	s_or_b64 exec, exec, s[14:15]
	v_or_b32_e32 v16, 0x500, v0
	v_cmp_lt_u32_e32 vcc, v16, v4
                                        ; implicit-def: $vgpr16
	s_and_saveexec_b64 s[14:15], vcc
	s_cbranch_execz .LBB678_23
; %bb.22:
	global_load_ubyte v16, v0, s[4:5] offset:1280
.LBB678_23:
	s_or_b64 exec, exec, s[14:15]
	v_or_b32_e32 v17, 0x580, v0
	v_cmp_lt_u32_e32 vcc, v17, v4
                                        ; implicit-def: $vgpr17
	s_and_saveexec_b64 s[14:15], vcc
	s_cbranch_execz .LBB678_25
; %bb.24:
	global_load_ubyte v17, v0, s[4:5] offset:1408
.LBB678_25:
	s_or_b64 exec, exec, s[14:15]
	v_or_b32_e32 v18, 0x600, v0
	v_cmp_lt_u32_e32 vcc, v18, v4
                                        ; implicit-def: $vgpr18
	s_and_saveexec_b64 s[14:15], vcc
	s_cbranch_execz .LBB678_27
; %bb.26:
	global_load_ubyte v18, v0, s[4:5] offset:1536
.LBB678_27:
	s_or_b64 exec, exec, s[14:15]
	v_or_b32_e32 v19, 0x680, v0
	v_cmp_lt_u32_e32 vcc, v19, v4
                                        ; implicit-def: $vgpr19
	s_and_saveexec_b64 s[14:15], vcc
	s_cbranch_execz .LBB678_29
; %bb.28:
	global_load_ubyte v19, v0, s[4:5] offset:1664
.LBB678_29:
	s_or_b64 exec, exec, s[14:15]
	v_or_b32_e32 v20, 0x700, v0
	v_cmp_lt_u32_e32 vcc, v20, v4
                                        ; implicit-def: $vgpr20
	s_and_saveexec_b64 s[14:15], vcc
	s_cbranch_execz .LBB678_31
; %bb.30:
	global_load_ubyte v20, v0, s[4:5] offset:1792
.LBB678_31:
	s_or_b64 exec, exec, s[14:15]
	v_or_b32_e32 v21, 0x780, v0
	v_cmp_lt_u32_e32 vcc, v21, v4
                                        ; implicit-def: $vgpr21
	s_and_saveexec_b64 s[14:15], vcc
	s_cbranch_execz .LBB678_33
; %bb.32:
	global_load_ubyte v21, v0, s[4:5] offset:1920
.LBB678_33:
	s_or_b64 exec, exec, s[14:15]
	v_or_b32_e32 v22, 0x800, v0
	v_cmp_lt_u32_e32 vcc, v22, v4
                                        ; implicit-def: $vgpr22
	s_and_saveexec_b64 s[14:15], vcc
	s_cbranch_execz .LBB678_35
; %bb.34:
	global_load_ubyte v22, v0, s[4:5] offset:2048
.LBB678_35:
	s_or_b64 exec, exec, s[14:15]
	v_or_b32_e32 v23, 0x880, v0
	v_cmp_lt_u32_e32 vcc, v23, v4
                                        ; implicit-def: $vgpr23
	s_and_saveexec_b64 s[14:15], vcc
	s_cbranch_execz .LBB678_37
; %bb.36:
	global_load_ubyte v23, v0, s[4:5] offset:2176
.LBB678_37:
	s_or_b64 exec, exec, s[14:15]
	v_or_b32_e32 v24, 0x900, v0
	v_cmp_lt_u32_e32 vcc, v24, v4
                                        ; implicit-def: $vgpr4
	s_and_saveexec_b64 s[14:15], vcc
	s_cbranch_execz .LBB678_39
; %bb.38:
	global_load_ubyte v4, v0, s[4:5] offset:2304
.LBB678_39:
	s_or_b64 exec, exec, s[14:15]
	s_mov_b64 s[4:5], 0
	s_waitcnt vmcnt(0)
	ds_write_b8 v0, v1
	ds_write_b8 v0, v5 offset:128
	ds_write_b8 v0, v6 offset:256
	;; [unrolled: 1-line block ×18, first 2 shown]
	s_waitcnt lgkmcnt(0)
	s_barrier
.LBB678_40:
	s_and_b64 vcc, exec, s[4:5]
	s_cbranch_vccz .LBB678_42
; %bb.41:
	s_add_u32 s4, s7, s17
	s_addc_u32 s5, s16, 0
	global_load_ubyte v1, v0, s[4:5]
	global_load_ubyte v4, v0, s[4:5] offset:128
	global_load_ubyte v5, v0, s[4:5] offset:256
	;; [unrolled: 1-line block ×18, first 2 shown]
	s_waitcnt vmcnt(18)
	ds_write_b8 v0, v1
	s_waitcnt vmcnt(17)
	ds_write_b8 v0, v4 offset:128
	s_waitcnt vmcnt(16)
	ds_write_b8 v0, v5 offset:256
	;; [unrolled: 2-line block ×18, first 2 shown]
	s_waitcnt lgkmcnt(0)
	s_barrier
.LBB678_42:
	v_mul_u32_u24_e32 v1, 19, v0
	ds_read_u8 v11, v1
	ds_read_b64 v[6:7], v1 offset:1
	ds_read_u8 v10, v1 offset:9
	ds_read_b64 v[4:5], v1 offset:10
	ds_read_u8 v1, v1 offset:18
	s_cmp_eq_u64 s[2:3], 0
	s_waitcnt lgkmcnt(0)
	s_barrier
	s_cbranch_scc1 .LBB678_47
; %bb.43:
	s_add_u32 s4, s8, s10
	s_addc_u32 s5, s9, s11
	s_add_u32 s4, s4, s6
	s_addc_u32 s5, s5, 0
	v_mov_b32_e32 v12, 0
	global_load_ubyte v16, v12, s[4:5] offset:-1
	v_cmp_eq_u64_e32 vcc, s[2:3], v[8:9]
	s_cbranch_vccnz .LBB678_48
; %bb.44:
	v_cmp_ne_u32_e32 vcc, 0, v0
	s_waitcnt vmcnt(0)
	v_mov_b32_e32 v8, v16
	ds_write_b8 v0, v1
	s_waitcnt lgkmcnt(0)
	s_barrier
	s_and_saveexec_b64 s[4:5], vcc
	s_cbranch_execz .LBB678_46
; %bb.45:
	v_add_u32_e32 v8, -1, v0
	ds_read_u8 v8, v8
.LBB678_46:
	s_or_b64 exec, exec, s[4:5]
	v_lshrrev_b32_e32 v9, 16, v6
	v_lshlrev_b16_e32 v14, 8, v6
	v_lshlrev_b16_e32 v17, 8, v9
	v_mov_b32_e32 v20, 8
	v_lshrrev_b32_e32 v9, 16, v4
	v_lshrrev_b32_sdwa v14, v20, v14 dst_sel:BYTE_1 dst_unused:UNUSED_PAD src0_sel:DWORD src1_sel:DWORD
	v_lshrrev_b32_sdwa v17, v20, v17 dst_sel:BYTE_1 dst_unused:UNUSED_PAD src0_sel:DWORD src1_sel:DWORD
	v_lshlrev_b16_e32 v18, 8, v4
	v_lshlrev_b16_e32 v19, 8, v9
	v_or_b32_sdwa v14, v11, v14 dst_sel:DWORD dst_unused:UNUSED_PAD src0_sel:BYTE_0 src1_sel:DWORD
	v_or_b32_sdwa v17, v6, v17 dst_sel:WORD_1 dst_unused:UNUSED_PAD src0_sel:BYTE_1 src1_sel:DWORD
	v_or_b32_sdwa v17, v14, v17 dst_sel:DWORD dst_unused:UNUSED_PAD src0_sel:WORD_0 src1_sel:DWORD
	v_lshrrev_b32_sdwa v14, v20, v18 dst_sel:BYTE_1 dst_unused:UNUSED_PAD src0_sel:DWORD src1_sel:DWORD
	v_lshrrev_b32_sdwa v18, v20, v19 dst_sel:BYTE_1 dst_unused:UNUSED_PAD src0_sel:DWORD src1_sel:DWORD
	s_mov_b32 s3, 0x2010007
	v_or_b32_sdwa v14, v10, v14 dst_sel:DWORD dst_unused:UNUSED_PAD src0_sel:BYTE_0 src1_sel:DWORD
	v_or_b32_sdwa v18, v4, v18 dst_sel:WORD_1 dst_unused:UNUSED_PAD src0_sel:BYTE_1 src1_sel:DWORD
	s_waitcnt lgkmcnt(0)
	v_sub_u16_e32 v12, v11, v8
	v_perm_b32 v15, v6, v7, s3
	v_lshrrev_b32_e32 v9, 24, v7
	v_perm_b32 v13, v4, v5, s3
	v_lshrrev_b32_e32 v8, 24, v5
	v_or_b32_sdwa v14, v14, v18 dst_sel:DWORD dst_unused:UNUSED_PAD src0_sel:WORD_0 src1_sel:DWORD
	s_branch .LBB678_52
.LBB678_47:
                                        ; implicit-def: $vgpr13
                                        ; implicit-def: $vgpr14
                                        ; implicit-def: $vgpr15
                                        ; implicit-def: $vgpr17
                                        ; implicit-def: $vgpr12
                                        ; implicit-def: $vgpr9
                                        ; implicit-def: $vgpr8
	s_branch .LBB678_53
.LBB678_48:
                                        ; implicit-def: $vgpr13
                                        ; implicit-def: $vgpr14
                                        ; implicit-def: $vgpr15
                                        ; implicit-def: $vgpr17
                                        ; implicit-def: $vgpr12
                                        ; implicit-def: $vgpr9
                                        ; implicit-def: $vgpr8
	s_cbranch_execz .LBB678_52
; %bb.49:
	v_mul_u32_u24_e32 v12, 19, v0
	v_cmp_ne_u32_e32 vcc, 0, v0
	ds_write_b8 v0, v1
	s_waitcnt lgkmcnt(0)
	s_barrier
	s_and_saveexec_b64 s[4:5], vcc
	s_cbranch_execz .LBB678_51
; %bb.50:
	v_add_u32_e32 v8, -1, v0
	s_waitcnt vmcnt(0)
	ds_read_u8 v16, v8
.LBB678_51:
	s_or_b64 exec, exec, s[4:5]
	s_mulk_i32 s2, 0xf680
	s_add_i32 s2, s2, s12
	v_add_u32_e32 v8, 18, v12
	v_lshrrev_b32_e32 v23, 24, v5
	v_cmp_gt_u32_e32 vcc, s2, v8
	v_cndmask_b32_e32 v8, 0, v23, vcc
	v_add_u32_e32 v23, 16, v12
	v_lshrrev_b16_e32 v22, 8, v5
	v_add_u32_e32 v24, 17, v12
	v_cmp_gt_u32_e32 vcc, s2, v23
	v_lshrrev_b32_e32 v21, 16, v5
	v_add_u32_e32 v25, 14, v12
	v_cndmask_b32_e32 v22, 0, v22, vcc
	v_cmp_gt_u32_e32 vcc, s2, v24
	v_lshrrev_b32_e32 v20, 24, v4
	v_add_u32_e32 v26, 15, v12
	v_cndmask_b32_e32 v21, 0, v21, vcc
	v_cmp_gt_u32_e32 vcc, s2, v25
	v_add_u32_e32 v27, 12, v12
	v_cndmask_b32_e32 v20, 0, v20, vcc
	v_cmp_gt_u32_e32 vcc, s2, v26
	v_lshrrev_b16_e32 v19, 8, v4
	v_add_u32_e32 v28, 13, v12
	v_cndmask_b32_e32 v24, 0, v5, vcc
	v_cmp_gt_u32_e32 vcc, s2, v27
	v_lshrrev_b32_e32 v9, 16, v4
	v_add_u32_e32 v29, 11, v12
	v_cndmask_b32_e32 v19, 0, v19, vcc
	v_cmp_gt_u32_e32 vcc, s2, v28
	v_cndmask_b32_e32 v9, 0, v9, vcc
	v_cmp_gt_u32_e32 vcc, s2, v29
	v_add_u32_e32 v30, 10, v12
	v_lshlrev_b16_e32 v25, 8, v9
	v_cndmask_b32_e32 v9, 0, v4, vcc
	v_lshlrev_b16_e32 v26, 8, v9
	v_cmp_gt_u32_e32 vcc, s2, v30
	v_add_u32_e32 v9, 9, v12
	v_cndmask_b32_e32 v27, 0, v10, vcc
	v_lshrrev_b32_e32 v28, 24, v7
	v_cmp_gt_u32_e32 vcc, s2, v9
	v_cndmask_b32_e32 v9, 0, v28, vcc
	v_add_u32_e32 v28, 7, v12
	v_lshrrev_b16_e32 v18, 8, v7
	v_add_u32_e32 v29, 8, v12
	v_cmp_gt_u32_e32 vcc, s2, v28
	v_lshrrev_b32_e32 v17, 16, v7
	v_add_u32_e32 v30, 5, v12
	v_cndmask_b32_e32 v18, 0, v18, vcc
	v_cmp_gt_u32_e32 vcc, s2, v29
	v_lshrrev_b32_e32 v15, 24, v6
	v_add_u32_e32 v31, 6, v12
	v_cndmask_b32_e32 v17, 0, v17, vcc
	v_cmp_gt_u32_e32 vcc, s2, v30
	v_mov_b32_e32 v23, 8
	v_add_u32_e32 v32, 3, v12
	v_lshlrev_b16_e32 v17, 8, v17
	v_cndmask_b32_e32 v15, 0, v15, vcc
	v_cmp_gt_u32_e32 vcc, s2, v31
	v_lshrrev_b16_e32 v14, 8, v6
	v_add_u32_e32 v33, 4, v12
	v_lshrrev_b32_sdwa v28, v23, v17 dst_sel:BYTE_1 dst_unused:UNUSED_PAD src0_sel:DWORD src1_sel:DWORD
	v_cndmask_b32_e32 v17, 0, v7, vcc
	v_cmp_gt_u32_e32 vcc, s2, v32
	v_lshrrev_b32_e32 v13, 16, v6
	v_add_u32_e32 v34, 2, v12
	v_cndmask_b32_e32 v14, 0, v14, vcc
	v_cmp_gt_u32_e32 vcc, s2, v33
	v_add_u32_e32 v35, 1, v12
	v_lshlrev_b16_e32 v17, 8, v17
	v_cndmask_b32_e32 v13, 0, v13, vcc
	v_cmp_gt_u32_e32 vcc, s2, v34
	v_lshrrev_b32_sdwa v29, v23, v17 dst_sel:BYTE_1 dst_unused:UNUSED_PAD src0_sel:DWORD src1_sel:DWORD
	v_cndmask_b32_e32 v17, 0, v6, vcc
	v_cmp_gt_u32_e32 vcc, s2, v35
	v_lshlrev_b16_e32 v13, 8, v13
	v_lshlrev_b16_e32 v17, 8, v17
	v_cndmask_b32_e32 v30, 0, v11, vcc
	v_cmp_gt_u32_e32 vcc, s2, v12
	s_waitcnt vmcnt(0) lgkmcnt(0)
	v_cndmask_b32_e32 v12, 0, v16, vcc
	v_lshrrev_b32_sdwa v16, v23, v17 dst_sel:BYTE_1 dst_unused:UNUSED_PAD src0_sel:DWORD src1_sel:DWORD
	v_lshrrev_b32_sdwa v13, v23, v13 dst_sel:BYTE_1 dst_unused:UNUSED_PAD src0_sel:DWORD src1_sel:DWORD
	v_or_b32_sdwa v16, v30, v16 dst_sel:DWORD dst_unused:UNUSED_PAD src0_sel:BYTE_0 src1_sel:DWORD
	v_or_b32_sdwa v13, v14, v13 dst_sel:WORD_1 dst_unused:UNUSED_PAD src0_sel:DWORD src1_sel:DWORD
	v_or_b32_sdwa v17, v16, v13 dst_sel:DWORD dst_unused:UNUSED_PAD src0_sel:WORD_0 src1_sel:DWORD
	v_or_b32_e32 v13, v15, v29
	v_or_b32_sdwa v14, v18, v28 dst_sel:WORD_1 dst_unused:UNUSED_PAD src0_sel:DWORD src1_sel:DWORD
	v_lshlrev_b16_e32 v21, 8, v21
	v_lshlrev_b16_e32 v24, 8, v24
	v_or_b32_sdwa v15, v13, v14 dst_sel:DWORD dst_unused:UNUSED_PAD src0_sel:WORD_0 src1_sel:DWORD
	v_lshrrev_b32_sdwa v13, v23, v26 dst_sel:BYTE_1 dst_unused:UNUSED_PAD src0_sel:DWORD src1_sel:DWORD
	v_lshrrev_b32_sdwa v14, v23, v25 dst_sel:BYTE_1 dst_unused:UNUSED_PAD src0_sel:DWORD src1_sel:DWORD
	;; [unrolled: 1-line block ×4, first 2 shown]
	v_or_b32_sdwa v13, v27, v13 dst_sel:DWORD dst_unused:UNUSED_PAD src0_sel:BYTE_0 src1_sel:DWORD
	v_or_b32_sdwa v14, v19, v14 dst_sel:WORD_1 dst_unused:UNUSED_PAD src0_sel:DWORD src1_sel:DWORD
	v_or_b32_sdwa v14, v13, v14 dst_sel:DWORD dst_unused:UNUSED_PAD src0_sel:WORD_0 src1_sel:DWORD
	v_or_b32_e32 v13, v20, v24
	v_or_b32_sdwa v16, v22, v21 dst_sel:WORD_1 dst_unused:UNUSED_PAD src0_sel:DWORD src1_sel:DWORD
	v_sub_u16_e32 v12, v11, v12
	v_or_b32_sdwa v13, v13, v16 dst_sel:DWORD dst_unused:UNUSED_PAD src0_sel:WORD_0 src1_sel:DWORD
.LBB678_52:
	s_cbranch_execnz .LBB678_62
.LBB678_53:
	v_cmp_eq_u64_e32 vcc, 1, v[2:3]
	v_cmp_ne_u32_e64 s[2:3], 0, v0
	s_cbranch_vccnz .LBB678_57
; %bb.54:
	v_lshlrev_b16_e32 v2, 8, v6
	v_lshrrev_b32_e32 v3, 16, v6
	v_mov_b32_e32 v13, 8
	v_lshlrev_b16_e32 v8, 8, v3
	v_lshrrev_b32_e32 v3, 16, v4
	v_lshrrev_b32_sdwa v2, v13, v2 dst_sel:BYTE_1 dst_unused:UNUSED_PAD src0_sel:DWORD src1_sel:DWORD
	v_lshlrev_b16_e32 v9, 8, v4
	v_lshlrev_b16_e32 v12, 8, v3
	v_or_b32_sdwa v3, v11, v2 dst_sel:DWORD dst_unused:UNUSED_PAD src0_sel:BYTE_0 src1_sel:DWORD
	v_lshrrev_b32_sdwa v2, v13, v8 dst_sel:BYTE_1 dst_unused:UNUSED_PAD src0_sel:DWORD src1_sel:DWORD
	v_or_b32_sdwa v14, v6, v2 dst_sel:WORD_1 dst_unused:UNUSED_PAD src0_sel:BYTE_1 src1_sel:DWORD
	v_lshrrev_b32_sdwa v2, v13, v9 dst_sel:BYTE_1 dst_unused:UNUSED_PAD src0_sel:DWORD src1_sel:DWORD
	s_waitcnt vmcnt(0)
	v_or_b32_sdwa v16, v10, v2 dst_sel:DWORD dst_unused:UNUSED_PAD src0_sel:BYTE_0 src1_sel:DWORD
	v_lshrrev_b32_sdwa v2, v13, v12 dst_sel:BYTE_1 dst_unused:UNUSED_PAD src0_sel:DWORD src1_sel:DWORD
	s_mov_b32 s6, 0x2010007
	v_or_b32_sdwa v18, v4, v2 dst_sel:WORD_1 dst_unused:UNUSED_PAD src0_sel:BYTE_1 src1_sel:DWORD
	v_mov_b32_e32 v2, 0
	v_mov_b32_e32 v12, v11
	ds_write_b8 v0, v1
	s_waitcnt lgkmcnt(0)
	s_barrier
	s_and_saveexec_b64 s[4:5], s[2:3]
	s_cbranch_execz .LBB678_56
; %bb.55:
	v_add_u32_e32 v2, -1, v0
	ds_read_u8 v2, v2
	s_waitcnt lgkmcnt(0)
	v_sub_u16_e32 v12, v11, v2
	v_mov_b32_e32 v2, v0
.LBB678_56:
	s_or_b64 exec, exec, s[4:5]
	v_perm_b32 v15, v6, v7, s6
	v_lshrrev_b32_e32 v9, 24, v7
	v_perm_b32 v13, v4, v5, s6
	v_lshrrev_b32_e32 v8, 24, v5
	v_or_b32_sdwa v17, v3, v14 dst_sel:DWORD dst_unused:UNUSED_PAD src0_sel:WORD_0 src1_sel:DWORD
	v_or_b32_sdwa v14, v16, v18 dst_sel:DWORD dst_unused:UNUSED_PAD src0_sel:WORD_0 src1_sel:DWORD
	s_cbranch_execz .LBB678_58
	s_branch .LBB678_61
.LBB678_57:
                                        ; implicit-def: $vgpr13
                                        ; implicit-def: $vgpr14
                                        ; implicit-def: $vgpr15
                                        ; implicit-def: $vgpr17
                                        ; implicit-def: $vgpr12
                                        ; implicit-def: $vgpr9
                                        ; implicit-def: $vgpr8
                                        ; implicit-def: $vgpr2
.LBB678_58:
	v_mad_u32_u24 v20, v0, 19, 16
	v_lshrrev_b16_e32 v18, 8, v5
	v_mad_u32_u24 v21, v0, 19, 17
	v_cmp_gt_u32_e64 s[2:3], s12, v20
	v_lshrrev_b32_e32 v17, 16, v5
	v_mad_u32_u24 v22, v0, 19, 14
	v_cndmask_b32_e64 v20, 0, v18, s[2:3]
	v_cmp_gt_u32_e64 s[2:3], s12, v21
	s_waitcnt vmcnt(0)
	v_lshrrev_b32_e32 v16, 24, v4
	v_mad_u32_u24 v23, v0, 19, 15
	v_cndmask_b32_e64 v17, 0, v17, s[2:3]
	v_cmp_gt_u32_e64 s[2:3], s12, v22
	v_mad_u32_u24 v24, v0, 19, 12
	v_cndmask_b32_e64 v21, 0, v16, s[2:3]
	v_cmp_gt_u32_e64 s[2:3], s12, v23
	v_lshrrev_b16_e32 v15, 8, v4
	v_mad_u32_u24 v25, v0, 19, 13
	v_cndmask_b32_e64 v16, 0, v5, s[2:3]
	v_cmp_gt_u32_e64 s[2:3], s12, v24
	v_lshrrev_b32_e32 v3, 16, v4
	v_mad_u32_u24 v26, v0, 19, 11
	v_cndmask_b32_e64 v23, 0, v15, s[2:3]
	v_cmp_gt_u32_e64 s[2:3], s12, v25
	v_mad_u32_u24 v15, v0, 19, 7
	v_lshrrev_b16_e32 v14, 8, v7
	v_mad_u32_u24 v27, v0, 19, 10
	v_cndmask_b32_e64 v3, 0, v3, s[2:3]
	v_cmp_gt_u32_e64 s[2:3], s12, v26
	v_mad_u32_u24 v26, v0, 19, 8
	v_cmp_gt_u32_e64 s[4:5], s12, v15
	v_lshrrev_b32_e32 v13, 16, v7
	v_lshlrev_b16_e32 v24, 8, v3
	v_cndmask_b32_e64 v3, 0, v4, s[2:3]
	v_cmp_gt_u32_e64 s[2:3], s12, v27
	v_mad_u32_u24 v27, v0, 19, 5
	v_cndmask_b32_e64 v15, 0, v14, s[4:5]
	v_cmp_gt_u32_e64 s[4:5], s12, v26
	v_lshrrev_b32_e32 v12, 24, v6
	v_mad_u32_u24 v28, v0, 19, 6
	v_cndmask_b32_e64 v13, 0, v13, s[4:5]
	v_cmp_gt_u32_e64 s[4:5], s12, v27
	v_mad_u32_u24 v29, v0, 19, 3
	v_cndmask_b32_e64 v14, 0, v12, s[4:5]
	v_cmp_gt_u32_e64 s[4:5], s12, v28
	v_lshrrev_b16_e32 v9, 8, v6
	v_mad_u32_u24 v30, v0, 19, 4
	v_cndmask_b32_e64 v12, 0, v7, s[4:5]
	v_cmp_gt_u32_e64 s[4:5], s12, v29
	v_lshrrev_b32_e32 v8, 16, v6
	v_mad_u32_u24 v31, v0, 19, 2
	v_cndmask_b32_e64 v9, 0, v9, s[4:5]
	v_cmp_gt_u32_e64 s[4:5], s12, v30
	v_mov_b32_e32 v18, 8
	v_lshlrev_b16_e32 v12, 8, v12
	v_cndmask_b32_e64 v8, 0, v8, s[4:5]
	v_cmp_gt_u32_e64 s[4:5], s12, v31
	v_mad_u32_u24 v32, v0, 19, 1
	v_lshrrev_b32_sdwa v27, v18, v12 dst_sel:BYTE_1 dst_unused:UNUSED_PAD src0_sel:DWORD src1_sel:DWORD
	v_cndmask_b32_e64 v12, 0, v6, s[4:5]
	v_lshlrev_b16_e32 v16, 8, v16
	v_lshlrev_b16_e32 v13, 8, v13
	v_lshlrev_b16_e32 v8, 8, v8
	v_lshlrev_b16_e32 v12, 8, v12
	v_cmp_gt_u32_e64 s[4:5], s12, v32
	v_lshrrev_b32_sdwa v22, v18, v16 dst_sel:BYTE_1 dst_unused:UNUSED_PAD src0_sel:DWORD src1_sel:DWORD
	v_lshlrev_b16_e32 v16, 8, v3
	v_lshrrev_b32_sdwa v26, v18, v13 dst_sel:BYTE_1 dst_unused:UNUSED_PAD src0_sel:DWORD src1_sel:DWORD
	v_cndmask_b32_e64 v13, 0, v11, s[4:5]
	v_lshrrev_b32_sdwa v12, v18, v12 dst_sel:BYTE_1 dst_unused:UNUSED_PAD src0_sel:DWORD src1_sel:DWORD
	v_lshrrev_b32_sdwa v8, v18, v8 dst_sel:BYTE_1 dst_unused:UNUSED_PAD src0_sel:DWORD src1_sel:DWORD
	v_mul_u32_u24_e32 v19, 19, v0
	v_lshlrev_b16_e32 v17, 8, v17
	v_cndmask_b32_e64 v25, 0, v10, s[2:3]
	v_or_b32_sdwa v12, v13, v12 dst_sel:DWORD dst_unused:UNUSED_PAD src0_sel:BYTE_0 src1_sel:DWORD
	v_or_b32_sdwa v13, v9, v8 dst_sel:WORD_1 dst_unused:UNUSED_PAD src0_sel:DWORD src1_sel:DWORD
	v_lshrrev_b32_sdwa v8, v18, v16 dst_sel:BYTE_1 dst_unused:UNUSED_PAD src0_sel:DWORD src1_sel:DWORD
	v_mad_u32_u24 v2, v0, 19, 18
	v_lshrrev_b32_sdwa v17, v18, v17 dst_sel:BYTE_1 dst_unused:UNUSED_PAD src0_sel:DWORD src1_sel:DWORD
	v_mad_u32_u24 v3, v0, 19, 9
	v_cmp_ne_u32_e64 s[4:5], 0, v0
	v_cmp_gt_u32_e64 s[6:7], s12, v19
	v_or_b32_sdwa v16, v25, v8 dst_sel:DWORD dst_unused:UNUSED_PAD src0_sel:BYTE_0 src1_sel:DWORD
	v_lshrrev_b32_sdwa v8, v18, v24 dst_sel:BYTE_1 dst_unused:UNUSED_PAD src0_sel:DWORD src1_sel:DWORD
	v_cmp_gt_u32_e32 vcc, s12, v2
	v_lshrrev_b32_e32 v2, 24, v5
	v_cmp_gt_u32_e64 s[2:3], s12, v3
	v_lshrrev_b32_e32 v3, 24, v7
	s_and_b64 s[6:7], s[4:5], s[6:7]
	v_or_b32_e32 v14, v14, v27
	v_or_b32_sdwa v15, v15, v26 dst_sel:WORD_1 dst_unused:UNUSED_PAD src0_sel:DWORD src1_sel:DWORD
	v_or_b32_sdwa v18, v23, v8 dst_sel:WORD_1 dst_unused:UNUSED_PAD src0_sel:DWORD src1_sel:DWORD
	v_or_b32_e32 v19, v21, v22
	v_or_b32_sdwa v20, v20, v17 dst_sel:WORD_1 dst_unused:UNUSED_PAD src0_sel:DWORD src1_sel:DWORD
	ds_write_b8 v0, v1
	s_waitcnt lgkmcnt(0)
	s_barrier
	s_and_saveexec_b64 s[4:5], s[6:7]
	s_cbranch_execz .LBB678_60
; %bb.59:
	v_add_u32_e32 v8, -1, v0
	ds_read_u8 v8, v8
	s_waitcnt lgkmcnt(0)
	v_sub_u16_e32 v11, v11, v8
.LBB678_60:
	s_or_b64 exec, exec, s[4:5]
	v_cndmask_b32_e32 v8, 0, v2, vcc
	v_cndmask_b32_e64 v9, 0, v3, s[2:3]
	v_or_b32_sdwa v17, v12, v13 dst_sel:DWORD dst_unused:UNUSED_PAD src0_sel:WORD_0 src1_sel:DWORD
	v_or_b32_sdwa v15, v14, v15 dst_sel:DWORD dst_unused:UNUSED_PAD src0_sel:WORD_0 src1_sel:DWORD
	;; [unrolled: 1-line block ×4, first 2 shown]
	v_mov_b32_e32 v12, v11
	v_mov_b32_e32 v2, v0
.LBB678_61:
	v_mov_b32_e32 v0, v2
.LBB678_62:
	v_sub_u16_sdwa v2, v7, v15 dst_sel:BYTE_1 dst_unused:UNUSED_PAD src0_sel:BYTE_3 src1_sel:BYTE_3
	v_sub_u16_sdwa v3, v7, v15 dst_sel:DWORD dst_unused:UNUSED_PAD src0_sel:WORD_1 src1_sel:WORD_1
	v_or_b32_sdwa v2, v3, v2 dst_sel:WORD_1 dst_unused:UNUSED_PAD src0_sel:BYTE_0 src1_sel:DWORD
	v_sub_u16_sdwa v3, v7, v15 dst_sel:BYTE_1 dst_unused:UNUSED_PAD src0_sel:BYTE_1 src1_sel:BYTE_1
	v_sub_u16_e32 v7, v7, v15
	v_or_b32_sdwa v3, v7, v3 dst_sel:DWORD dst_unused:UNUSED_PAD src0_sel:BYTE_0 src1_sel:DWORD
	v_or_b32_sdwa v3, v3, v2 dst_sel:DWORD dst_unused:UNUSED_PAD src0_sel:WORD_0 src1_sel:DWORD
	v_sub_u16_sdwa v2, v6, v17 dst_sel:BYTE_1 dst_unused:UNUSED_PAD src0_sel:BYTE_3 src1_sel:BYTE_3
	v_sub_u16_sdwa v7, v6, v17 dst_sel:DWORD dst_unused:UNUSED_PAD src0_sel:WORD_1 src1_sel:WORD_1
	v_or_b32_sdwa v2, v7, v2 dst_sel:WORD_1 dst_unused:UNUSED_PAD src0_sel:BYTE_0 src1_sel:DWORD
	v_sub_u16_sdwa v7, v6, v17 dst_sel:BYTE_1 dst_unused:UNUSED_PAD src0_sel:BYTE_1 src1_sel:BYTE_1
	v_sub_u16_e32 v6, v6, v17
	v_or_b32_sdwa v6, v6, v7 dst_sel:DWORD dst_unused:UNUSED_PAD src0_sel:BYTE_0 src1_sel:DWORD
	v_or_b32_sdwa v2, v6, v2 dst_sel:DWORD dst_unused:UNUSED_PAD src0_sel:WORD_0 src1_sel:DWORD
	v_sub_u16_e32 v6, v10, v9
	v_sub_u16_sdwa v7, v5, v13 dst_sel:BYTE_1 dst_unused:UNUSED_PAD src0_sel:BYTE_3 src1_sel:BYTE_3
	v_sub_u16_sdwa v9, v5, v13 dst_sel:DWORD dst_unused:UNUSED_PAD src0_sel:WORD_1 src1_sel:WORD_1
	v_or_b32_sdwa v7, v9, v7 dst_sel:WORD_1 dst_unused:UNUSED_PAD src0_sel:BYTE_0 src1_sel:DWORD
	v_sub_u16_sdwa v9, v5, v13 dst_sel:BYTE_1 dst_unused:UNUSED_PAD src0_sel:BYTE_1 src1_sel:BYTE_1
	v_sub_u16_e32 v5, v5, v13
	v_or_b32_sdwa v5, v5, v9 dst_sel:DWORD dst_unused:UNUSED_PAD src0_sel:BYTE_0 src1_sel:DWORD
	v_or_b32_sdwa v5, v5, v7 dst_sel:DWORD dst_unused:UNUSED_PAD src0_sel:WORD_0 src1_sel:DWORD
	v_sub_u16_sdwa v7, v4, v14 dst_sel:BYTE_1 dst_unused:UNUSED_PAD src0_sel:BYTE_3 src1_sel:BYTE_3
	v_sub_u16_sdwa v9, v4, v14 dst_sel:DWORD dst_unused:UNUSED_PAD src0_sel:WORD_1 src1_sel:WORD_1
	v_or_b32_sdwa v7, v9, v7 dst_sel:WORD_1 dst_unused:UNUSED_PAD src0_sel:BYTE_0 src1_sel:DWORD
	v_sub_u16_sdwa v9, v4, v14 dst_sel:BYTE_1 dst_unused:UNUSED_PAD src0_sel:BYTE_1 src1_sel:BYTE_1
	v_sub_u16_e32 v4, v4, v14
	v_or_b32_sdwa v4, v4, v9 dst_sel:DWORD dst_unused:UNUSED_PAD src0_sel:BYTE_0 src1_sel:DWORD
	v_mul_u32_u24_e32 v0, 19, v0
	s_mov_b64 s[2:3], -1
	s_and_b64 vcc, exec, s[0:1]
	v_or_b32_sdwa v4, v4, v7 dst_sel:DWORD dst_unused:UNUSED_PAD src0_sel:WORD_0 src1_sel:DWORD
	v_sub_u16_e32 v1, v1, v8
	s_barrier
	ds_write_b8 v0, v12
	ds_write_b64 v0, v[2:3] offset:1
	ds_write_b8 v0, v6 offset:9
	ds_write_b64 v0, v[4:5] offset:10
	ds_write_b8 v0, v1 offset:18
	s_waitcnt lgkmcnt(0)
	s_cbranch_vccnz .LBB678_65
; %bb.63:
	s_andn2_b64 vcc, exec, s[2:3]
	s_cbranch_vccz .LBB678_66
.LBB678_64:
	s_endpgm
.LBB678_65:
	s_barrier
	s_cbranch_execnz .LBB678_64
.LBB678_66:
	s_barrier
	s_endpgm
	.section	.rodata,"a",@progbits
	.p2align	6, 0x0
	.amdhsa_kernel _ZN7rocprim17ROCPRIM_400000_NS6detail17trampoline_kernelINS0_14default_configENS1_35adjacent_difference_config_selectorILb1EaEEZNS1_24adjacent_difference_implIS3_Lb1ELb0EPaN6thrust23THRUST_200600_302600_NS16discard_iteratorINS9_11use_defaultEEENS9_5minusIaEEEE10hipError_tPvRmT2_T3_mT4_P12ihipStream_tbEUlT_E_NS1_11comp_targetILNS1_3genE4ELNS1_11target_archE910ELNS1_3gpuE8ELNS1_3repE0EEENS1_30default_config_static_selectorELNS0_4arch9wavefront6targetE1EEEvT1_
		.amdhsa_group_segment_fixed_size 2432
		.amdhsa_private_segment_fixed_size 0
		.amdhsa_kernarg_size 64
		.amdhsa_user_sgpr_count 6
		.amdhsa_user_sgpr_private_segment_buffer 1
		.amdhsa_user_sgpr_dispatch_ptr 0
		.amdhsa_user_sgpr_queue_ptr 0
		.amdhsa_user_sgpr_kernarg_segment_ptr 1
		.amdhsa_user_sgpr_dispatch_id 0
		.amdhsa_user_sgpr_flat_scratch_init 0
		.amdhsa_user_sgpr_kernarg_preload_length 0
		.amdhsa_user_sgpr_kernarg_preload_offset 0
		.amdhsa_user_sgpr_private_segment_size 0
		.amdhsa_uses_dynamic_stack 0
		.amdhsa_system_sgpr_private_segment_wavefront_offset 0
		.amdhsa_system_sgpr_workgroup_id_x 1
		.amdhsa_system_sgpr_workgroup_id_y 0
		.amdhsa_system_sgpr_workgroup_id_z 0
		.amdhsa_system_sgpr_workgroup_info 0
		.amdhsa_system_vgpr_workitem_id 0
		.amdhsa_next_free_vgpr 36
		.amdhsa_next_free_sgpr 20
		.amdhsa_accum_offset 36
		.amdhsa_reserve_vcc 1
		.amdhsa_reserve_flat_scratch 0
		.amdhsa_float_round_mode_32 0
		.amdhsa_float_round_mode_16_64 0
		.amdhsa_float_denorm_mode_32 3
		.amdhsa_float_denorm_mode_16_64 3
		.amdhsa_dx10_clamp 1
		.amdhsa_ieee_mode 1
		.amdhsa_fp16_overflow 0
		.amdhsa_tg_split 0
		.amdhsa_exception_fp_ieee_invalid_op 0
		.amdhsa_exception_fp_denorm_src 0
		.amdhsa_exception_fp_ieee_div_zero 0
		.amdhsa_exception_fp_ieee_overflow 0
		.amdhsa_exception_fp_ieee_underflow 0
		.amdhsa_exception_fp_ieee_inexact 0
		.amdhsa_exception_int_div_zero 0
	.end_amdhsa_kernel
	.section	.text._ZN7rocprim17ROCPRIM_400000_NS6detail17trampoline_kernelINS0_14default_configENS1_35adjacent_difference_config_selectorILb1EaEEZNS1_24adjacent_difference_implIS3_Lb1ELb0EPaN6thrust23THRUST_200600_302600_NS16discard_iteratorINS9_11use_defaultEEENS9_5minusIaEEEE10hipError_tPvRmT2_T3_mT4_P12ihipStream_tbEUlT_E_NS1_11comp_targetILNS1_3genE4ELNS1_11target_archE910ELNS1_3gpuE8ELNS1_3repE0EEENS1_30default_config_static_selectorELNS0_4arch9wavefront6targetE1EEEvT1_,"axG",@progbits,_ZN7rocprim17ROCPRIM_400000_NS6detail17trampoline_kernelINS0_14default_configENS1_35adjacent_difference_config_selectorILb1EaEEZNS1_24adjacent_difference_implIS3_Lb1ELb0EPaN6thrust23THRUST_200600_302600_NS16discard_iteratorINS9_11use_defaultEEENS9_5minusIaEEEE10hipError_tPvRmT2_T3_mT4_P12ihipStream_tbEUlT_E_NS1_11comp_targetILNS1_3genE4ELNS1_11target_archE910ELNS1_3gpuE8ELNS1_3repE0EEENS1_30default_config_static_selectorELNS0_4arch9wavefront6targetE1EEEvT1_,comdat
.Lfunc_end678:
	.size	_ZN7rocprim17ROCPRIM_400000_NS6detail17trampoline_kernelINS0_14default_configENS1_35adjacent_difference_config_selectorILb1EaEEZNS1_24adjacent_difference_implIS3_Lb1ELb0EPaN6thrust23THRUST_200600_302600_NS16discard_iteratorINS9_11use_defaultEEENS9_5minusIaEEEE10hipError_tPvRmT2_T3_mT4_P12ihipStream_tbEUlT_E_NS1_11comp_targetILNS1_3genE4ELNS1_11target_archE910ELNS1_3gpuE8ELNS1_3repE0EEENS1_30default_config_static_selectorELNS0_4arch9wavefront6targetE1EEEvT1_, .Lfunc_end678-_ZN7rocprim17ROCPRIM_400000_NS6detail17trampoline_kernelINS0_14default_configENS1_35adjacent_difference_config_selectorILb1EaEEZNS1_24adjacent_difference_implIS3_Lb1ELb0EPaN6thrust23THRUST_200600_302600_NS16discard_iteratorINS9_11use_defaultEEENS9_5minusIaEEEE10hipError_tPvRmT2_T3_mT4_P12ihipStream_tbEUlT_E_NS1_11comp_targetILNS1_3genE4ELNS1_11target_archE910ELNS1_3gpuE8ELNS1_3repE0EEENS1_30default_config_static_selectorELNS0_4arch9wavefront6targetE1EEEvT1_
                                        ; -- End function
	.section	.AMDGPU.csdata,"",@progbits
; Kernel info:
; codeLenInByte = 3808
; NumSgprs: 24
; NumVgprs: 36
; NumAgprs: 0
; TotalNumVgprs: 36
; ScratchSize: 0
; MemoryBound: 0
; FloatMode: 240
; IeeeMode: 1
; LDSByteSize: 2432 bytes/workgroup (compile time only)
; SGPRBlocks: 2
; VGPRBlocks: 4
; NumSGPRsForWavesPerEU: 24
; NumVGPRsForWavesPerEU: 36
; AccumOffset: 36
; Occupancy: 8
; WaveLimiterHint : 1
; COMPUTE_PGM_RSRC2:SCRATCH_EN: 0
; COMPUTE_PGM_RSRC2:USER_SGPR: 6
; COMPUTE_PGM_RSRC2:TRAP_HANDLER: 0
; COMPUTE_PGM_RSRC2:TGID_X_EN: 1
; COMPUTE_PGM_RSRC2:TGID_Y_EN: 0
; COMPUTE_PGM_RSRC2:TGID_Z_EN: 0
; COMPUTE_PGM_RSRC2:TIDIG_COMP_CNT: 0
; COMPUTE_PGM_RSRC3_GFX90A:ACCUM_OFFSET: 8
; COMPUTE_PGM_RSRC3_GFX90A:TG_SPLIT: 0
	.section	.text._ZN7rocprim17ROCPRIM_400000_NS6detail17trampoline_kernelINS0_14default_configENS1_35adjacent_difference_config_selectorILb1EaEEZNS1_24adjacent_difference_implIS3_Lb1ELb0EPaN6thrust23THRUST_200600_302600_NS16discard_iteratorINS9_11use_defaultEEENS9_5minusIaEEEE10hipError_tPvRmT2_T3_mT4_P12ihipStream_tbEUlT_E_NS1_11comp_targetILNS1_3genE3ELNS1_11target_archE908ELNS1_3gpuE7ELNS1_3repE0EEENS1_30default_config_static_selectorELNS0_4arch9wavefront6targetE1EEEvT1_,"axG",@progbits,_ZN7rocprim17ROCPRIM_400000_NS6detail17trampoline_kernelINS0_14default_configENS1_35adjacent_difference_config_selectorILb1EaEEZNS1_24adjacent_difference_implIS3_Lb1ELb0EPaN6thrust23THRUST_200600_302600_NS16discard_iteratorINS9_11use_defaultEEENS9_5minusIaEEEE10hipError_tPvRmT2_T3_mT4_P12ihipStream_tbEUlT_E_NS1_11comp_targetILNS1_3genE3ELNS1_11target_archE908ELNS1_3gpuE7ELNS1_3repE0EEENS1_30default_config_static_selectorELNS0_4arch9wavefront6targetE1EEEvT1_,comdat
	.protected	_ZN7rocprim17ROCPRIM_400000_NS6detail17trampoline_kernelINS0_14default_configENS1_35adjacent_difference_config_selectorILb1EaEEZNS1_24adjacent_difference_implIS3_Lb1ELb0EPaN6thrust23THRUST_200600_302600_NS16discard_iteratorINS9_11use_defaultEEENS9_5minusIaEEEE10hipError_tPvRmT2_T3_mT4_P12ihipStream_tbEUlT_E_NS1_11comp_targetILNS1_3genE3ELNS1_11target_archE908ELNS1_3gpuE7ELNS1_3repE0EEENS1_30default_config_static_selectorELNS0_4arch9wavefront6targetE1EEEvT1_ ; -- Begin function _ZN7rocprim17ROCPRIM_400000_NS6detail17trampoline_kernelINS0_14default_configENS1_35adjacent_difference_config_selectorILb1EaEEZNS1_24adjacent_difference_implIS3_Lb1ELb0EPaN6thrust23THRUST_200600_302600_NS16discard_iteratorINS9_11use_defaultEEENS9_5minusIaEEEE10hipError_tPvRmT2_T3_mT4_P12ihipStream_tbEUlT_E_NS1_11comp_targetILNS1_3genE3ELNS1_11target_archE908ELNS1_3gpuE7ELNS1_3repE0EEENS1_30default_config_static_selectorELNS0_4arch9wavefront6targetE1EEEvT1_
	.globl	_ZN7rocprim17ROCPRIM_400000_NS6detail17trampoline_kernelINS0_14default_configENS1_35adjacent_difference_config_selectorILb1EaEEZNS1_24adjacent_difference_implIS3_Lb1ELb0EPaN6thrust23THRUST_200600_302600_NS16discard_iteratorINS9_11use_defaultEEENS9_5minusIaEEEE10hipError_tPvRmT2_T3_mT4_P12ihipStream_tbEUlT_E_NS1_11comp_targetILNS1_3genE3ELNS1_11target_archE908ELNS1_3gpuE7ELNS1_3repE0EEENS1_30default_config_static_selectorELNS0_4arch9wavefront6targetE1EEEvT1_
	.p2align	8
	.type	_ZN7rocprim17ROCPRIM_400000_NS6detail17trampoline_kernelINS0_14default_configENS1_35adjacent_difference_config_selectorILb1EaEEZNS1_24adjacent_difference_implIS3_Lb1ELb0EPaN6thrust23THRUST_200600_302600_NS16discard_iteratorINS9_11use_defaultEEENS9_5minusIaEEEE10hipError_tPvRmT2_T3_mT4_P12ihipStream_tbEUlT_E_NS1_11comp_targetILNS1_3genE3ELNS1_11target_archE908ELNS1_3gpuE7ELNS1_3repE0EEENS1_30default_config_static_selectorELNS0_4arch9wavefront6targetE1EEEvT1_,@function
_ZN7rocprim17ROCPRIM_400000_NS6detail17trampoline_kernelINS0_14default_configENS1_35adjacent_difference_config_selectorILb1EaEEZNS1_24adjacent_difference_implIS3_Lb1ELb0EPaN6thrust23THRUST_200600_302600_NS16discard_iteratorINS9_11use_defaultEEENS9_5minusIaEEEE10hipError_tPvRmT2_T3_mT4_P12ihipStream_tbEUlT_E_NS1_11comp_targetILNS1_3genE3ELNS1_11target_archE908ELNS1_3gpuE7ELNS1_3repE0EEENS1_30default_config_static_selectorELNS0_4arch9wavefront6targetE1EEEvT1_: ; @_ZN7rocprim17ROCPRIM_400000_NS6detail17trampoline_kernelINS0_14default_configENS1_35adjacent_difference_config_selectorILb1EaEEZNS1_24adjacent_difference_implIS3_Lb1ELb0EPaN6thrust23THRUST_200600_302600_NS16discard_iteratorINS9_11use_defaultEEENS9_5minusIaEEEE10hipError_tPvRmT2_T3_mT4_P12ihipStream_tbEUlT_E_NS1_11comp_targetILNS1_3genE3ELNS1_11target_archE908ELNS1_3gpuE7ELNS1_3repE0EEENS1_30default_config_static_selectorELNS0_4arch9wavefront6targetE1EEEvT1_
; %bb.0:
	.section	.rodata,"a",@progbits
	.p2align	6, 0x0
	.amdhsa_kernel _ZN7rocprim17ROCPRIM_400000_NS6detail17trampoline_kernelINS0_14default_configENS1_35adjacent_difference_config_selectorILb1EaEEZNS1_24adjacent_difference_implIS3_Lb1ELb0EPaN6thrust23THRUST_200600_302600_NS16discard_iteratorINS9_11use_defaultEEENS9_5minusIaEEEE10hipError_tPvRmT2_T3_mT4_P12ihipStream_tbEUlT_E_NS1_11comp_targetILNS1_3genE3ELNS1_11target_archE908ELNS1_3gpuE7ELNS1_3repE0EEENS1_30default_config_static_selectorELNS0_4arch9wavefront6targetE1EEEvT1_
		.amdhsa_group_segment_fixed_size 0
		.amdhsa_private_segment_fixed_size 0
		.amdhsa_kernarg_size 64
		.amdhsa_user_sgpr_count 6
		.amdhsa_user_sgpr_private_segment_buffer 1
		.amdhsa_user_sgpr_dispatch_ptr 0
		.amdhsa_user_sgpr_queue_ptr 0
		.amdhsa_user_sgpr_kernarg_segment_ptr 1
		.amdhsa_user_sgpr_dispatch_id 0
		.amdhsa_user_sgpr_flat_scratch_init 0
		.amdhsa_user_sgpr_kernarg_preload_length 0
		.amdhsa_user_sgpr_kernarg_preload_offset 0
		.amdhsa_user_sgpr_private_segment_size 0
		.amdhsa_uses_dynamic_stack 0
		.amdhsa_system_sgpr_private_segment_wavefront_offset 0
		.amdhsa_system_sgpr_workgroup_id_x 1
		.amdhsa_system_sgpr_workgroup_id_y 0
		.amdhsa_system_sgpr_workgroup_id_z 0
		.amdhsa_system_sgpr_workgroup_info 0
		.amdhsa_system_vgpr_workitem_id 0
		.amdhsa_next_free_vgpr 1
		.amdhsa_next_free_sgpr 0
		.amdhsa_accum_offset 4
		.amdhsa_reserve_vcc 0
		.amdhsa_reserve_flat_scratch 0
		.amdhsa_float_round_mode_32 0
		.amdhsa_float_round_mode_16_64 0
		.amdhsa_float_denorm_mode_32 3
		.amdhsa_float_denorm_mode_16_64 3
		.amdhsa_dx10_clamp 1
		.amdhsa_ieee_mode 1
		.amdhsa_fp16_overflow 0
		.amdhsa_tg_split 0
		.amdhsa_exception_fp_ieee_invalid_op 0
		.amdhsa_exception_fp_denorm_src 0
		.amdhsa_exception_fp_ieee_div_zero 0
		.amdhsa_exception_fp_ieee_overflow 0
		.amdhsa_exception_fp_ieee_underflow 0
		.amdhsa_exception_fp_ieee_inexact 0
		.amdhsa_exception_int_div_zero 0
	.end_amdhsa_kernel
	.section	.text._ZN7rocprim17ROCPRIM_400000_NS6detail17trampoline_kernelINS0_14default_configENS1_35adjacent_difference_config_selectorILb1EaEEZNS1_24adjacent_difference_implIS3_Lb1ELb0EPaN6thrust23THRUST_200600_302600_NS16discard_iteratorINS9_11use_defaultEEENS9_5minusIaEEEE10hipError_tPvRmT2_T3_mT4_P12ihipStream_tbEUlT_E_NS1_11comp_targetILNS1_3genE3ELNS1_11target_archE908ELNS1_3gpuE7ELNS1_3repE0EEENS1_30default_config_static_selectorELNS0_4arch9wavefront6targetE1EEEvT1_,"axG",@progbits,_ZN7rocprim17ROCPRIM_400000_NS6detail17trampoline_kernelINS0_14default_configENS1_35adjacent_difference_config_selectorILb1EaEEZNS1_24adjacent_difference_implIS3_Lb1ELb0EPaN6thrust23THRUST_200600_302600_NS16discard_iteratorINS9_11use_defaultEEENS9_5minusIaEEEE10hipError_tPvRmT2_T3_mT4_P12ihipStream_tbEUlT_E_NS1_11comp_targetILNS1_3genE3ELNS1_11target_archE908ELNS1_3gpuE7ELNS1_3repE0EEENS1_30default_config_static_selectorELNS0_4arch9wavefront6targetE1EEEvT1_,comdat
.Lfunc_end679:
	.size	_ZN7rocprim17ROCPRIM_400000_NS6detail17trampoline_kernelINS0_14default_configENS1_35adjacent_difference_config_selectorILb1EaEEZNS1_24adjacent_difference_implIS3_Lb1ELb0EPaN6thrust23THRUST_200600_302600_NS16discard_iteratorINS9_11use_defaultEEENS9_5minusIaEEEE10hipError_tPvRmT2_T3_mT4_P12ihipStream_tbEUlT_E_NS1_11comp_targetILNS1_3genE3ELNS1_11target_archE908ELNS1_3gpuE7ELNS1_3repE0EEENS1_30default_config_static_selectorELNS0_4arch9wavefront6targetE1EEEvT1_, .Lfunc_end679-_ZN7rocprim17ROCPRIM_400000_NS6detail17trampoline_kernelINS0_14default_configENS1_35adjacent_difference_config_selectorILb1EaEEZNS1_24adjacent_difference_implIS3_Lb1ELb0EPaN6thrust23THRUST_200600_302600_NS16discard_iteratorINS9_11use_defaultEEENS9_5minusIaEEEE10hipError_tPvRmT2_T3_mT4_P12ihipStream_tbEUlT_E_NS1_11comp_targetILNS1_3genE3ELNS1_11target_archE908ELNS1_3gpuE7ELNS1_3repE0EEENS1_30default_config_static_selectorELNS0_4arch9wavefront6targetE1EEEvT1_
                                        ; -- End function
	.section	.AMDGPU.csdata,"",@progbits
; Kernel info:
; codeLenInByte = 0
; NumSgprs: 4
; NumVgprs: 0
; NumAgprs: 0
; TotalNumVgprs: 0
; ScratchSize: 0
; MemoryBound: 0
; FloatMode: 240
; IeeeMode: 1
; LDSByteSize: 0 bytes/workgroup (compile time only)
; SGPRBlocks: 0
; VGPRBlocks: 0
; NumSGPRsForWavesPerEU: 4
; NumVGPRsForWavesPerEU: 1
; AccumOffset: 4
; Occupancy: 8
; WaveLimiterHint : 0
; COMPUTE_PGM_RSRC2:SCRATCH_EN: 0
; COMPUTE_PGM_RSRC2:USER_SGPR: 6
; COMPUTE_PGM_RSRC2:TRAP_HANDLER: 0
; COMPUTE_PGM_RSRC2:TGID_X_EN: 1
; COMPUTE_PGM_RSRC2:TGID_Y_EN: 0
; COMPUTE_PGM_RSRC2:TGID_Z_EN: 0
; COMPUTE_PGM_RSRC2:TIDIG_COMP_CNT: 0
; COMPUTE_PGM_RSRC3_GFX90A:ACCUM_OFFSET: 0
; COMPUTE_PGM_RSRC3_GFX90A:TG_SPLIT: 0
	.section	.text._ZN7rocprim17ROCPRIM_400000_NS6detail17trampoline_kernelINS0_14default_configENS1_35adjacent_difference_config_selectorILb1EaEEZNS1_24adjacent_difference_implIS3_Lb1ELb0EPaN6thrust23THRUST_200600_302600_NS16discard_iteratorINS9_11use_defaultEEENS9_5minusIaEEEE10hipError_tPvRmT2_T3_mT4_P12ihipStream_tbEUlT_E_NS1_11comp_targetILNS1_3genE2ELNS1_11target_archE906ELNS1_3gpuE6ELNS1_3repE0EEENS1_30default_config_static_selectorELNS0_4arch9wavefront6targetE1EEEvT1_,"axG",@progbits,_ZN7rocprim17ROCPRIM_400000_NS6detail17trampoline_kernelINS0_14default_configENS1_35adjacent_difference_config_selectorILb1EaEEZNS1_24adjacent_difference_implIS3_Lb1ELb0EPaN6thrust23THRUST_200600_302600_NS16discard_iteratorINS9_11use_defaultEEENS9_5minusIaEEEE10hipError_tPvRmT2_T3_mT4_P12ihipStream_tbEUlT_E_NS1_11comp_targetILNS1_3genE2ELNS1_11target_archE906ELNS1_3gpuE6ELNS1_3repE0EEENS1_30default_config_static_selectorELNS0_4arch9wavefront6targetE1EEEvT1_,comdat
	.protected	_ZN7rocprim17ROCPRIM_400000_NS6detail17trampoline_kernelINS0_14default_configENS1_35adjacent_difference_config_selectorILb1EaEEZNS1_24adjacent_difference_implIS3_Lb1ELb0EPaN6thrust23THRUST_200600_302600_NS16discard_iteratorINS9_11use_defaultEEENS9_5minusIaEEEE10hipError_tPvRmT2_T3_mT4_P12ihipStream_tbEUlT_E_NS1_11comp_targetILNS1_3genE2ELNS1_11target_archE906ELNS1_3gpuE6ELNS1_3repE0EEENS1_30default_config_static_selectorELNS0_4arch9wavefront6targetE1EEEvT1_ ; -- Begin function _ZN7rocprim17ROCPRIM_400000_NS6detail17trampoline_kernelINS0_14default_configENS1_35adjacent_difference_config_selectorILb1EaEEZNS1_24adjacent_difference_implIS3_Lb1ELb0EPaN6thrust23THRUST_200600_302600_NS16discard_iteratorINS9_11use_defaultEEENS9_5minusIaEEEE10hipError_tPvRmT2_T3_mT4_P12ihipStream_tbEUlT_E_NS1_11comp_targetILNS1_3genE2ELNS1_11target_archE906ELNS1_3gpuE6ELNS1_3repE0EEENS1_30default_config_static_selectorELNS0_4arch9wavefront6targetE1EEEvT1_
	.globl	_ZN7rocprim17ROCPRIM_400000_NS6detail17trampoline_kernelINS0_14default_configENS1_35adjacent_difference_config_selectorILb1EaEEZNS1_24adjacent_difference_implIS3_Lb1ELb0EPaN6thrust23THRUST_200600_302600_NS16discard_iteratorINS9_11use_defaultEEENS9_5minusIaEEEE10hipError_tPvRmT2_T3_mT4_P12ihipStream_tbEUlT_E_NS1_11comp_targetILNS1_3genE2ELNS1_11target_archE906ELNS1_3gpuE6ELNS1_3repE0EEENS1_30default_config_static_selectorELNS0_4arch9wavefront6targetE1EEEvT1_
	.p2align	8
	.type	_ZN7rocprim17ROCPRIM_400000_NS6detail17trampoline_kernelINS0_14default_configENS1_35adjacent_difference_config_selectorILb1EaEEZNS1_24adjacent_difference_implIS3_Lb1ELb0EPaN6thrust23THRUST_200600_302600_NS16discard_iteratorINS9_11use_defaultEEENS9_5minusIaEEEE10hipError_tPvRmT2_T3_mT4_P12ihipStream_tbEUlT_E_NS1_11comp_targetILNS1_3genE2ELNS1_11target_archE906ELNS1_3gpuE6ELNS1_3repE0EEENS1_30default_config_static_selectorELNS0_4arch9wavefront6targetE1EEEvT1_,@function
_ZN7rocprim17ROCPRIM_400000_NS6detail17trampoline_kernelINS0_14default_configENS1_35adjacent_difference_config_selectorILb1EaEEZNS1_24adjacent_difference_implIS3_Lb1ELb0EPaN6thrust23THRUST_200600_302600_NS16discard_iteratorINS9_11use_defaultEEENS9_5minusIaEEEE10hipError_tPvRmT2_T3_mT4_P12ihipStream_tbEUlT_E_NS1_11comp_targetILNS1_3genE2ELNS1_11target_archE906ELNS1_3gpuE6ELNS1_3repE0EEENS1_30default_config_static_selectorELNS0_4arch9wavefront6targetE1EEEvT1_: ; @_ZN7rocprim17ROCPRIM_400000_NS6detail17trampoline_kernelINS0_14default_configENS1_35adjacent_difference_config_selectorILb1EaEEZNS1_24adjacent_difference_implIS3_Lb1ELb0EPaN6thrust23THRUST_200600_302600_NS16discard_iteratorINS9_11use_defaultEEENS9_5minusIaEEEE10hipError_tPvRmT2_T3_mT4_P12ihipStream_tbEUlT_E_NS1_11comp_targetILNS1_3genE2ELNS1_11target_archE906ELNS1_3gpuE6ELNS1_3repE0EEENS1_30default_config_static_selectorELNS0_4arch9wavefront6targetE1EEEvT1_
; %bb.0:
	.section	.rodata,"a",@progbits
	.p2align	6, 0x0
	.amdhsa_kernel _ZN7rocprim17ROCPRIM_400000_NS6detail17trampoline_kernelINS0_14default_configENS1_35adjacent_difference_config_selectorILb1EaEEZNS1_24adjacent_difference_implIS3_Lb1ELb0EPaN6thrust23THRUST_200600_302600_NS16discard_iteratorINS9_11use_defaultEEENS9_5minusIaEEEE10hipError_tPvRmT2_T3_mT4_P12ihipStream_tbEUlT_E_NS1_11comp_targetILNS1_3genE2ELNS1_11target_archE906ELNS1_3gpuE6ELNS1_3repE0EEENS1_30default_config_static_selectorELNS0_4arch9wavefront6targetE1EEEvT1_
		.amdhsa_group_segment_fixed_size 0
		.amdhsa_private_segment_fixed_size 0
		.amdhsa_kernarg_size 64
		.amdhsa_user_sgpr_count 6
		.amdhsa_user_sgpr_private_segment_buffer 1
		.amdhsa_user_sgpr_dispatch_ptr 0
		.amdhsa_user_sgpr_queue_ptr 0
		.amdhsa_user_sgpr_kernarg_segment_ptr 1
		.amdhsa_user_sgpr_dispatch_id 0
		.amdhsa_user_sgpr_flat_scratch_init 0
		.amdhsa_user_sgpr_kernarg_preload_length 0
		.amdhsa_user_sgpr_kernarg_preload_offset 0
		.amdhsa_user_sgpr_private_segment_size 0
		.amdhsa_uses_dynamic_stack 0
		.amdhsa_system_sgpr_private_segment_wavefront_offset 0
		.amdhsa_system_sgpr_workgroup_id_x 1
		.amdhsa_system_sgpr_workgroup_id_y 0
		.amdhsa_system_sgpr_workgroup_id_z 0
		.amdhsa_system_sgpr_workgroup_info 0
		.amdhsa_system_vgpr_workitem_id 0
		.amdhsa_next_free_vgpr 1
		.amdhsa_next_free_sgpr 0
		.amdhsa_accum_offset 4
		.amdhsa_reserve_vcc 0
		.amdhsa_reserve_flat_scratch 0
		.amdhsa_float_round_mode_32 0
		.amdhsa_float_round_mode_16_64 0
		.amdhsa_float_denorm_mode_32 3
		.amdhsa_float_denorm_mode_16_64 3
		.amdhsa_dx10_clamp 1
		.amdhsa_ieee_mode 1
		.amdhsa_fp16_overflow 0
		.amdhsa_tg_split 0
		.amdhsa_exception_fp_ieee_invalid_op 0
		.amdhsa_exception_fp_denorm_src 0
		.amdhsa_exception_fp_ieee_div_zero 0
		.amdhsa_exception_fp_ieee_overflow 0
		.amdhsa_exception_fp_ieee_underflow 0
		.amdhsa_exception_fp_ieee_inexact 0
		.amdhsa_exception_int_div_zero 0
	.end_amdhsa_kernel
	.section	.text._ZN7rocprim17ROCPRIM_400000_NS6detail17trampoline_kernelINS0_14default_configENS1_35adjacent_difference_config_selectorILb1EaEEZNS1_24adjacent_difference_implIS3_Lb1ELb0EPaN6thrust23THRUST_200600_302600_NS16discard_iteratorINS9_11use_defaultEEENS9_5minusIaEEEE10hipError_tPvRmT2_T3_mT4_P12ihipStream_tbEUlT_E_NS1_11comp_targetILNS1_3genE2ELNS1_11target_archE906ELNS1_3gpuE6ELNS1_3repE0EEENS1_30default_config_static_selectorELNS0_4arch9wavefront6targetE1EEEvT1_,"axG",@progbits,_ZN7rocprim17ROCPRIM_400000_NS6detail17trampoline_kernelINS0_14default_configENS1_35adjacent_difference_config_selectorILb1EaEEZNS1_24adjacent_difference_implIS3_Lb1ELb0EPaN6thrust23THRUST_200600_302600_NS16discard_iteratorINS9_11use_defaultEEENS9_5minusIaEEEE10hipError_tPvRmT2_T3_mT4_P12ihipStream_tbEUlT_E_NS1_11comp_targetILNS1_3genE2ELNS1_11target_archE906ELNS1_3gpuE6ELNS1_3repE0EEENS1_30default_config_static_selectorELNS0_4arch9wavefront6targetE1EEEvT1_,comdat
.Lfunc_end680:
	.size	_ZN7rocprim17ROCPRIM_400000_NS6detail17trampoline_kernelINS0_14default_configENS1_35adjacent_difference_config_selectorILb1EaEEZNS1_24adjacent_difference_implIS3_Lb1ELb0EPaN6thrust23THRUST_200600_302600_NS16discard_iteratorINS9_11use_defaultEEENS9_5minusIaEEEE10hipError_tPvRmT2_T3_mT4_P12ihipStream_tbEUlT_E_NS1_11comp_targetILNS1_3genE2ELNS1_11target_archE906ELNS1_3gpuE6ELNS1_3repE0EEENS1_30default_config_static_selectorELNS0_4arch9wavefront6targetE1EEEvT1_, .Lfunc_end680-_ZN7rocprim17ROCPRIM_400000_NS6detail17trampoline_kernelINS0_14default_configENS1_35adjacent_difference_config_selectorILb1EaEEZNS1_24adjacent_difference_implIS3_Lb1ELb0EPaN6thrust23THRUST_200600_302600_NS16discard_iteratorINS9_11use_defaultEEENS9_5minusIaEEEE10hipError_tPvRmT2_T3_mT4_P12ihipStream_tbEUlT_E_NS1_11comp_targetILNS1_3genE2ELNS1_11target_archE906ELNS1_3gpuE6ELNS1_3repE0EEENS1_30default_config_static_selectorELNS0_4arch9wavefront6targetE1EEEvT1_
                                        ; -- End function
	.section	.AMDGPU.csdata,"",@progbits
; Kernel info:
; codeLenInByte = 0
; NumSgprs: 4
; NumVgprs: 0
; NumAgprs: 0
; TotalNumVgprs: 0
; ScratchSize: 0
; MemoryBound: 0
; FloatMode: 240
; IeeeMode: 1
; LDSByteSize: 0 bytes/workgroup (compile time only)
; SGPRBlocks: 0
; VGPRBlocks: 0
; NumSGPRsForWavesPerEU: 4
; NumVGPRsForWavesPerEU: 1
; AccumOffset: 4
; Occupancy: 8
; WaveLimiterHint : 0
; COMPUTE_PGM_RSRC2:SCRATCH_EN: 0
; COMPUTE_PGM_RSRC2:USER_SGPR: 6
; COMPUTE_PGM_RSRC2:TRAP_HANDLER: 0
; COMPUTE_PGM_RSRC2:TGID_X_EN: 1
; COMPUTE_PGM_RSRC2:TGID_Y_EN: 0
; COMPUTE_PGM_RSRC2:TGID_Z_EN: 0
; COMPUTE_PGM_RSRC2:TIDIG_COMP_CNT: 0
; COMPUTE_PGM_RSRC3_GFX90A:ACCUM_OFFSET: 0
; COMPUTE_PGM_RSRC3_GFX90A:TG_SPLIT: 0
	.section	.text._ZN7rocprim17ROCPRIM_400000_NS6detail17trampoline_kernelINS0_14default_configENS1_35adjacent_difference_config_selectorILb1EaEEZNS1_24adjacent_difference_implIS3_Lb1ELb0EPaN6thrust23THRUST_200600_302600_NS16discard_iteratorINS9_11use_defaultEEENS9_5minusIaEEEE10hipError_tPvRmT2_T3_mT4_P12ihipStream_tbEUlT_E_NS1_11comp_targetILNS1_3genE9ELNS1_11target_archE1100ELNS1_3gpuE3ELNS1_3repE0EEENS1_30default_config_static_selectorELNS0_4arch9wavefront6targetE1EEEvT1_,"axG",@progbits,_ZN7rocprim17ROCPRIM_400000_NS6detail17trampoline_kernelINS0_14default_configENS1_35adjacent_difference_config_selectorILb1EaEEZNS1_24adjacent_difference_implIS3_Lb1ELb0EPaN6thrust23THRUST_200600_302600_NS16discard_iteratorINS9_11use_defaultEEENS9_5minusIaEEEE10hipError_tPvRmT2_T3_mT4_P12ihipStream_tbEUlT_E_NS1_11comp_targetILNS1_3genE9ELNS1_11target_archE1100ELNS1_3gpuE3ELNS1_3repE0EEENS1_30default_config_static_selectorELNS0_4arch9wavefront6targetE1EEEvT1_,comdat
	.protected	_ZN7rocprim17ROCPRIM_400000_NS6detail17trampoline_kernelINS0_14default_configENS1_35adjacent_difference_config_selectorILb1EaEEZNS1_24adjacent_difference_implIS3_Lb1ELb0EPaN6thrust23THRUST_200600_302600_NS16discard_iteratorINS9_11use_defaultEEENS9_5minusIaEEEE10hipError_tPvRmT2_T3_mT4_P12ihipStream_tbEUlT_E_NS1_11comp_targetILNS1_3genE9ELNS1_11target_archE1100ELNS1_3gpuE3ELNS1_3repE0EEENS1_30default_config_static_selectorELNS0_4arch9wavefront6targetE1EEEvT1_ ; -- Begin function _ZN7rocprim17ROCPRIM_400000_NS6detail17trampoline_kernelINS0_14default_configENS1_35adjacent_difference_config_selectorILb1EaEEZNS1_24adjacent_difference_implIS3_Lb1ELb0EPaN6thrust23THRUST_200600_302600_NS16discard_iteratorINS9_11use_defaultEEENS9_5minusIaEEEE10hipError_tPvRmT2_T3_mT4_P12ihipStream_tbEUlT_E_NS1_11comp_targetILNS1_3genE9ELNS1_11target_archE1100ELNS1_3gpuE3ELNS1_3repE0EEENS1_30default_config_static_selectorELNS0_4arch9wavefront6targetE1EEEvT1_
	.globl	_ZN7rocprim17ROCPRIM_400000_NS6detail17trampoline_kernelINS0_14default_configENS1_35adjacent_difference_config_selectorILb1EaEEZNS1_24adjacent_difference_implIS3_Lb1ELb0EPaN6thrust23THRUST_200600_302600_NS16discard_iteratorINS9_11use_defaultEEENS9_5minusIaEEEE10hipError_tPvRmT2_T3_mT4_P12ihipStream_tbEUlT_E_NS1_11comp_targetILNS1_3genE9ELNS1_11target_archE1100ELNS1_3gpuE3ELNS1_3repE0EEENS1_30default_config_static_selectorELNS0_4arch9wavefront6targetE1EEEvT1_
	.p2align	8
	.type	_ZN7rocprim17ROCPRIM_400000_NS6detail17trampoline_kernelINS0_14default_configENS1_35adjacent_difference_config_selectorILb1EaEEZNS1_24adjacent_difference_implIS3_Lb1ELb0EPaN6thrust23THRUST_200600_302600_NS16discard_iteratorINS9_11use_defaultEEENS9_5minusIaEEEE10hipError_tPvRmT2_T3_mT4_P12ihipStream_tbEUlT_E_NS1_11comp_targetILNS1_3genE9ELNS1_11target_archE1100ELNS1_3gpuE3ELNS1_3repE0EEENS1_30default_config_static_selectorELNS0_4arch9wavefront6targetE1EEEvT1_,@function
_ZN7rocprim17ROCPRIM_400000_NS6detail17trampoline_kernelINS0_14default_configENS1_35adjacent_difference_config_selectorILb1EaEEZNS1_24adjacent_difference_implIS3_Lb1ELb0EPaN6thrust23THRUST_200600_302600_NS16discard_iteratorINS9_11use_defaultEEENS9_5minusIaEEEE10hipError_tPvRmT2_T3_mT4_P12ihipStream_tbEUlT_E_NS1_11comp_targetILNS1_3genE9ELNS1_11target_archE1100ELNS1_3gpuE3ELNS1_3repE0EEENS1_30default_config_static_selectorELNS0_4arch9wavefront6targetE1EEEvT1_: ; @_ZN7rocprim17ROCPRIM_400000_NS6detail17trampoline_kernelINS0_14default_configENS1_35adjacent_difference_config_selectorILb1EaEEZNS1_24adjacent_difference_implIS3_Lb1ELb0EPaN6thrust23THRUST_200600_302600_NS16discard_iteratorINS9_11use_defaultEEENS9_5minusIaEEEE10hipError_tPvRmT2_T3_mT4_P12ihipStream_tbEUlT_E_NS1_11comp_targetILNS1_3genE9ELNS1_11target_archE1100ELNS1_3gpuE3ELNS1_3repE0EEENS1_30default_config_static_selectorELNS0_4arch9wavefront6targetE1EEEvT1_
; %bb.0:
	.section	.rodata,"a",@progbits
	.p2align	6, 0x0
	.amdhsa_kernel _ZN7rocprim17ROCPRIM_400000_NS6detail17trampoline_kernelINS0_14default_configENS1_35adjacent_difference_config_selectorILb1EaEEZNS1_24adjacent_difference_implIS3_Lb1ELb0EPaN6thrust23THRUST_200600_302600_NS16discard_iteratorINS9_11use_defaultEEENS9_5minusIaEEEE10hipError_tPvRmT2_T3_mT4_P12ihipStream_tbEUlT_E_NS1_11comp_targetILNS1_3genE9ELNS1_11target_archE1100ELNS1_3gpuE3ELNS1_3repE0EEENS1_30default_config_static_selectorELNS0_4arch9wavefront6targetE1EEEvT1_
		.amdhsa_group_segment_fixed_size 0
		.amdhsa_private_segment_fixed_size 0
		.amdhsa_kernarg_size 64
		.amdhsa_user_sgpr_count 6
		.amdhsa_user_sgpr_private_segment_buffer 1
		.amdhsa_user_sgpr_dispatch_ptr 0
		.amdhsa_user_sgpr_queue_ptr 0
		.amdhsa_user_sgpr_kernarg_segment_ptr 1
		.amdhsa_user_sgpr_dispatch_id 0
		.amdhsa_user_sgpr_flat_scratch_init 0
		.amdhsa_user_sgpr_kernarg_preload_length 0
		.amdhsa_user_sgpr_kernarg_preload_offset 0
		.amdhsa_user_sgpr_private_segment_size 0
		.amdhsa_uses_dynamic_stack 0
		.amdhsa_system_sgpr_private_segment_wavefront_offset 0
		.amdhsa_system_sgpr_workgroup_id_x 1
		.amdhsa_system_sgpr_workgroup_id_y 0
		.amdhsa_system_sgpr_workgroup_id_z 0
		.amdhsa_system_sgpr_workgroup_info 0
		.amdhsa_system_vgpr_workitem_id 0
		.amdhsa_next_free_vgpr 1
		.amdhsa_next_free_sgpr 0
		.amdhsa_accum_offset 4
		.amdhsa_reserve_vcc 0
		.amdhsa_reserve_flat_scratch 0
		.amdhsa_float_round_mode_32 0
		.amdhsa_float_round_mode_16_64 0
		.amdhsa_float_denorm_mode_32 3
		.amdhsa_float_denorm_mode_16_64 3
		.amdhsa_dx10_clamp 1
		.amdhsa_ieee_mode 1
		.amdhsa_fp16_overflow 0
		.amdhsa_tg_split 0
		.amdhsa_exception_fp_ieee_invalid_op 0
		.amdhsa_exception_fp_denorm_src 0
		.amdhsa_exception_fp_ieee_div_zero 0
		.amdhsa_exception_fp_ieee_overflow 0
		.amdhsa_exception_fp_ieee_underflow 0
		.amdhsa_exception_fp_ieee_inexact 0
		.amdhsa_exception_int_div_zero 0
	.end_amdhsa_kernel
	.section	.text._ZN7rocprim17ROCPRIM_400000_NS6detail17trampoline_kernelINS0_14default_configENS1_35adjacent_difference_config_selectorILb1EaEEZNS1_24adjacent_difference_implIS3_Lb1ELb0EPaN6thrust23THRUST_200600_302600_NS16discard_iteratorINS9_11use_defaultEEENS9_5minusIaEEEE10hipError_tPvRmT2_T3_mT4_P12ihipStream_tbEUlT_E_NS1_11comp_targetILNS1_3genE9ELNS1_11target_archE1100ELNS1_3gpuE3ELNS1_3repE0EEENS1_30default_config_static_selectorELNS0_4arch9wavefront6targetE1EEEvT1_,"axG",@progbits,_ZN7rocprim17ROCPRIM_400000_NS6detail17trampoline_kernelINS0_14default_configENS1_35adjacent_difference_config_selectorILb1EaEEZNS1_24adjacent_difference_implIS3_Lb1ELb0EPaN6thrust23THRUST_200600_302600_NS16discard_iteratorINS9_11use_defaultEEENS9_5minusIaEEEE10hipError_tPvRmT2_T3_mT4_P12ihipStream_tbEUlT_E_NS1_11comp_targetILNS1_3genE9ELNS1_11target_archE1100ELNS1_3gpuE3ELNS1_3repE0EEENS1_30default_config_static_selectorELNS0_4arch9wavefront6targetE1EEEvT1_,comdat
.Lfunc_end681:
	.size	_ZN7rocprim17ROCPRIM_400000_NS6detail17trampoline_kernelINS0_14default_configENS1_35adjacent_difference_config_selectorILb1EaEEZNS1_24adjacent_difference_implIS3_Lb1ELb0EPaN6thrust23THRUST_200600_302600_NS16discard_iteratorINS9_11use_defaultEEENS9_5minusIaEEEE10hipError_tPvRmT2_T3_mT4_P12ihipStream_tbEUlT_E_NS1_11comp_targetILNS1_3genE9ELNS1_11target_archE1100ELNS1_3gpuE3ELNS1_3repE0EEENS1_30default_config_static_selectorELNS0_4arch9wavefront6targetE1EEEvT1_, .Lfunc_end681-_ZN7rocprim17ROCPRIM_400000_NS6detail17trampoline_kernelINS0_14default_configENS1_35adjacent_difference_config_selectorILb1EaEEZNS1_24adjacent_difference_implIS3_Lb1ELb0EPaN6thrust23THRUST_200600_302600_NS16discard_iteratorINS9_11use_defaultEEENS9_5minusIaEEEE10hipError_tPvRmT2_T3_mT4_P12ihipStream_tbEUlT_E_NS1_11comp_targetILNS1_3genE9ELNS1_11target_archE1100ELNS1_3gpuE3ELNS1_3repE0EEENS1_30default_config_static_selectorELNS0_4arch9wavefront6targetE1EEEvT1_
                                        ; -- End function
	.section	.AMDGPU.csdata,"",@progbits
; Kernel info:
; codeLenInByte = 0
; NumSgprs: 4
; NumVgprs: 0
; NumAgprs: 0
; TotalNumVgprs: 0
; ScratchSize: 0
; MemoryBound: 0
; FloatMode: 240
; IeeeMode: 1
; LDSByteSize: 0 bytes/workgroup (compile time only)
; SGPRBlocks: 0
; VGPRBlocks: 0
; NumSGPRsForWavesPerEU: 4
; NumVGPRsForWavesPerEU: 1
; AccumOffset: 4
; Occupancy: 8
; WaveLimiterHint : 0
; COMPUTE_PGM_RSRC2:SCRATCH_EN: 0
; COMPUTE_PGM_RSRC2:USER_SGPR: 6
; COMPUTE_PGM_RSRC2:TRAP_HANDLER: 0
; COMPUTE_PGM_RSRC2:TGID_X_EN: 1
; COMPUTE_PGM_RSRC2:TGID_Y_EN: 0
; COMPUTE_PGM_RSRC2:TGID_Z_EN: 0
; COMPUTE_PGM_RSRC2:TIDIG_COMP_CNT: 0
; COMPUTE_PGM_RSRC3_GFX90A:ACCUM_OFFSET: 0
; COMPUTE_PGM_RSRC3_GFX90A:TG_SPLIT: 0
	.section	.text._ZN7rocprim17ROCPRIM_400000_NS6detail17trampoline_kernelINS0_14default_configENS1_35adjacent_difference_config_selectorILb1EaEEZNS1_24adjacent_difference_implIS3_Lb1ELb0EPaN6thrust23THRUST_200600_302600_NS16discard_iteratorINS9_11use_defaultEEENS9_5minusIaEEEE10hipError_tPvRmT2_T3_mT4_P12ihipStream_tbEUlT_E_NS1_11comp_targetILNS1_3genE8ELNS1_11target_archE1030ELNS1_3gpuE2ELNS1_3repE0EEENS1_30default_config_static_selectorELNS0_4arch9wavefront6targetE1EEEvT1_,"axG",@progbits,_ZN7rocprim17ROCPRIM_400000_NS6detail17trampoline_kernelINS0_14default_configENS1_35adjacent_difference_config_selectorILb1EaEEZNS1_24adjacent_difference_implIS3_Lb1ELb0EPaN6thrust23THRUST_200600_302600_NS16discard_iteratorINS9_11use_defaultEEENS9_5minusIaEEEE10hipError_tPvRmT2_T3_mT4_P12ihipStream_tbEUlT_E_NS1_11comp_targetILNS1_3genE8ELNS1_11target_archE1030ELNS1_3gpuE2ELNS1_3repE0EEENS1_30default_config_static_selectorELNS0_4arch9wavefront6targetE1EEEvT1_,comdat
	.protected	_ZN7rocprim17ROCPRIM_400000_NS6detail17trampoline_kernelINS0_14default_configENS1_35adjacent_difference_config_selectorILb1EaEEZNS1_24adjacent_difference_implIS3_Lb1ELb0EPaN6thrust23THRUST_200600_302600_NS16discard_iteratorINS9_11use_defaultEEENS9_5minusIaEEEE10hipError_tPvRmT2_T3_mT4_P12ihipStream_tbEUlT_E_NS1_11comp_targetILNS1_3genE8ELNS1_11target_archE1030ELNS1_3gpuE2ELNS1_3repE0EEENS1_30default_config_static_selectorELNS0_4arch9wavefront6targetE1EEEvT1_ ; -- Begin function _ZN7rocprim17ROCPRIM_400000_NS6detail17trampoline_kernelINS0_14default_configENS1_35adjacent_difference_config_selectorILb1EaEEZNS1_24adjacent_difference_implIS3_Lb1ELb0EPaN6thrust23THRUST_200600_302600_NS16discard_iteratorINS9_11use_defaultEEENS9_5minusIaEEEE10hipError_tPvRmT2_T3_mT4_P12ihipStream_tbEUlT_E_NS1_11comp_targetILNS1_3genE8ELNS1_11target_archE1030ELNS1_3gpuE2ELNS1_3repE0EEENS1_30default_config_static_selectorELNS0_4arch9wavefront6targetE1EEEvT1_
	.globl	_ZN7rocprim17ROCPRIM_400000_NS6detail17trampoline_kernelINS0_14default_configENS1_35adjacent_difference_config_selectorILb1EaEEZNS1_24adjacent_difference_implIS3_Lb1ELb0EPaN6thrust23THRUST_200600_302600_NS16discard_iteratorINS9_11use_defaultEEENS9_5minusIaEEEE10hipError_tPvRmT2_T3_mT4_P12ihipStream_tbEUlT_E_NS1_11comp_targetILNS1_3genE8ELNS1_11target_archE1030ELNS1_3gpuE2ELNS1_3repE0EEENS1_30default_config_static_selectorELNS0_4arch9wavefront6targetE1EEEvT1_
	.p2align	8
	.type	_ZN7rocprim17ROCPRIM_400000_NS6detail17trampoline_kernelINS0_14default_configENS1_35adjacent_difference_config_selectorILb1EaEEZNS1_24adjacent_difference_implIS3_Lb1ELb0EPaN6thrust23THRUST_200600_302600_NS16discard_iteratorINS9_11use_defaultEEENS9_5minusIaEEEE10hipError_tPvRmT2_T3_mT4_P12ihipStream_tbEUlT_E_NS1_11comp_targetILNS1_3genE8ELNS1_11target_archE1030ELNS1_3gpuE2ELNS1_3repE0EEENS1_30default_config_static_selectorELNS0_4arch9wavefront6targetE1EEEvT1_,@function
_ZN7rocprim17ROCPRIM_400000_NS6detail17trampoline_kernelINS0_14default_configENS1_35adjacent_difference_config_selectorILb1EaEEZNS1_24adjacent_difference_implIS3_Lb1ELb0EPaN6thrust23THRUST_200600_302600_NS16discard_iteratorINS9_11use_defaultEEENS9_5minusIaEEEE10hipError_tPvRmT2_T3_mT4_P12ihipStream_tbEUlT_E_NS1_11comp_targetILNS1_3genE8ELNS1_11target_archE1030ELNS1_3gpuE2ELNS1_3repE0EEENS1_30default_config_static_selectorELNS0_4arch9wavefront6targetE1EEEvT1_: ; @_ZN7rocprim17ROCPRIM_400000_NS6detail17trampoline_kernelINS0_14default_configENS1_35adjacent_difference_config_selectorILb1EaEEZNS1_24adjacent_difference_implIS3_Lb1ELb0EPaN6thrust23THRUST_200600_302600_NS16discard_iteratorINS9_11use_defaultEEENS9_5minusIaEEEE10hipError_tPvRmT2_T3_mT4_P12ihipStream_tbEUlT_E_NS1_11comp_targetILNS1_3genE8ELNS1_11target_archE1030ELNS1_3gpuE2ELNS1_3repE0EEENS1_30default_config_static_selectorELNS0_4arch9wavefront6targetE1EEEvT1_
; %bb.0:
	.section	.rodata,"a",@progbits
	.p2align	6, 0x0
	.amdhsa_kernel _ZN7rocprim17ROCPRIM_400000_NS6detail17trampoline_kernelINS0_14default_configENS1_35adjacent_difference_config_selectorILb1EaEEZNS1_24adjacent_difference_implIS3_Lb1ELb0EPaN6thrust23THRUST_200600_302600_NS16discard_iteratorINS9_11use_defaultEEENS9_5minusIaEEEE10hipError_tPvRmT2_T3_mT4_P12ihipStream_tbEUlT_E_NS1_11comp_targetILNS1_3genE8ELNS1_11target_archE1030ELNS1_3gpuE2ELNS1_3repE0EEENS1_30default_config_static_selectorELNS0_4arch9wavefront6targetE1EEEvT1_
		.amdhsa_group_segment_fixed_size 0
		.amdhsa_private_segment_fixed_size 0
		.amdhsa_kernarg_size 64
		.amdhsa_user_sgpr_count 6
		.amdhsa_user_sgpr_private_segment_buffer 1
		.amdhsa_user_sgpr_dispatch_ptr 0
		.amdhsa_user_sgpr_queue_ptr 0
		.amdhsa_user_sgpr_kernarg_segment_ptr 1
		.amdhsa_user_sgpr_dispatch_id 0
		.amdhsa_user_sgpr_flat_scratch_init 0
		.amdhsa_user_sgpr_kernarg_preload_length 0
		.amdhsa_user_sgpr_kernarg_preload_offset 0
		.amdhsa_user_sgpr_private_segment_size 0
		.amdhsa_uses_dynamic_stack 0
		.amdhsa_system_sgpr_private_segment_wavefront_offset 0
		.amdhsa_system_sgpr_workgroup_id_x 1
		.amdhsa_system_sgpr_workgroup_id_y 0
		.amdhsa_system_sgpr_workgroup_id_z 0
		.amdhsa_system_sgpr_workgroup_info 0
		.amdhsa_system_vgpr_workitem_id 0
		.amdhsa_next_free_vgpr 1
		.amdhsa_next_free_sgpr 0
		.amdhsa_accum_offset 4
		.amdhsa_reserve_vcc 0
		.amdhsa_reserve_flat_scratch 0
		.amdhsa_float_round_mode_32 0
		.amdhsa_float_round_mode_16_64 0
		.amdhsa_float_denorm_mode_32 3
		.amdhsa_float_denorm_mode_16_64 3
		.amdhsa_dx10_clamp 1
		.amdhsa_ieee_mode 1
		.amdhsa_fp16_overflow 0
		.amdhsa_tg_split 0
		.amdhsa_exception_fp_ieee_invalid_op 0
		.amdhsa_exception_fp_denorm_src 0
		.amdhsa_exception_fp_ieee_div_zero 0
		.amdhsa_exception_fp_ieee_overflow 0
		.amdhsa_exception_fp_ieee_underflow 0
		.amdhsa_exception_fp_ieee_inexact 0
		.amdhsa_exception_int_div_zero 0
	.end_amdhsa_kernel
	.section	.text._ZN7rocprim17ROCPRIM_400000_NS6detail17trampoline_kernelINS0_14default_configENS1_35adjacent_difference_config_selectorILb1EaEEZNS1_24adjacent_difference_implIS3_Lb1ELb0EPaN6thrust23THRUST_200600_302600_NS16discard_iteratorINS9_11use_defaultEEENS9_5minusIaEEEE10hipError_tPvRmT2_T3_mT4_P12ihipStream_tbEUlT_E_NS1_11comp_targetILNS1_3genE8ELNS1_11target_archE1030ELNS1_3gpuE2ELNS1_3repE0EEENS1_30default_config_static_selectorELNS0_4arch9wavefront6targetE1EEEvT1_,"axG",@progbits,_ZN7rocprim17ROCPRIM_400000_NS6detail17trampoline_kernelINS0_14default_configENS1_35adjacent_difference_config_selectorILb1EaEEZNS1_24adjacent_difference_implIS3_Lb1ELb0EPaN6thrust23THRUST_200600_302600_NS16discard_iteratorINS9_11use_defaultEEENS9_5minusIaEEEE10hipError_tPvRmT2_T3_mT4_P12ihipStream_tbEUlT_E_NS1_11comp_targetILNS1_3genE8ELNS1_11target_archE1030ELNS1_3gpuE2ELNS1_3repE0EEENS1_30default_config_static_selectorELNS0_4arch9wavefront6targetE1EEEvT1_,comdat
.Lfunc_end682:
	.size	_ZN7rocprim17ROCPRIM_400000_NS6detail17trampoline_kernelINS0_14default_configENS1_35adjacent_difference_config_selectorILb1EaEEZNS1_24adjacent_difference_implIS3_Lb1ELb0EPaN6thrust23THRUST_200600_302600_NS16discard_iteratorINS9_11use_defaultEEENS9_5minusIaEEEE10hipError_tPvRmT2_T3_mT4_P12ihipStream_tbEUlT_E_NS1_11comp_targetILNS1_3genE8ELNS1_11target_archE1030ELNS1_3gpuE2ELNS1_3repE0EEENS1_30default_config_static_selectorELNS0_4arch9wavefront6targetE1EEEvT1_, .Lfunc_end682-_ZN7rocprim17ROCPRIM_400000_NS6detail17trampoline_kernelINS0_14default_configENS1_35adjacent_difference_config_selectorILb1EaEEZNS1_24adjacent_difference_implIS3_Lb1ELb0EPaN6thrust23THRUST_200600_302600_NS16discard_iteratorINS9_11use_defaultEEENS9_5minusIaEEEE10hipError_tPvRmT2_T3_mT4_P12ihipStream_tbEUlT_E_NS1_11comp_targetILNS1_3genE8ELNS1_11target_archE1030ELNS1_3gpuE2ELNS1_3repE0EEENS1_30default_config_static_selectorELNS0_4arch9wavefront6targetE1EEEvT1_
                                        ; -- End function
	.section	.AMDGPU.csdata,"",@progbits
; Kernel info:
; codeLenInByte = 0
; NumSgprs: 4
; NumVgprs: 0
; NumAgprs: 0
; TotalNumVgprs: 0
; ScratchSize: 0
; MemoryBound: 0
; FloatMode: 240
; IeeeMode: 1
; LDSByteSize: 0 bytes/workgroup (compile time only)
; SGPRBlocks: 0
; VGPRBlocks: 0
; NumSGPRsForWavesPerEU: 4
; NumVGPRsForWavesPerEU: 1
; AccumOffset: 4
; Occupancy: 8
; WaveLimiterHint : 0
; COMPUTE_PGM_RSRC2:SCRATCH_EN: 0
; COMPUTE_PGM_RSRC2:USER_SGPR: 6
; COMPUTE_PGM_RSRC2:TRAP_HANDLER: 0
; COMPUTE_PGM_RSRC2:TGID_X_EN: 1
; COMPUTE_PGM_RSRC2:TGID_Y_EN: 0
; COMPUTE_PGM_RSRC2:TGID_Z_EN: 0
; COMPUTE_PGM_RSRC2:TIDIG_COMP_CNT: 0
; COMPUTE_PGM_RSRC3_GFX90A:ACCUM_OFFSET: 0
; COMPUTE_PGM_RSRC3_GFX90A:TG_SPLIT: 0
	.section	.text._ZN7rocprim17ROCPRIM_400000_NS6detail17trampoline_kernelINS0_14default_configENS1_25transform_config_selectorIhLb0EEEZNS1_14transform_implILb0ES3_S5_NS0_18transform_iteratorINS0_17counting_iteratorImlEEZNS1_24adjacent_difference_implIS3_Lb1ELb0EPhN6thrust23THRUST_200600_302600_NS16discard_iteratorINSD_11use_defaultEEENSD_5minusIhEEEE10hipError_tPvRmT2_T3_mT4_P12ihipStream_tbEUlmE_hEESB_NS0_8identityIvEEEESJ_SM_SN_mSO_SQ_bEUlT_E_NS1_11comp_targetILNS1_3genE0ELNS1_11target_archE4294967295ELNS1_3gpuE0ELNS1_3repE0EEENS1_30default_config_static_selectorELNS0_4arch9wavefront6targetE1EEEvT1_,"axG",@progbits,_ZN7rocprim17ROCPRIM_400000_NS6detail17trampoline_kernelINS0_14default_configENS1_25transform_config_selectorIhLb0EEEZNS1_14transform_implILb0ES3_S5_NS0_18transform_iteratorINS0_17counting_iteratorImlEEZNS1_24adjacent_difference_implIS3_Lb1ELb0EPhN6thrust23THRUST_200600_302600_NS16discard_iteratorINSD_11use_defaultEEENSD_5minusIhEEEE10hipError_tPvRmT2_T3_mT4_P12ihipStream_tbEUlmE_hEESB_NS0_8identityIvEEEESJ_SM_SN_mSO_SQ_bEUlT_E_NS1_11comp_targetILNS1_3genE0ELNS1_11target_archE4294967295ELNS1_3gpuE0ELNS1_3repE0EEENS1_30default_config_static_selectorELNS0_4arch9wavefront6targetE1EEEvT1_,comdat
	.protected	_ZN7rocprim17ROCPRIM_400000_NS6detail17trampoline_kernelINS0_14default_configENS1_25transform_config_selectorIhLb0EEEZNS1_14transform_implILb0ES3_S5_NS0_18transform_iteratorINS0_17counting_iteratorImlEEZNS1_24adjacent_difference_implIS3_Lb1ELb0EPhN6thrust23THRUST_200600_302600_NS16discard_iteratorINSD_11use_defaultEEENSD_5minusIhEEEE10hipError_tPvRmT2_T3_mT4_P12ihipStream_tbEUlmE_hEESB_NS0_8identityIvEEEESJ_SM_SN_mSO_SQ_bEUlT_E_NS1_11comp_targetILNS1_3genE0ELNS1_11target_archE4294967295ELNS1_3gpuE0ELNS1_3repE0EEENS1_30default_config_static_selectorELNS0_4arch9wavefront6targetE1EEEvT1_ ; -- Begin function _ZN7rocprim17ROCPRIM_400000_NS6detail17trampoline_kernelINS0_14default_configENS1_25transform_config_selectorIhLb0EEEZNS1_14transform_implILb0ES3_S5_NS0_18transform_iteratorINS0_17counting_iteratorImlEEZNS1_24adjacent_difference_implIS3_Lb1ELb0EPhN6thrust23THRUST_200600_302600_NS16discard_iteratorINSD_11use_defaultEEENSD_5minusIhEEEE10hipError_tPvRmT2_T3_mT4_P12ihipStream_tbEUlmE_hEESB_NS0_8identityIvEEEESJ_SM_SN_mSO_SQ_bEUlT_E_NS1_11comp_targetILNS1_3genE0ELNS1_11target_archE4294967295ELNS1_3gpuE0ELNS1_3repE0EEENS1_30default_config_static_selectorELNS0_4arch9wavefront6targetE1EEEvT1_
	.globl	_ZN7rocprim17ROCPRIM_400000_NS6detail17trampoline_kernelINS0_14default_configENS1_25transform_config_selectorIhLb0EEEZNS1_14transform_implILb0ES3_S5_NS0_18transform_iteratorINS0_17counting_iteratorImlEEZNS1_24adjacent_difference_implIS3_Lb1ELb0EPhN6thrust23THRUST_200600_302600_NS16discard_iteratorINSD_11use_defaultEEENSD_5minusIhEEEE10hipError_tPvRmT2_T3_mT4_P12ihipStream_tbEUlmE_hEESB_NS0_8identityIvEEEESJ_SM_SN_mSO_SQ_bEUlT_E_NS1_11comp_targetILNS1_3genE0ELNS1_11target_archE4294967295ELNS1_3gpuE0ELNS1_3repE0EEENS1_30default_config_static_selectorELNS0_4arch9wavefront6targetE1EEEvT1_
	.p2align	8
	.type	_ZN7rocprim17ROCPRIM_400000_NS6detail17trampoline_kernelINS0_14default_configENS1_25transform_config_selectorIhLb0EEEZNS1_14transform_implILb0ES3_S5_NS0_18transform_iteratorINS0_17counting_iteratorImlEEZNS1_24adjacent_difference_implIS3_Lb1ELb0EPhN6thrust23THRUST_200600_302600_NS16discard_iteratorINSD_11use_defaultEEENSD_5minusIhEEEE10hipError_tPvRmT2_T3_mT4_P12ihipStream_tbEUlmE_hEESB_NS0_8identityIvEEEESJ_SM_SN_mSO_SQ_bEUlT_E_NS1_11comp_targetILNS1_3genE0ELNS1_11target_archE4294967295ELNS1_3gpuE0ELNS1_3repE0EEENS1_30default_config_static_selectorELNS0_4arch9wavefront6targetE1EEEvT1_,@function
_ZN7rocprim17ROCPRIM_400000_NS6detail17trampoline_kernelINS0_14default_configENS1_25transform_config_selectorIhLb0EEEZNS1_14transform_implILb0ES3_S5_NS0_18transform_iteratorINS0_17counting_iteratorImlEEZNS1_24adjacent_difference_implIS3_Lb1ELb0EPhN6thrust23THRUST_200600_302600_NS16discard_iteratorINSD_11use_defaultEEENSD_5minusIhEEEE10hipError_tPvRmT2_T3_mT4_P12ihipStream_tbEUlmE_hEESB_NS0_8identityIvEEEESJ_SM_SN_mSO_SQ_bEUlT_E_NS1_11comp_targetILNS1_3genE0ELNS1_11target_archE4294967295ELNS1_3gpuE0ELNS1_3repE0EEENS1_30default_config_static_selectorELNS0_4arch9wavefront6targetE1EEEvT1_: ; @_ZN7rocprim17ROCPRIM_400000_NS6detail17trampoline_kernelINS0_14default_configENS1_25transform_config_selectorIhLb0EEEZNS1_14transform_implILb0ES3_S5_NS0_18transform_iteratorINS0_17counting_iteratorImlEEZNS1_24adjacent_difference_implIS3_Lb1ELb0EPhN6thrust23THRUST_200600_302600_NS16discard_iteratorINSD_11use_defaultEEENSD_5minusIhEEEE10hipError_tPvRmT2_T3_mT4_P12ihipStream_tbEUlmE_hEESB_NS0_8identityIvEEEESJ_SM_SN_mSO_SQ_bEUlT_E_NS1_11comp_targetILNS1_3genE0ELNS1_11target_archE4294967295ELNS1_3gpuE0ELNS1_3repE0EEENS1_30default_config_static_selectorELNS0_4arch9wavefront6targetE1EEEvT1_
; %bb.0:
	.section	.rodata,"a",@progbits
	.p2align	6, 0x0
	.amdhsa_kernel _ZN7rocprim17ROCPRIM_400000_NS6detail17trampoline_kernelINS0_14default_configENS1_25transform_config_selectorIhLb0EEEZNS1_14transform_implILb0ES3_S5_NS0_18transform_iteratorINS0_17counting_iteratorImlEEZNS1_24adjacent_difference_implIS3_Lb1ELb0EPhN6thrust23THRUST_200600_302600_NS16discard_iteratorINSD_11use_defaultEEENSD_5minusIhEEEE10hipError_tPvRmT2_T3_mT4_P12ihipStream_tbEUlmE_hEESB_NS0_8identityIvEEEESJ_SM_SN_mSO_SQ_bEUlT_E_NS1_11comp_targetILNS1_3genE0ELNS1_11target_archE4294967295ELNS1_3gpuE0ELNS1_3repE0EEENS1_30default_config_static_selectorELNS0_4arch9wavefront6targetE1EEEvT1_
		.amdhsa_group_segment_fixed_size 0
		.amdhsa_private_segment_fixed_size 0
		.amdhsa_kernarg_size 56
		.amdhsa_user_sgpr_count 6
		.amdhsa_user_sgpr_private_segment_buffer 1
		.amdhsa_user_sgpr_dispatch_ptr 0
		.amdhsa_user_sgpr_queue_ptr 0
		.amdhsa_user_sgpr_kernarg_segment_ptr 1
		.amdhsa_user_sgpr_dispatch_id 0
		.amdhsa_user_sgpr_flat_scratch_init 0
		.amdhsa_user_sgpr_kernarg_preload_length 0
		.amdhsa_user_sgpr_kernarg_preload_offset 0
		.amdhsa_user_sgpr_private_segment_size 0
		.amdhsa_uses_dynamic_stack 0
		.amdhsa_system_sgpr_private_segment_wavefront_offset 0
		.amdhsa_system_sgpr_workgroup_id_x 1
		.amdhsa_system_sgpr_workgroup_id_y 0
		.amdhsa_system_sgpr_workgroup_id_z 0
		.amdhsa_system_sgpr_workgroup_info 0
		.amdhsa_system_vgpr_workitem_id 0
		.amdhsa_next_free_vgpr 1
		.amdhsa_next_free_sgpr 0
		.amdhsa_accum_offset 4
		.amdhsa_reserve_vcc 0
		.amdhsa_reserve_flat_scratch 0
		.amdhsa_float_round_mode_32 0
		.amdhsa_float_round_mode_16_64 0
		.amdhsa_float_denorm_mode_32 3
		.amdhsa_float_denorm_mode_16_64 3
		.amdhsa_dx10_clamp 1
		.amdhsa_ieee_mode 1
		.amdhsa_fp16_overflow 0
		.amdhsa_tg_split 0
		.amdhsa_exception_fp_ieee_invalid_op 0
		.amdhsa_exception_fp_denorm_src 0
		.amdhsa_exception_fp_ieee_div_zero 0
		.amdhsa_exception_fp_ieee_overflow 0
		.amdhsa_exception_fp_ieee_underflow 0
		.amdhsa_exception_fp_ieee_inexact 0
		.amdhsa_exception_int_div_zero 0
	.end_amdhsa_kernel
	.section	.text._ZN7rocprim17ROCPRIM_400000_NS6detail17trampoline_kernelINS0_14default_configENS1_25transform_config_selectorIhLb0EEEZNS1_14transform_implILb0ES3_S5_NS0_18transform_iteratorINS0_17counting_iteratorImlEEZNS1_24adjacent_difference_implIS3_Lb1ELb0EPhN6thrust23THRUST_200600_302600_NS16discard_iteratorINSD_11use_defaultEEENSD_5minusIhEEEE10hipError_tPvRmT2_T3_mT4_P12ihipStream_tbEUlmE_hEESB_NS0_8identityIvEEEESJ_SM_SN_mSO_SQ_bEUlT_E_NS1_11comp_targetILNS1_3genE0ELNS1_11target_archE4294967295ELNS1_3gpuE0ELNS1_3repE0EEENS1_30default_config_static_selectorELNS0_4arch9wavefront6targetE1EEEvT1_,"axG",@progbits,_ZN7rocprim17ROCPRIM_400000_NS6detail17trampoline_kernelINS0_14default_configENS1_25transform_config_selectorIhLb0EEEZNS1_14transform_implILb0ES3_S5_NS0_18transform_iteratorINS0_17counting_iteratorImlEEZNS1_24adjacent_difference_implIS3_Lb1ELb0EPhN6thrust23THRUST_200600_302600_NS16discard_iteratorINSD_11use_defaultEEENSD_5minusIhEEEE10hipError_tPvRmT2_T3_mT4_P12ihipStream_tbEUlmE_hEESB_NS0_8identityIvEEEESJ_SM_SN_mSO_SQ_bEUlT_E_NS1_11comp_targetILNS1_3genE0ELNS1_11target_archE4294967295ELNS1_3gpuE0ELNS1_3repE0EEENS1_30default_config_static_selectorELNS0_4arch9wavefront6targetE1EEEvT1_,comdat
.Lfunc_end683:
	.size	_ZN7rocprim17ROCPRIM_400000_NS6detail17trampoline_kernelINS0_14default_configENS1_25transform_config_selectorIhLb0EEEZNS1_14transform_implILb0ES3_S5_NS0_18transform_iteratorINS0_17counting_iteratorImlEEZNS1_24adjacent_difference_implIS3_Lb1ELb0EPhN6thrust23THRUST_200600_302600_NS16discard_iteratorINSD_11use_defaultEEENSD_5minusIhEEEE10hipError_tPvRmT2_T3_mT4_P12ihipStream_tbEUlmE_hEESB_NS0_8identityIvEEEESJ_SM_SN_mSO_SQ_bEUlT_E_NS1_11comp_targetILNS1_3genE0ELNS1_11target_archE4294967295ELNS1_3gpuE0ELNS1_3repE0EEENS1_30default_config_static_selectorELNS0_4arch9wavefront6targetE1EEEvT1_, .Lfunc_end683-_ZN7rocprim17ROCPRIM_400000_NS6detail17trampoline_kernelINS0_14default_configENS1_25transform_config_selectorIhLb0EEEZNS1_14transform_implILb0ES3_S5_NS0_18transform_iteratorINS0_17counting_iteratorImlEEZNS1_24adjacent_difference_implIS3_Lb1ELb0EPhN6thrust23THRUST_200600_302600_NS16discard_iteratorINSD_11use_defaultEEENSD_5minusIhEEEE10hipError_tPvRmT2_T3_mT4_P12ihipStream_tbEUlmE_hEESB_NS0_8identityIvEEEESJ_SM_SN_mSO_SQ_bEUlT_E_NS1_11comp_targetILNS1_3genE0ELNS1_11target_archE4294967295ELNS1_3gpuE0ELNS1_3repE0EEENS1_30default_config_static_selectorELNS0_4arch9wavefront6targetE1EEEvT1_
                                        ; -- End function
	.section	.AMDGPU.csdata,"",@progbits
; Kernel info:
; codeLenInByte = 0
; NumSgprs: 4
; NumVgprs: 0
; NumAgprs: 0
; TotalNumVgprs: 0
; ScratchSize: 0
; MemoryBound: 0
; FloatMode: 240
; IeeeMode: 1
; LDSByteSize: 0 bytes/workgroup (compile time only)
; SGPRBlocks: 0
; VGPRBlocks: 0
; NumSGPRsForWavesPerEU: 4
; NumVGPRsForWavesPerEU: 1
; AccumOffset: 4
; Occupancy: 8
; WaveLimiterHint : 0
; COMPUTE_PGM_RSRC2:SCRATCH_EN: 0
; COMPUTE_PGM_RSRC2:USER_SGPR: 6
; COMPUTE_PGM_RSRC2:TRAP_HANDLER: 0
; COMPUTE_PGM_RSRC2:TGID_X_EN: 1
; COMPUTE_PGM_RSRC2:TGID_Y_EN: 0
; COMPUTE_PGM_RSRC2:TGID_Z_EN: 0
; COMPUTE_PGM_RSRC2:TIDIG_COMP_CNT: 0
; COMPUTE_PGM_RSRC3_GFX90A:ACCUM_OFFSET: 0
; COMPUTE_PGM_RSRC3_GFX90A:TG_SPLIT: 0
	.section	.text._ZN7rocprim17ROCPRIM_400000_NS6detail17trampoline_kernelINS0_14default_configENS1_25transform_config_selectorIhLb0EEEZNS1_14transform_implILb0ES3_S5_NS0_18transform_iteratorINS0_17counting_iteratorImlEEZNS1_24adjacent_difference_implIS3_Lb1ELb0EPhN6thrust23THRUST_200600_302600_NS16discard_iteratorINSD_11use_defaultEEENSD_5minusIhEEEE10hipError_tPvRmT2_T3_mT4_P12ihipStream_tbEUlmE_hEESB_NS0_8identityIvEEEESJ_SM_SN_mSO_SQ_bEUlT_E_NS1_11comp_targetILNS1_3genE5ELNS1_11target_archE942ELNS1_3gpuE9ELNS1_3repE0EEENS1_30default_config_static_selectorELNS0_4arch9wavefront6targetE1EEEvT1_,"axG",@progbits,_ZN7rocprim17ROCPRIM_400000_NS6detail17trampoline_kernelINS0_14default_configENS1_25transform_config_selectorIhLb0EEEZNS1_14transform_implILb0ES3_S5_NS0_18transform_iteratorINS0_17counting_iteratorImlEEZNS1_24adjacent_difference_implIS3_Lb1ELb0EPhN6thrust23THRUST_200600_302600_NS16discard_iteratorINSD_11use_defaultEEENSD_5minusIhEEEE10hipError_tPvRmT2_T3_mT4_P12ihipStream_tbEUlmE_hEESB_NS0_8identityIvEEEESJ_SM_SN_mSO_SQ_bEUlT_E_NS1_11comp_targetILNS1_3genE5ELNS1_11target_archE942ELNS1_3gpuE9ELNS1_3repE0EEENS1_30default_config_static_selectorELNS0_4arch9wavefront6targetE1EEEvT1_,comdat
	.protected	_ZN7rocprim17ROCPRIM_400000_NS6detail17trampoline_kernelINS0_14default_configENS1_25transform_config_selectorIhLb0EEEZNS1_14transform_implILb0ES3_S5_NS0_18transform_iteratorINS0_17counting_iteratorImlEEZNS1_24adjacent_difference_implIS3_Lb1ELb0EPhN6thrust23THRUST_200600_302600_NS16discard_iteratorINSD_11use_defaultEEENSD_5minusIhEEEE10hipError_tPvRmT2_T3_mT4_P12ihipStream_tbEUlmE_hEESB_NS0_8identityIvEEEESJ_SM_SN_mSO_SQ_bEUlT_E_NS1_11comp_targetILNS1_3genE5ELNS1_11target_archE942ELNS1_3gpuE9ELNS1_3repE0EEENS1_30default_config_static_selectorELNS0_4arch9wavefront6targetE1EEEvT1_ ; -- Begin function _ZN7rocprim17ROCPRIM_400000_NS6detail17trampoline_kernelINS0_14default_configENS1_25transform_config_selectorIhLb0EEEZNS1_14transform_implILb0ES3_S5_NS0_18transform_iteratorINS0_17counting_iteratorImlEEZNS1_24adjacent_difference_implIS3_Lb1ELb0EPhN6thrust23THRUST_200600_302600_NS16discard_iteratorINSD_11use_defaultEEENSD_5minusIhEEEE10hipError_tPvRmT2_T3_mT4_P12ihipStream_tbEUlmE_hEESB_NS0_8identityIvEEEESJ_SM_SN_mSO_SQ_bEUlT_E_NS1_11comp_targetILNS1_3genE5ELNS1_11target_archE942ELNS1_3gpuE9ELNS1_3repE0EEENS1_30default_config_static_selectorELNS0_4arch9wavefront6targetE1EEEvT1_
	.globl	_ZN7rocprim17ROCPRIM_400000_NS6detail17trampoline_kernelINS0_14default_configENS1_25transform_config_selectorIhLb0EEEZNS1_14transform_implILb0ES3_S5_NS0_18transform_iteratorINS0_17counting_iteratorImlEEZNS1_24adjacent_difference_implIS3_Lb1ELb0EPhN6thrust23THRUST_200600_302600_NS16discard_iteratorINSD_11use_defaultEEENSD_5minusIhEEEE10hipError_tPvRmT2_T3_mT4_P12ihipStream_tbEUlmE_hEESB_NS0_8identityIvEEEESJ_SM_SN_mSO_SQ_bEUlT_E_NS1_11comp_targetILNS1_3genE5ELNS1_11target_archE942ELNS1_3gpuE9ELNS1_3repE0EEENS1_30default_config_static_selectorELNS0_4arch9wavefront6targetE1EEEvT1_
	.p2align	8
	.type	_ZN7rocprim17ROCPRIM_400000_NS6detail17trampoline_kernelINS0_14default_configENS1_25transform_config_selectorIhLb0EEEZNS1_14transform_implILb0ES3_S5_NS0_18transform_iteratorINS0_17counting_iteratorImlEEZNS1_24adjacent_difference_implIS3_Lb1ELb0EPhN6thrust23THRUST_200600_302600_NS16discard_iteratorINSD_11use_defaultEEENSD_5minusIhEEEE10hipError_tPvRmT2_T3_mT4_P12ihipStream_tbEUlmE_hEESB_NS0_8identityIvEEEESJ_SM_SN_mSO_SQ_bEUlT_E_NS1_11comp_targetILNS1_3genE5ELNS1_11target_archE942ELNS1_3gpuE9ELNS1_3repE0EEENS1_30default_config_static_selectorELNS0_4arch9wavefront6targetE1EEEvT1_,@function
_ZN7rocprim17ROCPRIM_400000_NS6detail17trampoline_kernelINS0_14default_configENS1_25transform_config_selectorIhLb0EEEZNS1_14transform_implILb0ES3_S5_NS0_18transform_iteratorINS0_17counting_iteratorImlEEZNS1_24adjacent_difference_implIS3_Lb1ELb0EPhN6thrust23THRUST_200600_302600_NS16discard_iteratorINSD_11use_defaultEEENSD_5minusIhEEEE10hipError_tPvRmT2_T3_mT4_P12ihipStream_tbEUlmE_hEESB_NS0_8identityIvEEEESJ_SM_SN_mSO_SQ_bEUlT_E_NS1_11comp_targetILNS1_3genE5ELNS1_11target_archE942ELNS1_3gpuE9ELNS1_3repE0EEENS1_30default_config_static_selectorELNS0_4arch9wavefront6targetE1EEEvT1_: ; @_ZN7rocprim17ROCPRIM_400000_NS6detail17trampoline_kernelINS0_14default_configENS1_25transform_config_selectorIhLb0EEEZNS1_14transform_implILb0ES3_S5_NS0_18transform_iteratorINS0_17counting_iteratorImlEEZNS1_24adjacent_difference_implIS3_Lb1ELb0EPhN6thrust23THRUST_200600_302600_NS16discard_iteratorINSD_11use_defaultEEENSD_5minusIhEEEE10hipError_tPvRmT2_T3_mT4_P12ihipStream_tbEUlmE_hEESB_NS0_8identityIvEEEESJ_SM_SN_mSO_SQ_bEUlT_E_NS1_11comp_targetILNS1_3genE5ELNS1_11target_archE942ELNS1_3gpuE9ELNS1_3repE0EEENS1_30default_config_static_selectorELNS0_4arch9wavefront6targetE1EEEvT1_
; %bb.0:
	.section	.rodata,"a",@progbits
	.p2align	6, 0x0
	.amdhsa_kernel _ZN7rocprim17ROCPRIM_400000_NS6detail17trampoline_kernelINS0_14default_configENS1_25transform_config_selectorIhLb0EEEZNS1_14transform_implILb0ES3_S5_NS0_18transform_iteratorINS0_17counting_iteratorImlEEZNS1_24adjacent_difference_implIS3_Lb1ELb0EPhN6thrust23THRUST_200600_302600_NS16discard_iteratorINSD_11use_defaultEEENSD_5minusIhEEEE10hipError_tPvRmT2_T3_mT4_P12ihipStream_tbEUlmE_hEESB_NS0_8identityIvEEEESJ_SM_SN_mSO_SQ_bEUlT_E_NS1_11comp_targetILNS1_3genE5ELNS1_11target_archE942ELNS1_3gpuE9ELNS1_3repE0EEENS1_30default_config_static_selectorELNS0_4arch9wavefront6targetE1EEEvT1_
		.amdhsa_group_segment_fixed_size 0
		.amdhsa_private_segment_fixed_size 0
		.amdhsa_kernarg_size 56
		.amdhsa_user_sgpr_count 6
		.amdhsa_user_sgpr_private_segment_buffer 1
		.amdhsa_user_sgpr_dispatch_ptr 0
		.amdhsa_user_sgpr_queue_ptr 0
		.amdhsa_user_sgpr_kernarg_segment_ptr 1
		.amdhsa_user_sgpr_dispatch_id 0
		.amdhsa_user_sgpr_flat_scratch_init 0
		.amdhsa_user_sgpr_kernarg_preload_length 0
		.amdhsa_user_sgpr_kernarg_preload_offset 0
		.amdhsa_user_sgpr_private_segment_size 0
		.amdhsa_uses_dynamic_stack 0
		.amdhsa_system_sgpr_private_segment_wavefront_offset 0
		.amdhsa_system_sgpr_workgroup_id_x 1
		.amdhsa_system_sgpr_workgroup_id_y 0
		.amdhsa_system_sgpr_workgroup_id_z 0
		.amdhsa_system_sgpr_workgroup_info 0
		.amdhsa_system_vgpr_workitem_id 0
		.amdhsa_next_free_vgpr 1
		.amdhsa_next_free_sgpr 0
		.amdhsa_accum_offset 4
		.amdhsa_reserve_vcc 0
		.amdhsa_reserve_flat_scratch 0
		.amdhsa_float_round_mode_32 0
		.amdhsa_float_round_mode_16_64 0
		.amdhsa_float_denorm_mode_32 3
		.amdhsa_float_denorm_mode_16_64 3
		.amdhsa_dx10_clamp 1
		.amdhsa_ieee_mode 1
		.amdhsa_fp16_overflow 0
		.amdhsa_tg_split 0
		.amdhsa_exception_fp_ieee_invalid_op 0
		.amdhsa_exception_fp_denorm_src 0
		.amdhsa_exception_fp_ieee_div_zero 0
		.amdhsa_exception_fp_ieee_overflow 0
		.amdhsa_exception_fp_ieee_underflow 0
		.amdhsa_exception_fp_ieee_inexact 0
		.amdhsa_exception_int_div_zero 0
	.end_amdhsa_kernel
	.section	.text._ZN7rocprim17ROCPRIM_400000_NS6detail17trampoline_kernelINS0_14default_configENS1_25transform_config_selectorIhLb0EEEZNS1_14transform_implILb0ES3_S5_NS0_18transform_iteratorINS0_17counting_iteratorImlEEZNS1_24adjacent_difference_implIS3_Lb1ELb0EPhN6thrust23THRUST_200600_302600_NS16discard_iteratorINSD_11use_defaultEEENSD_5minusIhEEEE10hipError_tPvRmT2_T3_mT4_P12ihipStream_tbEUlmE_hEESB_NS0_8identityIvEEEESJ_SM_SN_mSO_SQ_bEUlT_E_NS1_11comp_targetILNS1_3genE5ELNS1_11target_archE942ELNS1_3gpuE9ELNS1_3repE0EEENS1_30default_config_static_selectorELNS0_4arch9wavefront6targetE1EEEvT1_,"axG",@progbits,_ZN7rocprim17ROCPRIM_400000_NS6detail17trampoline_kernelINS0_14default_configENS1_25transform_config_selectorIhLb0EEEZNS1_14transform_implILb0ES3_S5_NS0_18transform_iteratorINS0_17counting_iteratorImlEEZNS1_24adjacent_difference_implIS3_Lb1ELb0EPhN6thrust23THRUST_200600_302600_NS16discard_iteratorINSD_11use_defaultEEENSD_5minusIhEEEE10hipError_tPvRmT2_T3_mT4_P12ihipStream_tbEUlmE_hEESB_NS0_8identityIvEEEESJ_SM_SN_mSO_SQ_bEUlT_E_NS1_11comp_targetILNS1_3genE5ELNS1_11target_archE942ELNS1_3gpuE9ELNS1_3repE0EEENS1_30default_config_static_selectorELNS0_4arch9wavefront6targetE1EEEvT1_,comdat
.Lfunc_end684:
	.size	_ZN7rocprim17ROCPRIM_400000_NS6detail17trampoline_kernelINS0_14default_configENS1_25transform_config_selectorIhLb0EEEZNS1_14transform_implILb0ES3_S5_NS0_18transform_iteratorINS0_17counting_iteratorImlEEZNS1_24adjacent_difference_implIS3_Lb1ELb0EPhN6thrust23THRUST_200600_302600_NS16discard_iteratorINSD_11use_defaultEEENSD_5minusIhEEEE10hipError_tPvRmT2_T3_mT4_P12ihipStream_tbEUlmE_hEESB_NS0_8identityIvEEEESJ_SM_SN_mSO_SQ_bEUlT_E_NS1_11comp_targetILNS1_3genE5ELNS1_11target_archE942ELNS1_3gpuE9ELNS1_3repE0EEENS1_30default_config_static_selectorELNS0_4arch9wavefront6targetE1EEEvT1_, .Lfunc_end684-_ZN7rocprim17ROCPRIM_400000_NS6detail17trampoline_kernelINS0_14default_configENS1_25transform_config_selectorIhLb0EEEZNS1_14transform_implILb0ES3_S5_NS0_18transform_iteratorINS0_17counting_iteratorImlEEZNS1_24adjacent_difference_implIS3_Lb1ELb0EPhN6thrust23THRUST_200600_302600_NS16discard_iteratorINSD_11use_defaultEEENSD_5minusIhEEEE10hipError_tPvRmT2_T3_mT4_P12ihipStream_tbEUlmE_hEESB_NS0_8identityIvEEEESJ_SM_SN_mSO_SQ_bEUlT_E_NS1_11comp_targetILNS1_3genE5ELNS1_11target_archE942ELNS1_3gpuE9ELNS1_3repE0EEENS1_30default_config_static_selectorELNS0_4arch9wavefront6targetE1EEEvT1_
                                        ; -- End function
	.section	.AMDGPU.csdata,"",@progbits
; Kernel info:
; codeLenInByte = 0
; NumSgprs: 4
; NumVgprs: 0
; NumAgprs: 0
; TotalNumVgprs: 0
; ScratchSize: 0
; MemoryBound: 0
; FloatMode: 240
; IeeeMode: 1
; LDSByteSize: 0 bytes/workgroup (compile time only)
; SGPRBlocks: 0
; VGPRBlocks: 0
; NumSGPRsForWavesPerEU: 4
; NumVGPRsForWavesPerEU: 1
; AccumOffset: 4
; Occupancy: 8
; WaveLimiterHint : 0
; COMPUTE_PGM_RSRC2:SCRATCH_EN: 0
; COMPUTE_PGM_RSRC2:USER_SGPR: 6
; COMPUTE_PGM_RSRC2:TRAP_HANDLER: 0
; COMPUTE_PGM_RSRC2:TGID_X_EN: 1
; COMPUTE_PGM_RSRC2:TGID_Y_EN: 0
; COMPUTE_PGM_RSRC2:TGID_Z_EN: 0
; COMPUTE_PGM_RSRC2:TIDIG_COMP_CNT: 0
; COMPUTE_PGM_RSRC3_GFX90A:ACCUM_OFFSET: 0
; COMPUTE_PGM_RSRC3_GFX90A:TG_SPLIT: 0
	.section	.text._ZN7rocprim17ROCPRIM_400000_NS6detail17trampoline_kernelINS0_14default_configENS1_25transform_config_selectorIhLb0EEEZNS1_14transform_implILb0ES3_S5_NS0_18transform_iteratorINS0_17counting_iteratorImlEEZNS1_24adjacent_difference_implIS3_Lb1ELb0EPhN6thrust23THRUST_200600_302600_NS16discard_iteratorINSD_11use_defaultEEENSD_5minusIhEEEE10hipError_tPvRmT2_T3_mT4_P12ihipStream_tbEUlmE_hEESB_NS0_8identityIvEEEESJ_SM_SN_mSO_SQ_bEUlT_E_NS1_11comp_targetILNS1_3genE4ELNS1_11target_archE910ELNS1_3gpuE8ELNS1_3repE0EEENS1_30default_config_static_selectorELNS0_4arch9wavefront6targetE1EEEvT1_,"axG",@progbits,_ZN7rocprim17ROCPRIM_400000_NS6detail17trampoline_kernelINS0_14default_configENS1_25transform_config_selectorIhLb0EEEZNS1_14transform_implILb0ES3_S5_NS0_18transform_iteratorINS0_17counting_iteratorImlEEZNS1_24adjacent_difference_implIS3_Lb1ELb0EPhN6thrust23THRUST_200600_302600_NS16discard_iteratorINSD_11use_defaultEEENSD_5minusIhEEEE10hipError_tPvRmT2_T3_mT4_P12ihipStream_tbEUlmE_hEESB_NS0_8identityIvEEEESJ_SM_SN_mSO_SQ_bEUlT_E_NS1_11comp_targetILNS1_3genE4ELNS1_11target_archE910ELNS1_3gpuE8ELNS1_3repE0EEENS1_30default_config_static_selectorELNS0_4arch9wavefront6targetE1EEEvT1_,comdat
	.protected	_ZN7rocprim17ROCPRIM_400000_NS6detail17trampoline_kernelINS0_14default_configENS1_25transform_config_selectorIhLb0EEEZNS1_14transform_implILb0ES3_S5_NS0_18transform_iteratorINS0_17counting_iteratorImlEEZNS1_24adjacent_difference_implIS3_Lb1ELb0EPhN6thrust23THRUST_200600_302600_NS16discard_iteratorINSD_11use_defaultEEENSD_5minusIhEEEE10hipError_tPvRmT2_T3_mT4_P12ihipStream_tbEUlmE_hEESB_NS0_8identityIvEEEESJ_SM_SN_mSO_SQ_bEUlT_E_NS1_11comp_targetILNS1_3genE4ELNS1_11target_archE910ELNS1_3gpuE8ELNS1_3repE0EEENS1_30default_config_static_selectorELNS0_4arch9wavefront6targetE1EEEvT1_ ; -- Begin function _ZN7rocprim17ROCPRIM_400000_NS6detail17trampoline_kernelINS0_14default_configENS1_25transform_config_selectorIhLb0EEEZNS1_14transform_implILb0ES3_S5_NS0_18transform_iteratorINS0_17counting_iteratorImlEEZNS1_24adjacent_difference_implIS3_Lb1ELb0EPhN6thrust23THRUST_200600_302600_NS16discard_iteratorINSD_11use_defaultEEENSD_5minusIhEEEE10hipError_tPvRmT2_T3_mT4_P12ihipStream_tbEUlmE_hEESB_NS0_8identityIvEEEESJ_SM_SN_mSO_SQ_bEUlT_E_NS1_11comp_targetILNS1_3genE4ELNS1_11target_archE910ELNS1_3gpuE8ELNS1_3repE0EEENS1_30default_config_static_selectorELNS0_4arch9wavefront6targetE1EEEvT1_
	.globl	_ZN7rocprim17ROCPRIM_400000_NS6detail17trampoline_kernelINS0_14default_configENS1_25transform_config_selectorIhLb0EEEZNS1_14transform_implILb0ES3_S5_NS0_18transform_iteratorINS0_17counting_iteratorImlEEZNS1_24adjacent_difference_implIS3_Lb1ELb0EPhN6thrust23THRUST_200600_302600_NS16discard_iteratorINSD_11use_defaultEEENSD_5minusIhEEEE10hipError_tPvRmT2_T3_mT4_P12ihipStream_tbEUlmE_hEESB_NS0_8identityIvEEEESJ_SM_SN_mSO_SQ_bEUlT_E_NS1_11comp_targetILNS1_3genE4ELNS1_11target_archE910ELNS1_3gpuE8ELNS1_3repE0EEENS1_30default_config_static_selectorELNS0_4arch9wavefront6targetE1EEEvT1_
	.p2align	8
	.type	_ZN7rocprim17ROCPRIM_400000_NS6detail17trampoline_kernelINS0_14default_configENS1_25transform_config_selectorIhLb0EEEZNS1_14transform_implILb0ES3_S5_NS0_18transform_iteratorINS0_17counting_iteratorImlEEZNS1_24adjacent_difference_implIS3_Lb1ELb0EPhN6thrust23THRUST_200600_302600_NS16discard_iteratorINSD_11use_defaultEEENSD_5minusIhEEEE10hipError_tPvRmT2_T3_mT4_P12ihipStream_tbEUlmE_hEESB_NS0_8identityIvEEEESJ_SM_SN_mSO_SQ_bEUlT_E_NS1_11comp_targetILNS1_3genE4ELNS1_11target_archE910ELNS1_3gpuE8ELNS1_3repE0EEENS1_30default_config_static_selectorELNS0_4arch9wavefront6targetE1EEEvT1_,@function
_ZN7rocprim17ROCPRIM_400000_NS6detail17trampoline_kernelINS0_14default_configENS1_25transform_config_selectorIhLb0EEEZNS1_14transform_implILb0ES3_S5_NS0_18transform_iteratorINS0_17counting_iteratorImlEEZNS1_24adjacent_difference_implIS3_Lb1ELb0EPhN6thrust23THRUST_200600_302600_NS16discard_iteratorINSD_11use_defaultEEENSD_5minusIhEEEE10hipError_tPvRmT2_T3_mT4_P12ihipStream_tbEUlmE_hEESB_NS0_8identityIvEEEESJ_SM_SN_mSO_SQ_bEUlT_E_NS1_11comp_targetILNS1_3genE4ELNS1_11target_archE910ELNS1_3gpuE8ELNS1_3repE0EEENS1_30default_config_static_selectorELNS0_4arch9wavefront6targetE1EEEvT1_: ; @_ZN7rocprim17ROCPRIM_400000_NS6detail17trampoline_kernelINS0_14default_configENS1_25transform_config_selectorIhLb0EEEZNS1_14transform_implILb0ES3_S5_NS0_18transform_iteratorINS0_17counting_iteratorImlEEZNS1_24adjacent_difference_implIS3_Lb1ELb0EPhN6thrust23THRUST_200600_302600_NS16discard_iteratorINSD_11use_defaultEEENSD_5minusIhEEEE10hipError_tPvRmT2_T3_mT4_P12ihipStream_tbEUlmE_hEESB_NS0_8identityIvEEEESJ_SM_SN_mSO_SQ_bEUlT_E_NS1_11comp_targetILNS1_3genE4ELNS1_11target_archE910ELNS1_3gpuE8ELNS1_3repE0EEENS1_30default_config_static_selectorELNS0_4arch9wavefront6targetE1EEEvT1_
; %bb.0:
	s_load_dwordx4 s[0:3], s[4:5], 0x18
	s_load_dwordx2 s[8:9], s[4:5], 0x28
	s_waitcnt lgkmcnt(0)
	s_load_dword s3, s[4:5], 0x38
	s_load_dwordx4 s[36:39], s[4:5], 0x0
	s_load_dword s40, s[4:5], 0x10
	s_mov_b32 s41, 0
	s_add_u32 s33, s8, s0
	s_addc_u32 s42, s9, s1
	s_lshl_b32 s43, s6, 10
	s_waitcnt lgkmcnt(0)
	s_add_i32 s3, s3, -1
	s_add_u32 s4, s36, s43
	s_addc_u32 s5, s37, 0
	s_add_u32 s44, s4, s0
	s_addc_u32 s45, s5, s1
	s_cmp_lg_u32 s6, s3
	s_cbranch_scc0 .LBB685_2
; %bb.1:
	v_add_co_u32_e32 v4, vcc, s44, v0
	v_pk_mov_b32 v[2:3], s[38:39], s[38:39] op_sel:[0,1]
	v_mov_b32_e32 v1, s45
	v_mad_u64_u32 v[2:3], s[0:1], v4, s40, v[2:3]
	v_addc_co_u32_e32 v1, vcc, 0, v1, vcc
	v_mov_b32_e32 v4, v3
	v_mad_u64_u32 v[4:5], s[0:1], v1, s40, v[4:5]
	v_mov_b32_e32 v3, v4
	s_lshl_b64 s[0:1], s[40:41], 6
	global_load_ubyte v1, v[2:3], off
	v_mov_b32_e32 v10, s1
	v_add_co_u32_e32 v2, vcc, s0, v2
	v_addc_co_u32_e32 v3, vcc, v3, v10, vcc
	v_add_co_u32_e32 v4, vcc, s0, v2
	v_addc_co_u32_e32 v5, vcc, v3, v10, vcc
	v_add_co_u32_e32 v6, vcc, s0, v4
	v_addc_co_u32_e32 v7, vcc, v5, v10, vcc
	v_add_co_u32_e32 v8, vcc, s0, v6
	v_addc_co_u32_e32 v9, vcc, v7, v10, vcc
	global_load_ubyte v11, v[2:3], off
	global_load_ubyte v12, v[4:5], off
	;; [unrolled: 1-line block ×4, first 2 shown]
	v_add_co_u32_e32 v2, vcc, s0, v8
	v_addc_co_u32_e32 v3, vcc, v9, v10, vcc
	global_load_ubyte v5, v[2:3], off
	v_add_co_u32_e32 v2, vcc, s0, v2
	v_addc_co_u32_e32 v3, vcc, v3, v10, vcc
	global_load_ubyte v6, v[2:3], off
	v_add_co_u32_e32 v2, vcc, s0, v2
	v_addc_co_u32_e32 v3, vcc, v3, v10, vcc
	global_load_ubyte v7, v[2:3], off
	v_add_co_u32_e32 v2, vcc, s0, v2
	v_addc_co_u32_e32 v3, vcc, v3, v10, vcc
	global_load_ubyte v8, v[2:3], off
	v_add_co_u32_e32 v2, vcc, s0, v2
	v_addc_co_u32_e32 v3, vcc, v3, v10, vcc
	global_load_ubyte v9, v[2:3], off
	v_add_co_u32_e32 v2, vcc, s0, v2
	v_addc_co_u32_e32 v3, vcc, v3, v10, vcc
	global_load_ubyte v15, v[2:3], off
	v_add_co_u32_e32 v2, vcc, s0, v2
	v_addc_co_u32_e32 v3, vcc, v3, v10, vcc
	global_load_ubyte v16, v[2:3], off
	v_add_co_u32_e32 v2, vcc, s0, v2
	v_addc_co_u32_e32 v3, vcc, v3, v10, vcc
	global_load_ubyte v17, v[2:3], off
	v_add_co_u32_e32 v2, vcc, s0, v2
	v_addc_co_u32_e32 v3, vcc, v3, v10, vcc
	global_load_ubyte v18, v[2:3], off
	v_add_co_u32_e32 v2, vcc, s0, v2
	v_addc_co_u32_e32 v3, vcc, v3, v10, vcc
	global_load_ubyte v19, v[2:3], off
	v_add_co_u32_e32 v2, vcc, s0, v2
	v_addc_co_u32_e32 v3, vcc, v3, v10, vcc
	global_load_ubyte v4, v[2:3], off
	s_add_u32 s0, s33, s43
	s_addc_u32 s1, s42, 0
	v_mov_b32_e32 v3, s1
	v_add_co_u32_e32 v2, vcc, s0, v0
	v_addc_co_u32_e32 v3, vcc, 0, v3, vcc
	s_mov_b64 s[34:35], -1
	s_waitcnt vmcnt(15)
	global_store_byte v0, v1, s[0:1]
	s_waitcnt vmcnt(15)
	global_store_byte v0, v11, s[0:1] offset:64
	s_waitcnt vmcnt(15)
	global_store_byte v0, v12, s[0:1] offset:128
	s_waitcnt vmcnt(15)
	global_store_byte v0, v13, s[0:1] offset:192
	s_waitcnt vmcnt(15)
	global_store_byte v0, v14, s[0:1] offset:256
	s_waitcnt vmcnt(15)
	global_store_byte v0, v5, s[0:1] offset:320
	s_waitcnt vmcnt(15)
	global_store_byte v0, v6, s[0:1] offset:384
	s_waitcnt vmcnt(15)
	global_store_byte v0, v7, s[0:1] offset:448
	s_waitcnt vmcnt(15)
	global_store_byte v0, v8, s[0:1] offset:512
	s_waitcnt vmcnt(15)
	global_store_byte v0, v9, s[0:1] offset:576
	s_waitcnt vmcnt(15)
	global_store_byte v0, v15, s[0:1] offset:640
	s_waitcnt vmcnt(15)
	global_store_byte v0, v16, s[0:1] offset:704
	s_waitcnt vmcnt(15)
	global_store_byte v0, v17, s[0:1] offset:768
	s_waitcnt vmcnt(15)
	global_store_byte v0, v18, s[0:1] offset:832
	s_waitcnt vmcnt(15)
	global_store_byte v0, v19, s[0:1] offset:896
	s_cbranch_execz .LBB685_3
	s_branch .LBB685_68
.LBB685_2:
	s_mov_b64 s[34:35], 0
                                        ; implicit-def: $vgpr4
                                        ; implicit-def: $vgpr2_vgpr3
.LBB685_3:
	s_sub_i32 s36, s2, s43
	v_cmp_gt_u32_e32 vcc, s36, v0
                                        ; implicit-def: $vgpr1
	s_and_saveexec_b64 s[2:3], vcc
	s_cbranch_execz .LBB685_5
; %bb.4:
	v_mov_b32_e32 v1, s45
	s_waitcnt vmcnt(15)
	v_add_co_u32_e64 v4, s[0:1], s44, v0
	v_pk_mov_b32 v[2:3], s[38:39], s[38:39] op_sel:[0,1]
	v_addc_co_u32_e64 v1, s[0:1], 0, v1, s[0:1]
	v_mad_u64_u32 v[2:3], s[0:1], v4, s40, v[2:3]
	v_mov_b32_e32 v4, v3
	v_mad_u64_u32 v[4:5], s[0:1], v1, s40, v[4:5]
	v_mov_b32_e32 v3, v4
	global_load_ubyte v1, v[2:3], off
.LBB685_5:
	s_or_b64 exec, exec, s[2:3]
	v_or_b32_e32 v3, 64, v0
	v_cmp_gt_u32_e64 s[0:1], s36, v3
                                        ; implicit-def: $vgpr2
	s_and_saveexec_b64 s[4:5], s[0:1]
	s_cbranch_execz .LBB685_7
; %bb.6:
	v_mov_b32_e32 v2, s45
	s_waitcnt vmcnt(15)
	v_add_co_u32_e64 v4, s[2:3], s44, v3
	v_addc_co_u32_e64 v5, s[2:3], 0, v2, s[2:3]
	v_pk_mov_b32 v[2:3], s[38:39], s[38:39] op_sel:[0,1]
	v_mad_u64_u32 v[2:3], s[2:3], v4, s40, v[2:3]
	v_mov_b32_e32 v4, v3
	v_mad_u64_u32 v[4:5], s[2:3], v5, s40, v[4:5]
	v_mov_b32_e32 v3, v4
	global_load_ubyte v2, v[2:3], off
.LBB685_7:
	s_or_b64 exec, exec, s[4:5]
	s_waitcnt vmcnt(15)
	v_or_b32_e32 v4, 0x80, v0
	v_cmp_gt_u32_e64 s[2:3], s36, v4
                                        ; implicit-def: $vgpr3
	s_and_saveexec_b64 s[6:7], s[2:3]
	s_cbranch_execz .LBB685_9
; %bb.8:
	v_mov_b32_e32 v3, s45
	v_add_co_u32_e64 v6, s[4:5], s44, v4
	v_pk_mov_b32 v[4:5], s[38:39], s[38:39] op_sel:[0,1]
	v_addc_co_u32_e64 v3, s[4:5], 0, v3, s[4:5]
	v_mad_u64_u32 v[4:5], s[4:5], v6, s40, v[4:5]
	v_mov_b32_e32 v6, v5
	v_mad_u64_u32 v[6:7], s[4:5], v3, s40, v[6:7]
	v_mov_b32_e32 v5, v6
	global_load_ubyte v3, v[4:5], off
.LBB685_9:
	s_or_b64 exec, exec, s[6:7]
	v_or_b32_e32 v5, 0xc0, v0
	v_cmp_gt_u32_e64 s[4:5], s36, v5
                                        ; implicit-def: $vgpr4
	s_and_saveexec_b64 s[8:9], s[4:5]
	s_cbranch_execz .LBB685_11
; %bb.10:
	v_mov_b32_e32 v4, s45
	v_add_co_u32_e64 v6, s[6:7], s44, v5
	v_addc_co_u32_e64 v7, s[6:7], 0, v4, s[6:7]
	v_pk_mov_b32 v[4:5], s[38:39], s[38:39] op_sel:[0,1]
	v_mad_u64_u32 v[4:5], s[6:7], v6, s40, v[4:5]
	v_mov_b32_e32 v6, v5
	v_mad_u64_u32 v[6:7], s[6:7], v7, s40, v[6:7]
	v_mov_b32_e32 v5, v6
	global_load_ubyte v4, v[4:5], off
.LBB685_11:
	s_or_b64 exec, exec, s[8:9]
	v_or_b32_e32 v6, 0x100, v0
	v_cmp_gt_u32_e64 s[6:7], s36, v6
                                        ; implicit-def: $vgpr5
	s_and_saveexec_b64 s[10:11], s[6:7]
	s_cbranch_execz .LBB685_13
; %bb.12:
	v_mov_b32_e32 v5, s45
	v_add_co_u32_e64 v8, s[8:9], s44, v6
	v_pk_mov_b32 v[6:7], s[38:39], s[38:39] op_sel:[0,1]
	v_addc_co_u32_e64 v5, s[8:9], 0, v5, s[8:9]
	v_mad_u64_u32 v[6:7], s[8:9], v8, s40, v[6:7]
	v_mov_b32_e32 v8, v7
	v_mad_u64_u32 v[8:9], s[8:9], v5, s40, v[8:9]
	v_mov_b32_e32 v7, v8
	global_load_ubyte v5, v[6:7], off
.LBB685_13:
	s_or_b64 exec, exec, s[10:11]
	v_or_b32_e32 v7, 0x140, v0
	v_cmp_gt_u32_e64 s[8:9], s36, v7
                                        ; implicit-def: $vgpr6
	s_and_saveexec_b64 s[12:13], s[8:9]
	s_cbranch_execz .LBB685_15
; %bb.14:
	v_mov_b32_e32 v6, s45
	v_add_co_u32_e64 v8, s[10:11], s44, v7
	v_addc_co_u32_e64 v9, s[10:11], 0, v6, s[10:11]
	v_pk_mov_b32 v[6:7], s[38:39], s[38:39] op_sel:[0,1]
	v_mad_u64_u32 v[6:7], s[10:11], v8, s40, v[6:7]
	v_mov_b32_e32 v8, v7
	v_mad_u64_u32 v[8:9], s[10:11], v9, s40, v[8:9]
	v_mov_b32_e32 v7, v8
	global_load_ubyte v6, v[6:7], off
.LBB685_15:
	s_or_b64 exec, exec, s[12:13]
	v_or_b32_e32 v8, 0x180, v0
	v_cmp_gt_u32_e64 s[10:11], s36, v8
                                        ; implicit-def: $vgpr7
	s_and_saveexec_b64 s[14:15], s[10:11]
	s_cbranch_execz .LBB685_17
; %bb.16:
	v_mov_b32_e32 v7, s45
	v_add_co_u32_e64 v10, s[12:13], s44, v8
	v_pk_mov_b32 v[8:9], s[38:39], s[38:39] op_sel:[0,1]
	v_addc_co_u32_e64 v7, s[12:13], 0, v7, s[12:13]
	v_mad_u64_u32 v[8:9], s[12:13], v10, s40, v[8:9]
	v_mov_b32_e32 v10, v9
	v_mad_u64_u32 v[10:11], s[12:13], v7, s40, v[10:11]
	v_mov_b32_e32 v9, v10
	global_load_ubyte v7, v[8:9], off
.LBB685_17:
	s_or_b64 exec, exec, s[14:15]
	v_or_b32_e32 v9, 0x1c0, v0
	v_cmp_gt_u32_e64 s[12:13], s36, v9
                                        ; implicit-def: $vgpr8
	s_and_saveexec_b64 s[16:17], s[12:13]
	s_cbranch_execz .LBB685_19
; %bb.18:
	v_mov_b32_e32 v8, s45
	v_add_co_u32_e64 v10, s[14:15], s44, v9
	v_addc_co_u32_e64 v11, s[14:15], 0, v8, s[14:15]
	v_pk_mov_b32 v[8:9], s[38:39], s[38:39] op_sel:[0,1]
	v_mad_u64_u32 v[8:9], s[14:15], v10, s40, v[8:9]
	v_mov_b32_e32 v10, v9
	v_mad_u64_u32 v[10:11], s[14:15], v11, s40, v[10:11]
	v_mov_b32_e32 v9, v10
	global_load_ubyte v8, v[8:9], off
.LBB685_19:
	s_or_b64 exec, exec, s[16:17]
	v_or_b32_e32 v10, 0x200, v0
	v_cmp_gt_u32_e64 s[14:15], s36, v10
                                        ; implicit-def: $vgpr9
	s_and_saveexec_b64 s[18:19], s[14:15]
	s_cbranch_execz .LBB685_21
; %bb.20:
	v_mov_b32_e32 v9, s45
	v_add_co_u32_e64 v12, s[16:17], s44, v10
	v_pk_mov_b32 v[10:11], s[38:39], s[38:39] op_sel:[0,1]
	v_addc_co_u32_e64 v9, s[16:17], 0, v9, s[16:17]
	v_mad_u64_u32 v[10:11], s[16:17], v12, s40, v[10:11]
	v_mov_b32_e32 v12, v11
	v_mad_u64_u32 v[12:13], s[16:17], v9, s40, v[12:13]
	v_mov_b32_e32 v11, v12
	global_load_ubyte v9, v[10:11], off
.LBB685_21:
	s_or_b64 exec, exec, s[18:19]
	v_or_b32_e32 v11, 0x240, v0
	v_cmp_gt_u32_e64 s[16:17], s36, v11
                                        ; implicit-def: $vgpr10
	s_and_saveexec_b64 s[20:21], s[16:17]
	s_cbranch_execz .LBB685_23
; %bb.22:
	v_mov_b32_e32 v10, s45
	v_add_co_u32_e64 v12, s[18:19], s44, v11
	v_addc_co_u32_e64 v13, s[18:19], 0, v10, s[18:19]
	v_pk_mov_b32 v[10:11], s[38:39], s[38:39] op_sel:[0,1]
	v_mad_u64_u32 v[10:11], s[18:19], v12, s40, v[10:11]
	v_mov_b32_e32 v12, v11
	v_mad_u64_u32 v[12:13], s[18:19], v13, s40, v[12:13]
	v_mov_b32_e32 v11, v12
	global_load_ubyte v10, v[10:11], off
.LBB685_23:
	s_or_b64 exec, exec, s[20:21]
	v_or_b32_e32 v12, 0x280, v0
	v_cmp_gt_u32_e64 s[18:19], s36, v12
                                        ; implicit-def: $vgpr11
	s_and_saveexec_b64 s[22:23], s[18:19]
	s_cbranch_execz .LBB685_25
; %bb.24:
	v_mov_b32_e32 v11, s45
	v_add_co_u32_e64 v14, s[20:21], s44, v12
	v_pk_mov_b32 v[12:13], s[38:39], s[38:39] op_sel:[0,1]
	v_addc_co_u32_e64 v11, s[20:21], 0, v11, s[20:21]
	v_mad_u64_u32 v[12:13], s[20:21], v14, s40, v[12:13]
	v_mov_b32_e32 v14, v13
	v_mad_u64_u32 v[14:15], s[20:21], v11, s40, v[14:15]
	v_mov_b32_e32 v13, v14
	global_load_ubyte v11, v[12:13], off
.LBB685_25:
	s_or_b64 exec, exec, s[22:23]
	v_or_b32_e32 v13, 0x2c0, v0
	v_cmp_gt_u32_e64 s[20:21], s36, v13
                                        ; implicit-def: $vgpr12
	s_and_saveexec_b64 s[24:25], s[20:21]
	s_cbranch_execz .LBB685_27
; %bb.26:
	v_mov_b32_e32 v12, s45
	v_add_co_u32_e64 v14, s[22:23], s44, v13
	v_addc_co_u32_e64 v15, s[22:23], 0, v12, s[22:23]
	v_pk_mov_b32 v[12:13], s[38:39], s[38:39] op_sel:[0,1]
	v_mad_u64_u32 v[12:13], s[22:23], v14, s40, v[12:13]
	v_mov_b32_e32 v14, v13
	v_mad_u64_u32 v[14:15], s[22:23], v15, s40, v[14:15]
	v_mov_b32_e32 v13, v14
	global_load_ubyte v12, v[12:13], off
.LBB685_27:
	s_or_b64 exec, exec, s[24:25]
	v_or_b32_e32 v14, 0x300, v0
	v_cmp_gt_u32_e64 s[22:23], s36, v14
                                        ; implicit-def: $vgpr13
	s_and_saveexec_b64 s[26:27], s[22:23]
	s_cbranch_execz .LBB685_29
; %bb.28:
	v_mov_b32_e32 v13, s45
	v_add_co_u32_e64 v16, s[24:25], s44, v14
	v_pk_mov_b32 v[14:15], s[38:39], s[38:39] op_sel:[0,1]
	v_addc_co_u32_e64 v13, s[24:25], 0, v13, s[24:25]
	v_mad_u64_u32 v[14:15], s[24:25], v16, s40, v[14:15]
	v_mov_b32_e32 v16, v15
	v_mad_u64_u32 v[16:17], s[24:25], v13, s40, v[16:17]
	v_mov_b32_e32 v15, v16
	global_load_ubyte v13, v[14:15], off
.LBB685_29:
	s_or_b64 exec, exec, s[26:27]
	v_or_b32_e32 v15, 0x340, v0
	v_cmp_gt_u32_e64 s[24:25], s36, v15
                                        ; implicit-def: $vgpr14
	s_and_saveexec_b64 s[28:29], s[24:25]
	s_cbranch_execz .LBB685_31
; %bb.30:
	v_mov_b32_e32 v14, s45
	v_add_co_u32_e64 v16, s[26:27], s44, v15
	v_addc_co_u32_e64 v17, s[26:27], 0, v14, s[26:27]
	v_pk_mov_b32 v[14:15], s[38:39], s[38:39] op_sel:[0,1]
	v_mad_u64_u32 v[14:15], s[26:27], v16, s40, v[14:15]
	v_mov_b32_e32 v16, v15
	v_mad_u64_u32 v[16:17], s[26:27], v17, s40, v[16:17]
	v_mov_b32_e32 v15, v16
	global_load_ubyte v14, v[14:15], off
.LBB685_31:
	s_or_b64 exec, exec, s[28:29]
	v_or_b32_e32 v16, 0x380, v0
	v_cmp_gt_u32_e64 s[26:27], s36, v16
                                        ; implicit-def: $vgpr15
	s_and_saveexec_b64 s[30:31], s[26:27]
	s_cbranch_execz .LBB685_33
; %bb.32:
	v_mov_b32_e32 v15, s45
	v_add_co_u32_e64 v18, s[28:29], s44, v16
	v_pk_mov_b32 v[16:17], s[38:39], s[38:39] op_sel:[0,1]
	v_addc_co_u32_e64 v15, s[28:29], 0, v15, s[28:29]
	v_mad_u64_u32 v[16:17], s[28:29], v18, s40, v[16:17]
	v_mov_b32_e32 v18, v17
	v_mad_u64_u32 v[18:19], s[28:29], v15, s40, v[18:19]
	v_mov_b32_e32 v17, v18
	global_load_ubyte v15, v[16:17], off
.LBB685_33:
	s_or_b64 exec, exec, s[30:31]
	v_or_b32_e32 v17, 0x3c0, v0
	v_cmp_gt_u32_e64 s[28:29], s36, v17
                                        ; implicit-def: $vgpr16
	s_and_saveexec_b64 s[36:37], s[28:29]
	s_cbranch_execz .LBB685_35
; %bb.34:
	v_mov_b32_e32 v16, s45
	v_add_co_u32_e64 v18, s[30:31], s44, v17
	v_addc_co_u32_e64 v19, s[30:31], 0, v16, s[30:31]
	v_pk_mov_b32 v[16:17], s[38:39], s[38:39] op_sel:[0,1]
	v_mad_u64_u32 v[16:17], s[30:31], v18, s40, v[16:17]
	v_mov_b32_e32 v18, v17
	v_mad_u64_u32 v[18:19], s[30:31], v19, s40, v[18:19]
	v_mov_b32_e32 v17, v18
	global_load_ubyte v16, v[16:17], off
.LBB685_35:
	s_or_b64 exec, exec, s[36:37]
	s_waitcnt vmcnt(0)
	v_lshlrev_b16_e32 v2, 8, v2
	v_or_b32_sdwa v1, v1, v2 dst_sel:DWORD dst_unused:UNUSED_PAD src0_sel:BYTE_0 src1_sel:DWORD
	v_lshlrev_b16_e32 v2, 8, v4
	v_or_b32_sdwa v2, v3, v2 dst_sel:WORD_1 dst_unused:UNUSED_PAD src0_sel:BYTE_0 src1_sel:DWORD
	v_or_b32_sdwa v17, v1, v2 dst_sel:DWORD dst_unused:UNUSED_PAD src0_sel:WORD_0 src1_sel:DWORD
	v_lshlrev_b16_e32 v1, 8, v6
	v_lshlrev_b16_e32 v2, 8, v8
	v_or_b32_sdwa v1, v5, v1 dst_sel:DWORD dst_unused:UNUSED_PAD src0_sel:BYTE_0 src1_sel:DWORD
	v_or_b32_sdwa v2, v7, v2 dst_sel:WORD_1 dst_unused:UNUSED_PAD src0_sel:BYTE_0 src1_sel:DWORD
	v_or_b32_sdwa v5, v1, v2 dst_sel:DWORD dst_unused:UNUSED_PAD src0_sel:WORD_0 src1_sel:DWORD
	v_lshlrev_b16_e32 v1, 8, v10
	v_lshlrev_b16_e32 v2, 8, v12
	v_or_b32_sdwa v1, v9, v1 dst_sel:DWORD dst_unused:UNUSED_PAD src0_sel:BYTE_0 src1_sel:DWORD
	v_or_b32_sdwa v2, v11, v2 dst_sel:WORD_1 dst_unused:UNUSED_PAD src0_sel:BYTE_0 src1_sel:DWORD
	v_or_b32_sdwa v4, v1, v2 dst_sel:DWORD dst_unused:UNUSED_PAD src0_sel:WORD_0 src1_sel:DWORD
	v_lshlrev_b16_e32 v1, 8, v14
	v_lshlrev_b16_e32 v2, 8, v16
	s_add_u32 s30, s33, s43
	v_or_b32_sdwa v1, v13, v1 dst_sel:DWORD dst_unused:UNUSED_PAD src0_sel:BYTE_0 src1_sel:DWORD
	v_or_b32_sdwa v2, v15, v2 dst_sel:WORD_1 dst_unused:UNUSED_PAD src0_sel:BYTE_0 src1_sel:DWORD
	s_addc_u32 s31, s42, 0
	v_or_b32_sdwa v1, v1, v2 dst_sel:DWORD dst_unused:UNUSED_PAD src0_sel:WORD_0 src1_sel:DWORD
	v_mov_b32_e32 v3, s31
	v_add_co_u32_e64 v2, s[30:31], s30, v0
	v_addc_co_u32_e64 v3, s[30:31], 0, v3, s[30:31]
	s_and_saveexec_b64 s[30:31], vcc
	s_cbranch_execz .LBB685_37
; %bb.36:
	global_store_byte v[2:3], v17, off
.LBB685_37:
	s_or_b64 exec, exec, s[30:31]
	s_and_saveexec_b64 s[30:31], s[0:1]
	s_cbranch_execz .LBB685_39
; %bb.38:
	v_lshrrev_b32_e32 v0, 8, v17
	global_store_byte v[2:3], v0, off offset:64
.LBB685_39:
	s_or_b64 exec, exec, s[30:31]
	s_mov_b32 s0, 0x7060104
	v_perm_b32 v0, v17, v17, s0
	v_cndmask_b32_e64 v6, v0, v17, s[2:3]
	s_and_saveexec_b64 s[0:1], s[2:3]
	s_cbranch_execz .LBB685_41
; %bb.40:
	global_store_byte_d16_hi v[2:3], v6, off offset:128
.LBB685_41:
	s_or_b64 exec, exec, s[0:1]
	s_mov_b32 s0, 0x7020504
	v_perm_b32 v0, v0, v6, s0
	v_cndmask_b32_e64 v0, v0, v17, s[4:5]
	s_and_saveexec_b64 s[0:1], s[4:5]
	s_cbranch_execz .LBB685_43
; %bb.42:
	v_lshrrev_b32_e32 v0, 24, v0
	global_store_byte v[2:3], v0, off offset:192
.LBB685_43:
	s_or_b64 exec, exec, s[0:1]
	s_and_saveexec_b64 s[0:1], s[6:7]
	s_cbranch_execz .LBB685_45
; %bb.44:
	global_store_byte v[2:3], v5, off offset:256
.LBB685_45:
	s_or_b64 exec, exec, s[0:1]
	s_mov_b32 s0, 0x3020104
	v_perm_b32 v0, v5, v5, s0
	v_cndmask_b32_e64 v6, v0, v5, s[8:9]
	s_and_saveexec_b64 s[0:1], s[8:9]
	s_cbranch_execz .LBB685_47
; %bb.46:
	v_lshrrev_b32_e32 v7, 8, v6
	global_store_byte v[2:3], v7, off offset:320
.LBB685_47:
	s_or_b64 exec, exec, s[0:1]
	s_mov_b32 s0, 0x7060104
	v_perm_b32 v0, v0, v6, s0
	v_cndmask_b32_e64 v6, v0, v5, s[10:11]
	s_and_saveexec_b64 s[0:1], s[10:11]
	s_cbranch_execz .LBB685_49
; %bb.48:
	global_store_byte_d16_hi v[2:3], v6, off offset:384
.LBB685_49:
	s_or_b64 exec, exec, s[0:1]
	s_mov_b32 s0, 0x7020504
	v_perm_b32 v0, v0, v6, s0
	v_cndmask_b32_e64 v0, v0, v5, s[12:13]
	s_and_saveexec_b64 s[0:1], s[12:13]
	s_cbranch_execz .LBB685_51
; %bb.50:
	v_lshrrev_b32_e32 v0, 24, v0
	global_store_byte v[2:3], v0, off offset:448
.LBB685_51:
	s_or_b64 exec, exec, s[0:1]
	s_and_saveexec_b64 s[0:1], s[14:15]
	s_cbranch_execz .LBB685_53
; %bb.52:
	global_store_byte v[2:3], v4, off offset:512
.LBB685_53:
	s_or_b64 exec, exec, s[0:1]
	s_mov_b32 s0, 0x3020104
	v_perm_b32 v0, v4, v4, s0
	v_cndmask_b32_e64 v5, v0, v4, s[16:17]
	;; [unrolled: 35-line block ×3, first 2 shown]
	s_and_saveexec_b64 s[0:1], s[24:25]
	s_cbranch_execz .LBB685_63
; %bb.62:
	v_lshrrev_b32_e32 v5, 8, v4
	global_store_byte v[2:3], v5, off offset:832
.LBB685_63:
	s_or_b64 exec, exec, s[0:1]
	s_mov_b32 s0, 0x7060104
	v_perm_b32 v0, v0, v4, s0
	s_and_saveexec_b64 s[0:1], s[26:27]
	s_cbranch_execz .LBB685_65
; %bb.64:
	v_cndmask_b32_e64 v4, v0, v1, s[26:27]
	global_store_byte_d16_hi v[2:3], v4, off offset:896
.LBB685_65:
	s_or_b64 exec, exec, s[0:1]
                                        ; implicit-def: $vgpr4
	s_and_saveexec_b64 s[0:1], s[28:29]
; %bb.66:
	v_cndmask_b32_e64 v0, v0, v1, s[28:29]
	v_lshrrev_b32_e32 v4, 24, v0
	s_or_b64 s[34:35], s[34:35], exec
; %bb.67:
	s_or_b64 exec, exec, s[0:1]
.LBB685_68:
	s_and_saveexec_b64 s[0:1], s[34:35]
	s_cbranch_execnz .LBB685_70
; %bb.69:
	s_endpgm
.LBB685_70:
	s_waitcnt vmcnt(15)
	global_store_byte v[2:3], v4, off offset:960
	s_endpgm
	.section	.rodata,"a",@progbits
	.p2align	6, 0x0
	.amdhsa_kernel _ZN7rocprim17ROCPRIM_400000_NS6detail17trampoline_kernelINS0_14default_configENS1_25transform_config_selectorIhLb0EEEZNS1_14transform_implILb0ES3_S5_NS0_18transform_iteratorINS0_17counting_iteratorImlEEZNS1_24adjacent_difference_implIS3_Lb1ELb0EPhN6thrust23THRUST_200600_302600_NS16discard_iteratorINSD_11use_defaultEEENSD_5minusIhEEEE10hipError_tPvRmT2_T3_mT4_P12ihipStream_tbEUlmE_hEESB_NS0_8identityIvEEEESJ_SM_SN_mSO_SQ_bEUlT_E_NS1_11comp_targetILNS1_3genE4ELNS1_11target_archE910ELNS1_3gpuE8ELNS1_3repE0EEENS1_30default_config_static_selectorELNS0_4arch9wavefront6targetE1EEEvT1_
		.amdhsa_group_segment_fixed_size 0
		.amdhsa_private_segment_fixed_size 0
		.amdhsa_kernarg_size 312
		.amdhsa_user_sgpr_count 6
		.amdhsa_user_sgpr_private_segment_buffer 1
		.amdhsa_user_sgpr_dispatch_ptr 0
		.amdhsa_user_sgpr_queue_ptr 0
		.amdhsa_user_sgpr_kernarg_segment_ptr 1
		.amdhsa_user_sgpr_dispatch_id 0
		.amdhsa_user_sgpr_flat_scratch_init 0
		.amdhsa_user_sgpr_kernarg_preload_length 0
		.amdhsa_user_sgpr_kernarg_preload_offset 0
		.amdhsa_user_sgpr_private_segment_size 0
		.amdhsa_uses_dynamic_stack 0
		.amdhsa_system_sgpr_private_segment_wavefront_offset 0
		.amdhsa_system_sgpr_workgroup_id_x 1
		.amdhsa_system_sgpr_workgroup_id_y 0
		.amdhsa_system_sgpr_workgroup_id_z 0
		.amdhsa_system_sgpr_workgroup_info 0
		.amdhsa_system_vgpr_workitem_id 0
		.amdhsa_next_free_vgpr 20
		.amdhsa_next_free_sgpr 46
		.amdhsa_accum_offset 20
		.amdhsa_reserve_vcc 1
		.amdhsa_reserve_flat_scratch 0
		.amdhsa_float_round_mode_32 0
		.amdhsa_float_round_mode_16_64 0
		.amdhsa_float_denorm_mode_32 3
		.amdhsa_float_denorm_mode_16_64 3
		.amdhsa_dx10_clamp 1
		.amdhsa_ieee_mode 1
		.amdhsa_fp16_overflow 0
		.amdhsa_tg_split 0
		.amdhsa_exception_fp_ieee_invalid_op 0
		.amdhsa_exception_fp_denorm_src 0
		.amdhsa_exception_fp_ieee_div_zero 0
		.amdhsa_exception_fp_ieee_overflow 0
		.amdhsa_exception_fp_ieee_underflow 0
		.amdhsa_exception_fp_ieee_inexact 0
		.amdhsa_exception_int_div_zero 0
	.end_amdhsa_kernel
	.section	.text._ZN7rocprim17ROCPRIM_400000_NS6detail17trampoline_kernelINS0_14default_configENS1_25transform_config_selectorIhLb0EEEZNS1_14transform_implILb0ES3_S5_NS0_18transform_iteratorINS0_17counting_iteratorImlEEZNS1_24adjacent_difference_implIS3_Lb1ELb0EPhN6thrust23THRUST_200600_302600_NS16discard_iteratorINSD_11use_defaultEEENSD_5minusIhEEEE10hipError_tPvRmT2_T3_mT4_P12ihipStream_tbEUlmE_hEESB_NS0_8identityIvEEEESJ_SM_SN_mSO_SQ_bEUlT_E_NS1_11comp_targetILNS1_3genE4ELNS1_11target_archE910ELNS1_3gpuE8ELNS1_3repE0EEENS1_30default_config_static_selectorELNS0_4arch9wavefront6targetE1EEEvT1_,"axG",@progbits,_ZN7rocprim17ROCPRIM_400000_NS6detail17trampoline_kernelINS0_14default_configENS1_25transform_config_selectorIhLb0EEEZNS1_14transform_implILb0ES3_S5_NS0_18transform_iteratorINS0_17counting_iteratorImlEEZNS1_24adjacent_difference_implIS3_Lb1ELb0EPhN6thrust23THRUST_200600_302600_NS16discard_iteratorINSD_11use_defaultEEENSD_5minusIhEEEE10hipError_tPvRmT2_T3_mT4_P12ihipStream_tbEUlmE_hEESB_NS0_8identityIvEEEESJ_SM_SN_mSO_SQ_bEUlT_E_NS1_11comp_targetILNS1_3genE4ELNS1_11target_archE910ELNS1_3gpuE8ELNS1_3repE0EEENS1_30default_config_static_selectorELNS0_4arch9wavefront6targetE1EEEvT1_,comdat
.Lfunc_end685:
	.size	_ZN7rocprim17ROCPRIM_400000_NS6detail17trampoline_kernelINS0_14default_configENS1_25transform_config_selectorIhLb0EEEZNS1_14transform_implILb0ES3_S5_NS0_18transform_iteratorINS0_17counting_iteratorImlEEZNS1_24adjacent_difference_implIS3_Lb1ELb0EPhN6thrust23THRUST_200600_302600_NS16discard_iteratorINSD_11use_defaultEEENSD_5minusIhEEEE10hipError_tPvRmT2_T3_mT4_P12ihipStream_tbEUlmE_hEESB_NS0_8identityIvEEEESJ_SM_SN_mSO_SQ_bEUlT_E_NS1_11comp_targetILNS1_3genE4ELNS1_11target_archE910ELNS1_3gpuE8ELNS1_3repE0EEENS1_30default_config_static_selectorELNS0_4arch9wavefront6targetE1EEEvT1_, .Lfunc_end685-_ZN7rocprim17ROCPRIM_400000_NS6detail17trampoline_kernelINS0_14default_configENS1_25transform_config_selectorIhLb0EEEZNS1_14transform_implILb0ES3_S5_NS0_18transform_iteratorINS0_17counting_iteratorImlEEZNS1_24adjacent_difference_implIS3_Lb1ELb0EPhN6thrust23THRUST_200600_302600_NS16discard_iteratorINSD_11use_defaultEEENSD_5minusIhEEEE10hipError_tPvRmT2_T3_mT4_P12ihipStream_tbEUlmE_hEESB_NS0_8identityIvEEEESJ_SM_SN_mSO_SQ_bEUlT_E_NS1_11comp_targetILNS1_3genE4ELNS1_11target_archE910ELNS1_3gpuE8ELNS1_3repE0EEENS1_30default_config_static_selectorELNS0_4arch9wavefront6targetE1EEEvT1_
                                        ; -- End function
	.section	.AMDGPU.csdata,"",@progbits
; Kernel info:
; codeLenInByte = 2796
; NumSgprs: 50
; NumVgprs: 20
; NumAgprs: 0
; TotalNumVgprs: 20
; ScratchSize: 0
; MemoryBound: 0
; FloatMode: 240
; IeeeMode: 1
; LDSByteSize: 0 bytes/workgroup (compile time only)
; SGPRBlocks: 6
; VGPRBlocks: 2
; NumSGPRsForWavesPerEU: 50
; NumVGPRsForWavesPerEU: 20
; AccumOffset: 20
; Occupancy: 8
; WaveLimiterHint : 0
; COMPUTE_PGM_RSRC2:SCRATCH_EN: 0
; COMPUTE_PGM_RSRC2:USER_SGPR: 6
; COMPUTE_PGM_RSRC2:TRAP_HANDLER: 0
; COMPUTE_PGM_RSRC2:TGID_X_EN: 1
; COMPUTE_PGM_RSRC2:TGID_Y_EN: 0
; COMPUTE_PGM_RSRC2:TGID_Z_EN: 0
; COMPUTE_PGM_RSRC2:TIDIG_COMP_CNT: 0
; COMPUTE_PGM_RSRC3_GFX90A:ACCUM_OFFSET: 4
; COMPUTE_PGM_RSRC3_GFX90A:TG_SPLIT: 0
	.section	.text._ZN7rocprim17ROCPRIM_400000_NS6detail17trampoline_kernelINS0_14default_configENS1_25transform_config_selectorIhLb0EEEZNS1_14transform_implILb0ES3_S5_NS0_18transform_iteratorINS0_17counting_iteratorImlEEZNS1_24adjacent_difference_implIS3_Lb1ELb0EPhN6thrust23THRUST_200600_302600_NS16discard_iteratorINSD_11use_defaultEEENSD_5minusIhEEEE10hipError_tPvRmT2_T3_mT4_P12ihipStream_tbEUlmE_hEESB_NS0_8identityIvEEEESJ_SM_SN_mSO_SQ_bEUlT_E_NS1_11comp_targetILNS1_3genE3ELNS1_11target_archE908ELNS1_3gpuE7ELNS1_3repE0EEENS1_30default_config_static_selectorELNS0_4arch9wavefront6targetE1EEEvT1_,"axG",@progbits,_ZN7rocprim17ROCPRIM_400000_NS6detail17trampoline_kernelINS0_14default_configENS1_25transform_config_selectorIhLb0EEEZNS1_14transform_implILb0ES3_S5_NS0_18transform_iteratorINS0_17counting_iteratorImlEEZNS1_24adjacent_difference_implIS3_Lb1ELb0EPhN6thrust23THRUST_200600_302600_NS16discard_iteratorINSD_11use_defaultEEENSD_5minusIhEEEE10hipError_tPvRmT2_T3_mT4_P12ihipStream_tbEUlmE_hEESB_NS0_8identityIvEEEESJ_SM_SN_mSO_SQ_bEUlT_E_NS1_11comp_targetILNS1_3genE3ELNS1_11target_archE908ELNS1_3gpuE7ELNS1_3repE0EEENS1_30default_config_static_selectorELNS0_4arch9wavefront6targetE1EEEvT1_,comdat
	.protected	_ZN7rocprim17ROCPRIM_400000_NS6detail17trampoline_kernelINS0_14default_configENS1_25transform_config_selectorIhLb0EEEZNS1_14transform_implILb0ES3_S5_NS0_18transform_iteratorINS0_17counting_iteratorImlEEZNS1_24adjacent_difference_implIS3_Lb1ELb0EPhN6thrust23THRUST_200600_302600_NS16discard_iteratorINSD_11use_defaultEEENSD_5minusIhEEEE10hipError_tPvRmT2_T3_mT4_P12ihipStream_tbEUlmE_hEESB_NS0_8identityIvEEEESJ_SM_SN_mSO_SQ_bEUlT_E_NS1_11comp_targetILNS1_3genE3ELNS1_11target_archE908ELNS1_3gpuE7ELNS1_3repE0EEENS1_30default_config_static_selectorELNS0_4arch9wavefront6targetE1EEEvT1_ ; -- Begin function _ZN7rocprim17ROCPRIM_400000_NS6detail17trampoline_kernelINS0_14default_configENS1_25transform_config_selectorIhLb0EEEZNS1_14transform_implILb0ES3_S5_NS0_18transform_iteratorINS0_17counting_iteratorImlEEZNS1_24adjacent_difference_implIS3_Lb1ELb0EPhN6thrust23THRUST_200600_302600_NS16discard_iteratorINSD_11use_defaultEEENSD_5minusIhEEEE10hipError_tPvRmT2_T3_mT4_P12ihipStream_tbEUlmE_hEESB_NS0_8identityIvEEEESJ_SM_SN_mSO_SQ_bEUlT_E_NS1_11comp_targetILNS1_3genE3ELNS1_11target_archE908ELNS1_3gpuE7ELNS1_3repE0EEENS1_30default_config_static_selectorELNS0_4arch9wavefront6targetE1EEEvT1_
	.globl	_ZN7rocprim17ROCPRIM_400000_NS6detail17trampoline_kernelINS0_14default_configENS1_25transform_config_selectorIhLb0EEEZNS1_14transform_implILb0ES3_S5_NS0_18transform_iteratorINS0_17counting_iteratorImlEEZNS1_24adjacent_difference_implIS3_Lb1ELb0EPhN6thrust23THRUST_200600_302600_NS16discard_iteratorINSD_11use_defaultEEENSD_5minusIhEEEE10hipError_tPvRmT2_T3_mT4_P12ihipStream_tbEUlmE_hEESB_NS0_8identityIvEEEESJ_SM_SN_mSO_SQ_bEUlT_E_NS1_11comp_targetILNS1_3genE3ELNS1_11target_archE908ELNS1_3gpuE7ELNS1_3repE0EEENS1_30default_config_static_selectorELNS0_4arch9wavefront6targetE1EEEvT1_
	.p2align	8
	.type	_ZN7rocprim17ROCPRIM_400000_NS6detail17trampoline_kernelINS0_14default_configENS1_25transform_config_selectorIhLb0EEEZNS1_14transform_implILb0ES3_S5_NS0_18transform_iteratorINS0_17counting_iteratorImlEEZNS1_24adjacent_difference_implIS3_Lb1ELb0EPhN6thrust23THRUST_200600_302600_NS16discard_iteratorINSD_11use_defaultEEENSD_5minusIhEEEE10hipError_tPvRmT2_T3_mT4_P12ihipStream_tbEUlmE_hEESB_NS0_8identityIvEEEESJ_SM_SN_mSO_SQ_bEUlT_E_NS1_11comp_targetILNS1_3genE3ELNS1_11target_archE908ELNS1_3gpuE7ELNS1_3repE0EEENS1_30default_config_static_selectorELNS0_4arch9wavefront6targetE1EEEvT1_,@function
_ZN7rocprim17ROCPRIM_400000_NS6detail17trampoline_kernelINS0_14default_configENS1_25transform_config_selectorIhLb0EEEZNS1_14transform_implILb0ES3_S5_NS0_18transform_iteratorINS0_17counting_iteratorImlEEZNS1_24adjacent_difference_implIS3_Lb1ELb0EPhN6thrust23THRUST_200600_302600_NS16discard_iteratorINSD_11use_defaultEEENSD_5minusIhEEEE10hipError_tPvRmT2_T3_mT4_P12ihipStream_tbEUlmE_hEESB_NS0_8identityIvEEEESJ_SM_SN_mSO_SQ_bEUlT_E_NS1_11comp_targetILNS1_3genE3ELNS1_11target_archE908ELNS1_3gpuE7ELNS1_3repE0EEENS1_30default_config_static_selectorELNS0_4arch9wavefront6targetE1EEEvT1_: ; @_ZN7rocprim17ROCPRIM_400000_NS6detail17trampoline_kernelINS0_14default_configENS1_25transform_config_selectorIhLb0EEEZNS1_14transform_implILb0ES3_S5_NS0_18transform_iteratorINS0_17counting_iteratorImlEEZNS1_24adjacent_difference_implIS3_Lb1ELb0EPhN6thrust23THRUST_200600_302600_NS16discard_iteratorINSD_11use_defaultEEENSD_5minusIhEEEE10hipError_tPvRmT2_T3_mT4_P12ihipStream_tbEUlmE_hEESB_NS0_8identityIvEEEESJ_SM_SN_mSO_SQ_bEUlT_E_NS1_11comp_targetILNS1_3genE3ELNS1_11target_archE908ELNS1_3gpuE7ELNS1_3repE0EEENS1_30default_config_static_selectorELNS0_4arch9wavefront6targetE1EEEvT1_
; %bb.0:
	.section	.rodata,"a",@progbits
	.p2align	6, 0x0
	.amdhsa_kernel _ZN7rocprim17ROCPRIM_400000_NS6detail17trampoline_kernelINS0_14default_configENS1_25transform_config_selectorIhLb0EEEZNS1_14transform_implILb0ES3_S5_NS0_18transform_iteratorINS0_17counting_iteratorImlEEZNS1_24adjacent_difference_implIS3_Lb1ELb0EPhN6thrust23THRUST_200600_302600_NS16discard_iteratorINSD_11use_defaultEEENSD_5minusIhEEEE10hipError_tPvRmT2_T3_mT4_P12ihipStream_tbEUlmE_hEESB_NS0_8identityIvEEEESJ_SM_SN_mSO_SQ_bEUlT_E_NS1_11comp_targetILNS1_3genE3ELNS1_11target_archE908ELNS1_3gpuE7ELNS1_3repE0EEENS1_30default_config_static_selectorELNS0_4arch9wavefront6targetE1EEEvT1_
		.amdhsa_group_segment_fixed_size 0
		.amdhsa_private_segment_fixed_size 0
		.amdhsa_kernarg_size 56
		.amdhsa_user_sgpr_count 6
		.amdhsa_user_sgpr_private_segment_buffer 1
		.amdhsa_user_sgpr_dispatch_ptr 0
		.amdhsa_user_sgpr_queue_ptr 0
		.amdhsa_user_sgpr_kernarg_segment_ptr 1
		.amdhsa_user_sgpr_dispatch_id 0
		.amdhsa_user_sgpr_flat_scratch_init 0
		.amdhsa_user_sgpr_kernarg_preload_length 0
		.amdhsa_user_sgpr_kernarg_preload_offset 0
		.amdhsa_user_sgpr_private_segment_size 0
		.amdhsa_uses_dynamic_stack 0
		.amdhsa_system_sgpr_private_segment_wavefront_offset 0
		.amdhsa_system_sgpr_workgroup_id_x 1
		.amdhsa_system_sgpr_workgroup_id_y 0
		.amdhsa_system_sgpr_workgroup_id_z 0
		.amdhsa_system_sgpr_workgroup_info 0
		.amdhsa_system_vgpr_workitem_id 0
		.amdhsa_next_free_vgpr 1
		.amdhsa_next_free_sgpr 0
		.amdhsa_accum_offset 4
		.amdhsa_reserve_vcc 0
		.amdhsa_reserve_flat_scratch 0
		.amdhsa_float_round_mode_32 0
		.amdhsa_float_round_mode_16_64 0
		.amdhsa_float_denorm_mode_32 3
		.amdhsa_float_denorm_mode_16_64 3
		.amdhsa_dx10_clamp 1
		.amdhsa_ieee_mode 1
		.amdhsa_fp16_overflow 0
		.amdhsa_tg_split 0
		.amdhsa_exception_fp_ieee_invalid_op 0
		.amdhsa_exception_fp_denorm_src 0
		.amdhsa_exception_fp_ieee_div_zero 0
		.amdhsa_exception_fp_ieee_overflow 0
		.amdhsa_exception_fp_ieee_underflow 0
		.amdhsa_exception_fp_ieee_inexact 0
		.amdhsa_exception_int_div_zero 0
	.end_amdhsa_kernel
	.section	.text._ZN7rocprim17ROCPRIM_400000_NS6detail17trampoline_kernelINS0_14default_configENS1_25transform_config_selectorIhLb0EEEZNS1_14transform_implILb0ES3_S5_NS0_18transform_iteratorINS0_17counting_iteratorImlEEZNS1_24adjacent_difference_implIS3_Lb1ELb0EPhN6thrust23THRUST_200600_302600_NS16discard_iteratorINSD_11use_defaultEEENSD_5minusIhEEEE10hipError_tPvRmT2_T3_mT4_P12ihipStream_tbEUlmE_hEESB_NS0_8identityIvEEEESJ_SM_SN_mSO_SQ_bEUlT_E_NS1_11comp_targetILNS1_3genE3ELNS1_11target_archE908ELNS1_3gpuE7ELNS1_3repE0EEENS1_30default_config_static_selectorELNS0_4arch9wavefront6targetE1EEEvT1_,"axG",@progbits,_ZN7rocprim17ROCPRIM_400000_NS6detail17trampoline_kernelINS0_14default_configENS1_25transform_config_selectorIhLb0EEEZNS1_14transform_implILb0ES3_S5_NS0_18transform_iteratorINS0_17counting_iteratorImlEEZNS1_24adjacent_difference_implIS3_Lb1ELb0EPhN6thrust23THRUST_200600_302600_NS16discard_iteratorINSD_11use_defaultEEENSD_5minusIhEEEE10hipError_tPvRmT2_T3_mT4_P12ihipStream_tbEUlmE_hEESB_NS0_8identityIvEEEESJ_SM_SN_mSO_SQ_bEUlT_E_NS1_11comp_targetILNS1_3genE3ELNS1_11target_archE908ELNS1_3gpuE7ELNS1_3repE0EEENS1_30default_config_static_selectorELNS0_4arch9wavefront6targetE1EEEvT1_,comdat
.Lfunc_end686:
	.size	_ZN7rocprim17ROCPRIM_400000_NS6detail17trampoline_kernelINS0_14default_configENS1_25transform_config_selectorIhLb0EEEZNS1_14transform_implILb0ES3_S5_NS0_18transform_iteratorINS0_17counting_iteratorImlEEZNS1_24adjacent_difference_implIS3_Lb1ELb0EPhN6thrust23THRUST_200600_302600_NS16discard_iteratorINSD_11use_defaultEEENSD_5minusIhEEEE10hipError_tPvRmT2_T3_mT4_P12ihipStream_tbEUlmE_hEESB_NS0_8identityIvEEEESJ_SM_SN_mSO_SQ_bEUlT_E_NS1_11comp_targetILNS1_3genE3ELNS1_11target_archE908ELNS1_3gpuE7ELNS1_3repE0EEENS1_30default_config_static_selectorELNS0_4arch9wavefront6targetE1EEEvT1_, .Lfunc_end686-_ZN7rocprim17ROCPRIM_400000_NS6detail17trampoline_kernelINS0_14default_configENS1_25transform_config_selectorIhLb0EEEZNS1_14transform_implILb0ES3_S5_NS0_18transform_iteratorINS0_17counting_iteratorImlEEZNS1_24adjacent_difference_implIS3_Lb1ELb0EPhN6thrust23THRUST_200600_302600_NS16discard_iteratorINSD_11use_defaultEEENSD_5minusIhEEEE10hipError_tPvRmT2_T3_mT4_P12ihipStream_tbEUlmE_hEESB_NS0_8identityIvEEEESJ_SM_SN_mSO_SQ_bEUlT_E_NS1_11comp_targetILNS1_3genE3ELNS1_11target_archE908ELNS1_3gpuE7ELNS1_3repE0EEENS1_30default_config_static_selectorELNS0_4arch9wavefront6targetE1EEEvT1_
                                        ; -- End function
	.section	.AMDGPU.csdata,"",@progbits
; Kernel info:
; codeLenInByte = 0
; NumSgprs: 4
; NumVgprs: 0
; NumAgprs: 0
; TotalNumVgprs: 0
; ScratchSize: 0
; MemoryBound: 0
; FloatMode: 240
; IeeeMode: 1
; LDSByteSize: 0 bytes/workgroup (compile time only)
; SGPRBlocks: 0
; VGPRBlocks: 0
; NumSGPRsForWavesPerEU: 4
; NumVGPRsForWavesPerEU: 1
; AccumOffset: 4
; Occupancy: 8
; WaveLimiterHint : 0
; COMPUTE_PGM_RSRC2:SCRATCH_EN: 0
; COMPUTE_PGM_RSRC2:USER_SGPR: 6
; COMPUTE_PGM_RSRC2:TRAP_HANDLER: 0
; COMPUTE_PGM_RSRC2:TGID_X_EN: 1
; COMPUTE_PGM_RSRC2:TGID_Y_EN: 0
; COMPUTE_PGM_RSRC2:TGID_Z_EN: 0
; COMPUTE_PGM_RSRC2:TIDIG_COMP_CNT: 0
; COMPUTE_PGM_RSRC3_GFX90A:ACCUM_OFFSET: 0
; COMPUTE_PGM_RSRC3_GFX90A:TG_SPLIT: 0
	.section	.text._ZN7rocprim17ROCPRIM_400000_NS6detail17trampoline_kernelINS0_14default_configENS1_25transform_config_selectorIhLb0EEEZNS1_14transform_implILb0ES3_S5_NS0_18transform_iteratorINS0_17counting_iteratorImlEEZNS1_24adjacent_difference_implIS3_Lb1ELb0EPhN6thrust23THRUST_200600_302600_NS16discard_iteratorINSD_11use_defaultEEENSD_5minusIhEEEE10hipError_tPvRmT2_T3_mT4_P12ihipStream_tbEUlmE_hEESB_NS0_8identityIvEEEESJ_SM_SN_mSO_SQ_bEUlT_E_NS1_11comp_targetILNS1_3genE2ELNS1_11target_archE906ELNS1_3gpuE6ELNS1_3repE0EEENS1_30default_config_static_selectorELNS0_4arch9wavefront6targetE1EEEvT1_,"axG",@progbits,_ZN7rocprim17ROCPRIM_400000_NS6detail17trampoline_kernelINS0_14default_configENS1_25transform_config_selectorIhLb0EEEZNS1_14transform_implILb0ES3_S5_NS0_18transform_iteratorINS0_17counting_iteratorImlEEZNS1_24adjacent_difference_implIS3_Lb1ELb0EPhN6thrust23THRUST_200600_302600_NS16discard_iteratorINSD_11use_defaultEEENSD_5minusIhEEEE10hipError_tPvRmT2_T3_mT4_P12ihipStream_tbEUlmE_hEESB_NS0_8identityIvEEEESJ_SM_SN_mSO_SQ_bEUlT_E_NS1_11comp_targetILNS1_3genE2ELNS1_11target_archE906ELNS1_3gpuE6ELNS1_3repE0EEENS1_30default_config_static_selectorELNS0_4arch9wavefront6targetE1EEEvT1_,comdat
	.protected	_ZN7rocprim17ROCPRIM_400000_NS6detail17trampoline_kernelINS0_14default_configENS1_25transform_config_selectorIhLb0EEEZNS1_14transform_implILb0ES3_S5_NS0_18transform_iteratorINS0_17counting_iteratorImlEEZNS1_24adjacent_difference_implIS3_Lb1ELb0EPhN6thrust23THRUST_200600_302600_NS16discard_iteratorINSD_11use_defaultEEENSD_5minusIhEEEE10hipError_tPvRmT2_T3_mT4_P12ihipStream_tbEUlmE_hEESB_NS0_8identityIvEEEESJ_SM_SN_mSO_SQ_bEUlT_E_NS1_11comp_targetILNS1_3genE2ELNS1_11target_archE906ELNS1_3gpuE6ELNS1_3repE0EEENS1_30default_config_static_selectorELNS0_4arch9wavefront6targetE1EEEvT1_ ; -- Begin function _ZN7rocprim17ROCPRIM_400000_NS6detail17trampoline_kernelINS0_14default_configENS1_25transform_config_selectorIhLb0EEEZNS1_14transform_implILb0ES3_S5_NS0_18transform_iteratorINS0_17counting_iteratorImlEEZNS1_24adjacent_difference_implIS3_Lb1ELb0EPhN6thrust23THRUST_200600_302600_NS16discard_iteratorINSD_11use_defaultEEENSD_5minusIhEEEE10hipError_tPvRmT2_T3_mT4_P12ihipStream_tbEUlmE_hEESB_NS0_8identityIvEEEESJ_SM_SN_mSO_SQ_bEUlT_E_NS1_11comp_targetILNS1_3genE2ELNS1_11target_archE906ELNS1_3gpuE6ELNS1_3repE0EEENS1_30default_config_static_selectorELNS0_4arch9wavefront6targetE1EEEvT1_
	.globl	_ZN7rocprim17ROCPRIM_400000_NS6detail17trampoline_kernelINS0_14default_configENS1_25transform_config_selectorIhLb0EEEZNS1_14transform_implILb0ES3_S5_NS0_18transform_iteratorINS0_17counting_iteratorImlEEZNS1_24adjacent_difference_implIS3_Lb1ELb0EPhN6thrust23THRUST_200600_302600_NS16discard_iteratorINSD_11use_defaultEEENSD_5minusIhEEEE10hipError_tPvRmT2_T3_mT4_P12ihipStream_tbEUlmE_hEESB_NS0_8identityIvEEEESJ_SM_SN_mSO_SQ_bEUlT_E_NS1_11comp_targetILNS1_3genE2ELNS1_11target_archE906ELNS1_3gpuE6ELNS1_3repE0EEENS1_30default_config_static_selectorELNS0_4arch9wavefront6targetE1EEEvT1_
	.p2align	8
	.type	_ZN7rocprim17ROCPRIM_400000_NS6detail17trampoline_kernelINS0_14default_configENS1_25transform_config_selectorIhLb0EEEZNS1_14transform_implILb0ES3_S5_NS0_18transform_iteratorINS0_17counting_iteratorImlEEZNS1_24adjacent_difference_implIS3_Lb1ELb0EPhN6thrust23THRUST_200600_302600_NS16discard_iteratorINSD_11use_defaultEEENSD_5minusIhEEEE10hipError_tPvRmT2_T3_mT4_P12ihipStream_tbEUlmE_hEESB_NS0_8identityIvEEEESJ_SM_SN_mSO_SQ_bEUlT_E_NS1_11comp_targetILNS1_3genE2ELNS1_11target_archE906ELNS1_3gpuE6ELNS1_3repE0EEENS1_30default_config_static_selectorELNS0_4arch9wavefront6targetE1EEEvT1_,@function
_ZN7rocprim17ROCPRIM_400000_NS6detail17trampoline_kernelINS0_14default_configENS1_25transform_config_selectorIhLb0EEEZNS1_14transform_implILb0ES3_S5_NS0_18transform_iteratorINS0_17counting_iteratorImlEEZNS1_24adjacent_difference_implIS3_Lb1ELb0EPhN6thrust23THRUST_200600_302600_NS16discard_iteratorINSD_11use_defaultEEENSD_5minusIhEEEE10hipError_tPvRmT2_T3_mT4_P12ihipStream_tbEUlmE_hEESB_NS0_8identityIvEEEESJ_SM_SN_mSO_SQ_bEUlT_E_NS1_11comp_targetILNS1_3genE2ELNS1_11target_archE906ELNS1_3gpuE6ELNS1_3repE0EEENS1_30default_config_static_selectorELNS0_4arch9wavefront6targetE1EEEvT1_: ; @_ZN7rocprim17ROCPRIM_400000_NS6detail17trampoline_kernelINS0_14default_configENS1_25transform_config_selectorIhLb0EEEZNS1_14transform_implILb0ES3_S5_NS0_18transform_iteratorINS0_17counting_iteratorImlEEZNS1_24adjacent_difference_implIS3_Lb1ELb0EPhN6thrust23THRUST_200600_302600_NS16discard_iteratorINSD_11use_defaultEEENSD_5minusIhEEEE10hipError_tPvRmT2_T3_mT4_P12ihipStream_tbEUlmE_hEESB_NS0_8identityIvEEEESJ_SM_SN_mSO_SQ_bEUlT_E_NS1_11comp_targetILNS1_3genE2ELNS1_11target_archE906ELNS1_3gpuE6ELNS1_3repE0EEENS1_30default_config_static_selectorELNS0_4arch9wavefront6targetE1EEEvT1_
; %bb.0:
	.section	.rodata,"a",@progbits
	.p2align	6, 0x0
	.amdhsa_kernel _ZN7rocprim17ROCPRIM_400000_NS6detail17trampoline_kernelINS0_14default_configENS1_25transform_config_selectorIhLb0EEEZNS1_14transform_implILb0ES3_S5_NS0_18transform_iteratorINS0_17counting_iteratorImlEEZNS1_24adjacent_difference_implIS3_Lb1ELb0EPhN6thrust23THRUST_200600_302600_NS16discard_iteratorINSD_11use_defaultEEENSD_5minusIhEEEE10hipError_tPvRmT2_T3_mT4_P12ihipStream_tbEUlmE_hEESB_NS0_8identityIvEEEESJ_SM_SN_mSO_SQ_bEUlT_E_NS1_11comp_targetILNS1_3genE2ELNS1_11target_archE906ELNS1_3gpuE6ELNS1_3repE0EEENS1_30default_config_static_selectorELNS0_4arch9wavefront6targetE1EEEvT1_
		.amdhsa_group_segment_fixed_size 0
		.amdhsa_private_segment_fixed_size 0
		.amdhsa_kernarg_size 56
		.amdhsa_user_sgpr_count 6
		.amdhsa_user_sgpr_private_segment_buffer 1
		.amdhsa_user_sgpr_dispatch_ptr 0
		.amdhsa_user_sgpr_queue_ptr 0
		.amdhsa_user_sgpr_kernarg_segment_ptr 1
		.amdhsa_user_sgpr_dispatch_id 0
		.amdhsa_user_sgpr_flat_scratch_init 0
		.amdhsa_user_sgpr_kernarg_preload_length 0
		.amdhsa_user_sgpr_kernarg_preload_offset 0
		.amdhsa_user_sgpr_private_segment_size 0
		.amdhsa_uses_dynamic_stack 0
		.amdhsa_system_sgpr_private_segment_wavefront_offset 0
		.amdhsa_system_sgpr_workgroup_id_x 1
		.amdhsa_system_sgpr_workgroup_id_y 0
		.amdhsa_system_sgpr_workgroup_id_z 0
		.amdhsa_system_sgpr_workgroup_info 0
		.amdhsa_system_vgpr_workitem_id 0
		.amdhsa_next_free_vgpr 1
		.amdhsa_next_free_sgpr 0
		.amdhsa_accum_offset 4
		.amdhsa_reserve_vcc 0
		.amdhsa_reserve_flat_scratch 0
		.amdhsa_float_round_mode_32 0
		.amdhsa_float_round_mode_16_64 0
		.amdhsa_float_denorm_mode_32 3
		.amdhsa_float_denorm_mode_16_64 3
		.amdhsa_dx10_clamp 1
		.amdhsa_ieee_mode 1
		.amdhsa_fp16_overflow 0
		.amdhsa_tg_split 0
		.amdhsa_exception_fp_ieee_invalid_op 0
		.amdhsa_exception_fp_denorm_src 0
		.amdhsa_exception_fp_ieee_div_zero 0
		.amdhsa_exception_fp_ieee_overflow 0
		.amdhsa_exception_fp_ieee_underflow 0
		.amdhsa_exception_fp_ieee_inexact 0
		.amdhsa_exception_int_div_zero 0
	.end_amdhsa_kernel
	.section	.text._ZN7rocprim17ROCPRIM_400000_NS6detail17trampoline_kernelINS0_14default_configENS1_25transform_config_selectorIhLb0EEEZNS1_14transform_implILb0ES3_S5_NS0_18transform_iteratorINS0_17counting_iteratorImlEEZNS1_24adjacent_difference_implIS3_Lb1ELb0EPhN6thrust23THRUST_200600_302600_NS16discard_iteratorINSD_11use_defaultEEENSD_5minusIhEEEE10hipError_tPvRmT2_T3_mT4_P12ihipStream_tbEUlmE_hEESB_NS0_8identityIvEEEESJ_SM_SN_mSO_SQ_bEUlT_E_NS1_11comp_targetILNS1_3genE2ELNS1_11target_archE906ELNS1_3gpuE6ELNS1_3repE0EEENS1_30default_config_static_selectorELNS0_4arch9wavefront6targetE1EEEvT1_,"axG",@progbits,_ZN7rocprim17ROCPRIM_400000_NS6detail17trampoline_kernelINS0_14default_configENS1_25transform_config_selectorIhLb0EEEZNS1_14transform_implILb0ES3_S5_NS0_18transform_iteratorINS0_17counting_iteratorImlEEZNS1_24adjacent_difference_implIS3_Lb1ELb0EPhN6thrust23THRUST_200600_302600_NS16discard_iteratorINSD_11use_defaultEEENSD_5minusIhEEEE10hipError_tPvRmT2_T3_mT4_P12ihipStream_tbEUlmE_hEESB_NS0_8identityIvEEEESJ_SM_SN_mSO_SQ_bEUlT_E_NS1_11comp_targetILNS1_3genE2ELNS1_11target_archE906ELNS1_3gpuE6ELNS1_3repE0EEENS1_30default_config_static_selectorELNS0_4arch9wavefront6targetE1EEEvT1_,comdat
.Lfunc_end687:
	.size	_ZN7rocprim17ROCPRIM_400000_NS6detail17trampoline_kernelINS0_14default_configENS1_25transform_config_selectorIhLb0EEEZNS1_14transform_implILb0ES3_S5_NS0_18transform_iteratorINS0_17counting_iteratorImlEEZNS1_24adjacent_difference_implIS3_Lb1ELb0EPhN6thrust23THRUST_200600_302600_NS16discard_iteratorINSD_11use_defaultEEENSD_5minusIhEEEE10hipError_tPvRmT2_T3_mT4_P12ihipStream_tbEUlmE_hEESB_NS0_8identityIvEEEESJ_SM_SN_mSO_SQ_bEUlT_E_NS1_11comp_targetILNS1_3genE2ELNS1_11target_archE906ELNS1_3gpuE6ELNS1_3repE0EEENS1_30default_config_static_selectorELNS0_4arch9wavefront6targetE1EEEvT1_, .Lfunc_end687-_ZN7rocprim17ROCPRIM_400000_NS6detail17trampoline_kernelINS0_14default_configENS1_25transform_config_selectorIhLb0EEEZNS1_14transform_implILb0ES3_S5_NS0_18transform_iteratorINS0_17counting_iteratorImlEEZNS1_24adjacent_difference_implIS3_Lb1ELb0EPhN6thrust23THRUST_200600_302600_NS16discard_iteratorINSD_11use_defaultEEENSD_5minusIhEEEE10hipError_tPvRmT2_T3_mT4_P12ihipStream_tbEUlmE_hEESB_NS0_8identityIvEEEESJ_SM_SN_mSO_SQ_bEUlT_E_NS1_11comp_targetILNS1_3genE2ELNS1_11target_archE906ELNS1_3gpuE6ELNS1_3repE0EEENS1_30default_config_static_selectorELNS0_4arch9wavefront6targetE1EEEvT1_
                                        ; -- End function
	.section	.AMDGPU.csdata,"",@progbits
; Kernel info:
; codeLenInByte = 0
; NumSgprs: 4
; NumVgprs: 0
; NumAgprs: 0
; TotalNumVgprs: 0
; ScratchSize: 0
; MemoryBound: 0
; FloatMode: 240
; IeeeMode: 1
; LDSByteSize: 0 bytes/workgroup (compile time only)
; SGPRBlocks: 0
; VGPRBlocks: 0
; NumSGPRsForWavesPerEU: 4
; NumVGPRsForWavesPerEU: 1
; AccumOffset: 4
; Occupancy: 8
; WaveLimiterHint : 0
; COMPUTE_PGM_RSRC2:SCRATCH_EN: 0
; COMPUTE_PGM_RSRC2:USER_SGPR: 6
; COMPUTE_PGM_RSRC2:TRAP_HANDLER: 0
; COMPUTE_PGM_RSRC2:TGID_X_EN: 1
; COMPUTE_PGM_RSRC2:TGID_Y_EN: 0
; COMPUTE_PGM_RSRC2:TGID_Z_EN: 0
; COMPUTE_PGM_RSRC2:TIDIG_COMP_CNT: 0
; COMPUTE_PGM_RSRC3_GFX90A:ACCUM_OFFSET: 0
; COMPUTE_PGM_RSRC3_GFX90A:TG_SPLIT: 0
	.section	.text._ZN7rocprim17ROCPRIM_400000_NS6detail17trampoline_kernelINS0_14default_configENS1_25transform_config_selectorIhLb0EEEZNS1_14transform_implILb0ES3_S5_NS0_18transform_iteratorINS0_17counting_iteratorImlEEZNS1_24adjacent_difference_implIS3_Lb1ELb0EPhN6thrust23THRUST_200600_302600_NS16discard_iteratorINSD_11use_defaultEEENSD_5minusIhEEEE10hipError_tPvRmT2_T3_mT4_P12ihipStream_tbEUlmE_hEESB_NS0_8identityIvEEEESJ_SM_SN_mSO_SQ_bEUlT_E_NS1_11comp_targetILNS1_3genE10ELNS1_11target_archE1201ELNS1_3gpuE5ELNS1_3repE0EEENS1_30default_config_static_selectorELNS0_4arch9wavefront6targetE1EEEvT1_,"axG",@progbits,_ZN7rocprim17ROCPRIM_400000_NS6detail17trampoline_kernelINS0_14default_configENS1_25transform_config_selectorIhLb0EEEZNS1_14transform_implILb0ES3_S5_NS0_18transform_iteratorINS0_17counting_iteratorImlEEZNS1_24adjacent_difference_implIS3_Lb1ELb0EPhN6thrust23THRUST_200600_302600_NS16discard_iteratorINSD_11use_defaultEEENSD_5minusIhEEEE10hipError_tPvRmT2_T3_mT4_P12ihipStream_tbEUlmE_hEESB_NS0_8identityIvEEEESJ_SM_SN_mSO_SQ_bEUlT_E_NS1_11comp_targetILNS1_3genE10ELNS1_11target_archE1201ELNS1_3gpuE5ELNS1_3repE0EEENS1_30default_config_static_selectorELNS0_4arch9wavefront6targetE1EEEvT1_,comdat
	.protected	_ZN7rocprim17ROCPRIM_400000_NS6detail17trampoline_kernelINS0_14default_configENS1_25transform_config_selectorIhLb0EEEZNS1_14transform_implILb0ES3_S5_NS0_18transform_iteratorINS0_17counting_iteratorImlEEZNS1_24adjacent_difference_implIS3_Lb1ELb0EPhN6thrust23THRUST_200600_302600_NS16discard_iteratorINSD_11use_defaultEEENSD_5minusIhEEEE10hipError_tPvRmT2_T3_mT4_P12ihipStream_tbEUlmE_hEESB_NS0_8identityIvEEEESJ_SM_SN_mSO_SQ_bEUlT_E_NS1_11comp_targetILNS1_3genE10ELNS1_11target_archE1201ELNS1_3gpuE5ELNS1_3repE0EEENS1_30default_config_static_selectorELNS0_4arch9wavefront6targetE1EEEvT1_ ; -- Begin function _ZN7rocprim17ROCPRIM_400000_NS6detail17trampoline_kernelINS0_14default_configENS1_25transform_config_selectorIhLb0EEEZNS1_14transform_implILb0ES3_S5_NS0_18transform_iteratorINS0_17counting_iteratorImlEEZNS1_24adjacent_difference_implIS3_Lb1ELb0EPhN6thrust23THRUST_200600_302600_NS16discard_iteratorINSD_11use_defaultEEENSD_5minusIhEEEE10hipError_tPvRmT2_T3_mT4_P12ihipStream_tbEUlmE_hEESB_NS0_8identityIvEEEESJ_SM_SN_mSO_SQ_bEUlT_E_NS1_11comp_targetILNS1_3genE10ELNS1_11target_archE1201ELNS1_3gpuE5ELNS1_3repE0EEENS1_30default_config_static_selectorELNS0_4arch9wavefront6targetE1EEEvT1_
	.globl	_ZN7rocprim17ROCPRIM_400000_NS6detail17trampoline_kernelINS0_14default_configENS1_25transform_config_selectorIhLb0EEEZNS1_14transform_implILb0ES3_S5_NS0_18transform_iteratorINS0_17counting_iteratorImlEEZNS1_24adjacent_difference_implIS3_Lb1ELb0EPhN6thrust23THRUST_200600_302600_NS16discard_iteratorINSD_11use_defaultEEENSD_5minusIhEEEE10hipError_tPvRmT2_T3_mT4_P12ihipStream_tbEUlmE_hEESB_NS0_8identityIvEEEESJ_SM_SN_mSO_SQ_bEUlT_E_NS1_11comp_targetILNS1_3genE10ELNS1_11target_archE1201ELNS1_3gpuE5ELNS1_3repE0EEENS1_30default_config_static_selectorELNS0_4arch9wavefront6targetE1EEEvT1_
	.p2align	8
	.type	_ZN7rocprim17ROCPRIM_400000_NS6detail17trampoline_kernelINS0_14default_configENS1_25transform_config_selectorIhLb0EEEZNS1_14transform_implILb0ES3_S5_NS0_18transform_iteratorINS0_17counting_iteratorImlEEZNS1_24adjacent_difference_implIS3_Lb1ELb0EPhN6thrust23THRUST_200600_302600_NS16discard_iteratorINSD_11use_defaultEEENSD_5minusIhEEEE10hipError_tPvRmT2_T3_mT4_P12ihipStream_tbEUlmE_hEESB_NS0_8identityIvEEEESJ_SM_SN_mSO_SQ_bEUlT_E_NS1_11comp_targetILNS1_3genE10ELNS1_11target_archE1201ELNS1_3gpuE5ELNS1_3repE0EEENS1_30default_config_static_selectorELNS0_4arch9wavefront6targetE1EEEvT1_,@function
_ZN7rocprim17ROCPRIM_400000_NS6detail17trampoline_kernelINS0_14default_configENS1_25transform_config_selectorIhLb0EEEZNS1_14transform_implILb0ES3_S5_NS0_18transform_iteratorINS0_17counting_iteratorImlEEZNS1_24adjacent_difference_implIS3_Lb1ELb0EPhN6thrust23THRUST_200600_302600_NS16discard_iteratorINSD_11use_defaultEEENSD_5minusIhEEEE10hipError_tPvRmT2_T3_mT4_P12ihipStream_tbEUlmE_hEESB_NS0_8identityIvEEEESJ_SM_SN_mSO_SQ_bEUlT_E_NS1_11comp_targetILNS1_3genE10ELNS1_11target_archE1201ELNS1_3gpuE5ELNS1_3repE0EEENS1_30default_config_static_selectorELNS0_4arch9wavefront6targetE1EEEvT1_: ; @_ZN7rocprim17ROCPRIM_400000_NS6detail17trampoline_kernelINS0_14default_configENS1_25transform_config_selectorIhLb0EEEZNS1_14transform_implILb0ES3_S5_NS0_18transform_iteratorINS0_17counting_iteratorImlEEZNS1_24adjacent_difference_implIS3_Lb1ELb0EPhN6thrust23THRUST_200600_302600_NS16discard_iteratorINSD_11use_defaultEEENSD_5minusIhEEEE10hipError_tPvRmT2_T3_mT4_P12ihipStream_tbEUlmE_hEESB_NS0_8identityIvEEEESJ_SM_SN_mSO_SQ_bEUlT_E_NS1_11comp_targetILNS1_3genE10ELNS1_11target_archE1201ELNS1_3gpuE5ELNS1_3repE0EEENS1_30default_config_static_selectorELNS0_4arch9wavefront6targetE1EEEvT1_
; %bb.0:
	.section	.rodata,"a",@progbits
	.p2align	6, 0x0
	.amdhsa_kernel _ZN7rocprim17ROCPRIM_400000_NS6detail17trampoline_kernelINS0_14default_configENS1_25transform_config_selectorIhLb0EEEZNS1_14transform_implILb0ES3_S5_NS0_18transform_iteratorINS0_17counting_iteratorImlEEZNS1_24adjacent_difference_implIS3_Lb1ELb0EPhN6thrust23THRUST_200600_302600_NS16discard_iteratorINSD_11use_defaultEEENSD_5minusIhEEEE10hipError_tPvRmT2_T3_mT4_P12ihipStream_tbEUlmE_hEESB_NS0_8identityIvEEEESJ_SM_SN_mSO_SQ_bEUlT_E_NS1_11comp_targetILNS1_3genE10ELNS1_11target_archE1201ELNS1_3gpuE5ELNS1_3repE0EEENS1_30default_config_static_selectorELNS0_4arch9wavefront6targetE1EEEvT1_
		.amdhsa_group_segment_fixed_size 0
		.amdhsa_private_segment_fixed_size 0
		.amdhsa_kernarg_size 56
		.amdhsa_user_sgpr_count 6
		.amdhsa_user_sgpr_private_segment_buffer 1
		.amdhsa_user_sgpr_dispatch_ptr 0
		.amdhsa_user_sgpr_queue_ptr 0
		.amdhsa_user_sgpr_kernarg_segment_ptr 1
		.amdhsa_user_sgpr_dispatch_id 0
		.amdhsa_user_sgpr_flat_scratch_init 0
		.amdhsa_user_sgpr_kernarg_preload_length 0
		.amdhsa_user_sgpr_kernarg_preload_offset 0
		.amdhsa_user_sgpr_private_segment_size 0
		.amdhsa_uses_dynamic_stack 0
		.amdhsa_system_sgpr_private_segment_wavefront_offset 0
		.amdhsa_system_sgpr_workgroup_id_x 1
		.amdhsa_system_sgpr_workgroup_id_y 0
		.amdhsa_system_sgpr_workgroup_id_z 0
		.amdhsa_system_sgpr_workgroup_info 0
		.amdhsa_system_vgpr_workitem_id 0
		.amdhsa_next_free_vgpr 1
		.amdhsa_next_free_sgpr 0
		.amdhsa_accum_offset 4
		.amdhsa_reserve_vcc 0
		.amdhsa_reserve_flat_scratch 0
		.amdhsa_float_round_mode_32 0
		.amdhsa_float_round_mode_16_64 0
		.amdhsa_float_denorm_mode_32 3
		.amdhsa_float_denorm_mode_16_64 3
		.amdhsa_dx10_clamp 1
		.amdhsa_ieee_mode 1
		.amdhsa_fp16_overflow 0
		.amdhsa_tg_split 0
		.amdhsa_exception_fp_ieee_invalid_op 0
		.amdhsa_exception_fp_denorm_src 0
		.amdhsa_exception_fp_ieee_div_zero 0
		.amdhsa_exception_fp_ieee_overflow 0
		.amdhsa_exception_fp_ieee_underflow 0
		.amdhsa_exception_fp_ieee_inexact 0
		.amdhsa_exception_int_div_zero 0
	.end_amdhsa_kernel
	.section	.text._ZN7rocprim17ROCPRIM_400000_NS6detail17trampoline_kernelINS0_14default_configENS1_25transform_config_selectorIhLb0EEEZNS1_14transform_implILb0ES3_S5_NS0_18transform_iteratorINS0_17counting_iteratorImlEEZNS1_24adjacent_difference_implIS3_Lb1ELb0EPhN6thrust23THRUST_200600_302600_NS16discard_iteratorINSD_11use_defaultEEENSD_5minusIhEEEE10hipError_tPvRmT2_T3_mT4_P12ihipStream_tbEUlmE_hEESB_NS0_8identityIvEEEESJ_SM_SN_mSO_SQ_bEUlT_E_NS1_11comp_targetILNS1_3genE10ELNS1_11target_archE1201ELNS1_3gpuE5ELNS1_3repE0EEENS1_30default_config_static_selectorELNS0_4arch9wavefront6targetE1EEEvT1_,"axG",@progbits,_ZN7rocprim17ROCPRIM_400000_NS6detail17trampoline_kernelINS0_14default_configENS1_25transform_config_selectorIhLb0EEEZNS1_14transform_implILb0ES3_S5_NS0_18transform_iteratorINS0_17counting_iteratorImlEEZNS1_24adjacent_difference_implIS3_Lb1ELb0EPhN6thrust23THRUST_200600_302600_NS16discard_iteratorINSD_11use_defaultEEENSD_5minusIhEEEE10hipError_tPvRmT2_T3_mT4_P12ihipStream_tbEUlmE_hEESB_NS0_8identityIvEEEESJ_SM_SN_mSO_SQ_bEUlT_E_NS1_11comp_targetILNS1_3genE10ELNS1_11target_archE1201ELNS1_3gpuE5ELNS1_3repE0EEENS1_30default_config_static_selectorELNS0_4arch9wavefront6targetE1EEEvT1_,comdat
.Lfunc_end688:
	.size	_ZN7rocprim17ROCPRIM_400000_NS6detail17trampoline_kernelINS0_14default_configENS1_25transform_config_selectorIhLb0EEEZNS1_14transform_implILb0ES3_S5_NS0_18transform_iteratorINS0_17counting_iteratorImlEEZNS1_24adjacent_difference_implIS3_Lb1ELb0EPhN6thrust23THRUST_200600_302600_NS16discard_iteratorINSD_11use_defaultEEENSD_5minusIhEEEE10hipError_tPvRmT2_T3_mT4_P12ihipStream_tbEUlmE_hEESB_NS0_8identityIvEEEESJ_SM_SN_mSO_SQ_bEUlT_E_NS1_11comp_targetILNS1_3genE10ELNS1_11target_archE1201ELNS1_3gpuE5ELNS1_3repE0EEENS1_30default_config_static_selectorELNS0_4arch9wavefront6targetE1EEEvT1_, .Lfunc_end688-_ZN7rocprim17ROCPRIM_400000_NS6detail17trampoline_kernelINS0_14default_configENS1_25transform_config_selectorIhLb0EEEZNS1_14transform_implILb0ES3_S5_NS0_18transform_iteratorINS0_17counting_iteratorImlEEZNS1_24adjacent_difference_implIS3_Lb1ELb0EPhN6thrust23THRUST_200600_302600_NS16discard_iteratorINSD_11use_defaultEEENSD_5minusIhEEEE10hipError_tPvRmT2_T3_mT4_P12ihipStream_tbEUlmE_hEESB_NS0_8identityIvEEEESJ_SM_SN_mSO_SQ_bEUlT_E_NS1_11comp_targetILNS1_3genE10ELNS1_11target_archE1201ELNS1_3gpuE5ELNS1_3repE0EEENS1_30default_config_static_selectorELNS0_4arch9wavefront6targetE1EEEvT1_
                                        ; -- End function
	.section	.AMDGPU.csdata,"",@progbits
; Kernel info:
; codeLenInByte = 0
; NumSgprs: 4
; NumVgprs: 0
; NumAgprs: 0
; TotalNumVgprs: 0
; ScratchSize: 0
; MemoryBound: 0
; FloatMode: 240
; IeeeMode: 1
; LDSByteSize: 0 bytes/workgroup (compile time only)
; SGPRBlocks: 0
; VGPRBlocks: 0
; NumSGPRsForWavesPerEU: 4
; NumVGPRsForWavesPerEU: 1
; AccumOffset: 4
; Occupancy: 8
; WaveLimiterHint : 0
; COMPUTE_PGM_RSRC2:SCRATCH_EN: 0
; COMPUTE_PGM_RSRC2:USER_SGPR: 6
; COMPUTE_PGM_RSRC2:TRAP_HANDLER: 0
; COMPUTE_PGM_RSRC2:TGID_X_EN: 1
; COMPUTE_PGM_RSRC2:TGID_Y_EN: 0
; COMPUTE_PGM_RSRC2:TGID_Z_EN: 0
; COMPUTE_PGM_RSRC2:TIDIG_COMP_CNT: 0
; COMPUTE_PGM_RSRC3_GFX90A:ACCUM_OFFSET: 0
; COMPUTE_PGM_RSRC3_GFX90A:TG_SPLIT: 0
	.section	.text._ZN7rocprim17ROCPRIM_400000_NS6detail17trampoline_kernelINS0_14default_configENS1_25transform_config_selectorIhLb0EEEZNS1_14transform_implILb0ES3_S5_NS0_18transform_iteratorINS0_17counting_iteratorImlEEZNS1_24adjacent_difference_implIS3_Lb1ELb0EPhN6thrust23THRUST_200600_302600_NS16discard_iteratorINSD_11use_defaultEEENSD_5minusIhEEEE10hipError_tPvRmT2_T3_mT4_P12ihipStream_tbEUlmE_hEESB_NS0_8identityIvEEEESJ_SM_SN_mSO_SQ_bEUlT_E_NS1_11comp_targetILNS1_3genE10ELNS1_11target_archE1200ELNS1_3gpuE4ELNS1_3repE0EEENS1_30default_config_static_selectorELNS0_4arch9wavefront6targetE1EEEvT1_,"axG",@progbits,_ZN7rocprim17ROCPRIM_400000_NS6detail17trampoline_kernelINS0_14default_configENS1_25transform_config_selectorIhLb0EEEZNS1_14transform_implILb0ES3_S5_NS0_18transform_iteratorINS0_17counting_iteratorImlEEZNS1_24adjacent_difference_implIS3_Lb1ELb0EPhN6thrust23THRUST_200600_302600_NS16discard_iteratorINSD_11use_defaultEEENSD_5minusIhEEEE10hipError_tPvRmT2_T3_mT4_P12ihipStream_tbEUlmE_hEESB_NS0_8identityIvEEEESJ_SM_SN_mSO_SQ_bEUlT_E_NS1_11comp_targetILNS1_3genE10ELNS1_11target_archE1200ELNS1_3gpuE4ELNS1_3repE0EEENS1_30default_config_static_selectorELNS0_4arch9wavefront6targetE1EEEvT1_,comdat
	.protected	_ZN7rocprim17ROCPRIM_400000_NS6detail17trampoline_kernelINS0_14default_configENS1_25transform_config_selectorIhLb0EEEZNS1_14transform_implILb0ES3_S5_NS0_18transform_iteratorINS0_17counting_iteratorImlEEZNS1_24adjacent_difference_implIS3_Lb1ELb0EPhN6thrust23THRUST_200600_302600_NS16discard_iteratorINSD_11use_defaultEEENSD_5minusIhEEEE10hipError_tPvRmT2_T3_mT4_P12ihipStream_tbEUlmE_hEESB_NS0_8identityIvEEEESJ_SM_SN_mSO_SQ_bEUlT_E_NS1_11comp_targetILNS1_3genE10ELNS1_11target_archE1200ELNS1_3gpuE4ELNS1_3repE0EEENS1_30default_config_static_selectorELNS0_4arch9wavefront6targetE1EEEvT1_ ; -- Begin function _ZN7rocprim17ROCPRIM_400000_NS6detail17trampoline_kernelINS0_14default_configENS1_25transform_config_selectorIhLb0EEEZNS1_14transform_implILb0ES3_S5_NS0_18transform_iteratorINS0_17counting_iteratorImlEEZNS1_24adjacent_difference_implIS3_Lb1ELb0EPhN6thrust23THRUST_200600_302600_NS16discard_iteratorINSD_11use_defaultEEENSD_5minusIhEEEE10hipError_tPvRmT2_T3_mT4_P12ihipStream_tbEUlmE_hEESB_NS0_8identityIvEEEESJ_SM_SN_mSO_SQ_bEUlT_E_NS1_11comp_targetILNS1_3genE10ELNS1_11target_archE1200ELNS1_3gpuE4ELNS1_3repE0EEENS1_30default_config_static_selectorELNS0_4arch9wavefront6targetE1EEEvT1_
	.globl	_ZN7rocprim17ROCPRIM_400000_NS6detail17trampoline_kernelINS0_14default_configENS1_25transform_config_selectorIhLb0EEEZNS1_14transform_implILb0ES3_S5_NS0_18transform_iteratorINS0_17counting_iteratorImlEEZNS1_24adjacent_difference_implIS3_Lb1ELb0EPhN6thrust23THRUST_200600_302600_NS16discard_iteratorINSD_11use_defaultEEENSD_5minusIhEEEE10hipError_tPvRmT2_T3_mT4_P12ihipStream_tbEUlmE_hEESB_NS0_8identityIvEEEESJ_SM_SN_mSO_SQ_bEUlT_E_NS1_11comp_targetILNS1_3genE10ELNS1_11target_archE1200ELNS1_3gpuE4ELNS1_3repE0EEENS1_30default_config_static_selectorELNS0_4arch9wavefront6targetE1EEEvT1_
	.p2align	8
	.type	_ZN7rocprim17ROCPRIM_400000_NS6detail17trampoline_kernelINS0_14default_configENS1_25transform_config_selectorIhLb0EEEZNS1_14transform_implILb0ES3_S5_NS0_18transform_iteratorINS0_17counting_iteratorImlEEZNS1_24adjacent_difference_implIS3_Lb1ELb0EPhN6thrust23THRUST_200600_302600_NS16discard_iteratorINSD_11use_defaultEEENSD_5minusIhEEEE10hipError_tPvRmT2_T3_mT4_P12ihipStream_tbEUlmE_hEESB_NS0_8identityIvEEEESJ_SM_SN_mSO_SQ_bEUlT_E_NS1_11comp_targetILNS1_3genE10ELNS1_11target_archE1200ELNS1_3gpuE4ELNS1_3repE0EEENS1_30default_config_static_selectorELNS0_4arch9wavefront6targetE1EEEvT1_,@function
_ZN7rocprim17ROCPRIM_400000_NS6detail17trampoline_kernelINS0_14default_configENS1_25transform_config_selectorIhLb0EEEZNS1_14transform_implILb0ES3_S5_NS0_18transform_iteratorINS0_17counting_iteratorImlEEZNS1_24adjacent_difference_implIS3_Lb1ELb0EPhN6thrust23THRUST_200600_302600_NS16discard_iteratorINSD_11use_defaultEEENSD_5minusIhEEEE10hipError_tPvRmT2_T3_mT4_P12ihipStream_tbEUlmE_hEESB_NS0_8identityIvEEEESJ_SM_SN_mSO_SQ_bEUlT_E_NS1_11comp_targetILNS1_3genE10ELNS1_11target_archE1200ELNS1_3gpuE4ELNS1_3repE0EEENS1_30default_config_static_selectorELNS0_4arch9wavefront6targetE1EEEvT1_: ; @_ZN7rocprim17ROCPRIM_400000_NS6detail17trampoline_kernelINS0_14default_configENS1_25transform_config_selectorIhLb0EEEZNS1_14transform_implILb0ES3_S5_NS0_18transform_iteratorINS0_17counting_iteratorImlEEZNS1_24adjacent_difference_implIS3_Lb1ELb0EPhN6thrust23THRUST_200600_302600_NS16discard_iteratorINSD_11use_defaultEEENSD_5minusIhEEEE10hipError_tPvRmT2_T3_mT4_P12ihipStream_tbEUlmE_hEESB_NS0_8identityIvEEEESJ_SM_SN_mSO_SQ_bEUlT_E_NS1_11comp_targetILNS1_3genE10ELNS1_11target_archE1200ELNS1_3gpuE4ELNS1_3repE0EEENS1_30default_config_static_selectorELNS0_4arch9wavefront6targetE1EEEvT1_
; %bb.0:
	.section	.rodata,"a",@progbits
	.p2align	6, 0x0
	.amdhsa_kernel _ZN7rocprim17ROCPRIM_400000_NS6detail17trampoline_kernelINS0_14default_configENS1_25transform_config_selectorIhLb0EEEZNS1_14transform_implILb0ES3_S5_NS0_18transform_iteratorINS0_17counting_iteratorImlEEZNS1_24adjacent_difference_implIS3_Lb1ELb0EPhN6thrust23THRUST_200600_302600_NS16discard_iteratorINSD_11use_defaultEEENSD_5minusIhEEEE10hipError_tPvRmT2_T3_mT4_P12ihipStream_tbEUlmE_hEESB_NS0_8identityIvEEEESJ_SM_SN_mSO_SQ_bEUlT_E_NS1_11comp_targetILNS1_3genE10ELNS1_11target_archE1200ELNS1_3gpuE4ELNS1_3repE0EEENS1_30default_config_static_selectorELNS0_4arch9wavefront6targetE1EEEvT1_
		.amdhsa_group_segment_fixed_size 0
		.amdhsa_private_segment_fixed_size 0
		.amdhsa_kernarg_size 56
		.amdhsa_user_sgpr_count 6
		.amdhsa_user_sgpr_private_segment_buffer 1
		.amdhsa_user_sgpr_dispatch_ptr 0
		.amdhsa_user_sgpr_queue_ptr 0
		.amdhsa_user_sgpr_kernarg_segment_ptr 1
		.amdhsa_user_sgpr_dispatch_id 0
		.amdhsa_user_sgpr_flat_scratch_init 0
		.amdhsa_user_sgpr_kernarg_preload_length 0
		.amdhsa_user_sgpr_kernarg_preload_offset 0
		.amdhsa_user_sgpr_private_segment_size 0
		.amdhsa_uses_dynamic_stack 0
		.amdhsa_system_sgpr_private_segment_wavefront_offset 0
		.amdhsa_system_sgpr_workgroup_id_x 1
		.amdhsa_system_sgpr_workgroup_id_y 0
		.amdhsa_system_sgpr_workgroup_id_z 0
		.amdhsa_system_sgpr_workgroup_info 0
		.amdhsa_system_vgpr_workitem_id 0
		.amdhsa_next_free_vgpr 1
		.amdhsa_next_free_sgpr 0
		.amdhsa_accum_offset 4
		.amdhsa_reserve_vcc 0
		.amdhsa_reserve_flat_scratch 0
		.amdhsa_float_round_mode_32 0
		.amdhsa_float_round_mode_16_64 0
		.amdhsa_float_denorm_mode_32 3
		.amdhsa_float_denorm_mode_16_64 3
		.amdhsa_dx10_clamp 1
		.amdhsa_ieee_mode 1
		.amdhsa_fp16_overflow 0
		.amdhsa_tg_split 0
		.amdhsa_exception_fp_ieee_invalid_op 0
		.amdhsa_exception_fp_denorm_src 0
		.amdhsa_exception_fp_ieee_div_zero 0
		.amdhsa_exception_fp_ieee_overflow 0
		.amdhsa_exception_fp_ieee_underflow 0
		.amdhsa_exception_fp_ieee_inexact 0
		.amdhsa_exception_int_div_zero 0
	.end_amdhsa_kernel
	.section	.text._ZN7rocprim17ROCPRIM_400000_NS6detail17trampoline_kernelINS0_14default_configENS1_25transform_config_selectorIhLb0EEEZNS1_14transform_implILb0ES3_S5_NS0_18transform_iteratorINS0_17counting_iteratorImlEEZNS1_24adjacent_difference_implIS3_Lb1ELb0EPhN6thrust23THRUST_200600_302600_NS16discard_iteratorINSD_11use_defaultEEENSD_5minusIhEEEE10hipError_tPvRmT2_T3_mT4_P12ihipStream_tbEUlmE_hEESB_NS0_8identityIvEEEESJ_SM_SN_mSO_SQ_bEUlT_E_NS1_11comp_targetILNS1_3genE10ELNS1_11target_archE1200ELNS1_3gpuE4ELNS1_3repE0EEENS1_30default_config_static_selectorELNS0_4arch9wavefront6targetE1EEEvT1_,"axG",@progbits,_ZN7rocprim17ROCPRIM_400000_NS6detail17trampoline_kernelINS0_14default_configENS1_25transform_config_selectorIhLb0EEEZNS1_14transform_implILb0ES3_S5_NS0_18transform_iteratorINS0_17counting_iteratorImlEEZNS1_24adjacent_difference_implIS3_Lb1ELb0EPhN6thrust23THRUST_200600_302600_NS16discard_iteratorINSD_11use_defaultEEENSD_5minusIhEEEE10hipError_tPvRmT2_T3_mT4_P12ihipStream_tbEUlmE_hEESB_NS0_8identityIvEEEESJ_SM_SN_mSO_SQ_bEUlT_E_NS1_11comp_targetILNS1_3genE10ELNS1_11target_archE1200ELNS1_3gpuE4ELNS1_3repE0EEENS1_30default_config_static_selectorELNS0_4arch9wavefront6targetE1EEEvT1_,comdat
.Lfunc_end689:
	.size	_ZN7rocprim17ROCPRIM_400000_NS6detail17trampoline_kernelINS0_14default_configENS1_25transform_config_selectorIhLb0EEEZNS1_14transform_implILb0ES3_S5_NS0_18transform_iteratorINS0_17counting_iteratorImlEEZNS1_24adjacent_difference_implIS3_Lb1ELb0EPhN6thrust23THRUST_200600_302600_NS16discard_iteratorINSD_11use_defaultEEENSD_5minusIhEEEE10hipError_tPvRmT2_T3_mT4_P12ihipStream_tbEUlmE_hEESB_NS0_8identityIvEEEESJ_SM_SN_mSO_SQ_bEUlT_E_NS1_11comp_targetILNS1_3genE10ELNS1_11target_archE1200ELNS1_3gpuE4ELNS1_3repE0EEENS1_30default_config_static_selectorELNS0_4arch9wavefront6targetE1EEEvT1_, .Lfunc_end689-_ZN7rocprim17ROCPRIM_400000_NS6detail17trampoline_kernelINS0_14default_configENS1_25transform_config_selectorIhLb0EEEZNS1_14transform_implILb0ES3_S5_NS0_18transform_iteratorINS0_17counting_iteratorImlEEZNS1_24adjacent_difference_implIS3_Lb1ELb0EPhN6thrust23THRUST_200600_302600_NS16discard_iteratorINSD_11use_defaultEEENSD_5minusIhEEEE10hipError_tPvRmT2_T3_mT4_P12ihipStream_tbEUlmE_hEESB_NS0_8identityIvEEEESJ_SM_SN_mSO_SQ_bEUlT_E_NS1_11comp_targetILNS1_3genE10ELNS1_11target_archE1200ELNS1_3gpuE4ELNS1_3repE0EEENS1_30default_config_static_selectorELNS0_4arch9wavefront6targetE1EEEvT1_
                                        ; -- End function
	.section	.AMDGPU.csdata,"",@progbits
; Kernel info:
; codeLenInByte = 0
; NumSgprs: 4
; NumVgprs: 0
; NumAgprs: 0
; TotalNumVgprs: 0
; ScratchSize: 0
; MemoryBound: 0
; FloatMode: 240
; IeeeMode: 1
; LDSByteSize: 0 bytes/workgroup (compile time only)
; SGPRBlocks: 0
; VGPRBlocks: 0
; NumSGPRsForWavesPerEU: 4
; NumVGPRsForWavesPerEU: 1
; AccumOffset: 4
; Occupancy: 8
; WaveLimiterHint : 0
; COMPUTE_PGM_RSRC2:SCRATCH_EN: 0
; COMPUTE_PGM_RSRC2:USER_SGPR: 6
; COMPUTE_PGM_RSRC2:TRAP_HANDLER: 0
; COMPUTE_PGM_RSRC2:TGID_X_EN: 1
; COMPUTE_PGM_RSRC2:TGID_Y_EN: 0
; COMPUTE_PGM_RSRC2:TGID_Z_EN: 0
; COMPUTE_PGM_RSRC2:TIDIG_COMP_CNT: 0
; COMPUTE_PGM_RSRC3_GFX90A:ACCUM_OFFSET: 0
; COMPUTE_PGM_RSRC3_GFX90A:TG_SPLIT: 0
	.section	.text._ZN7rocprim17ROCPRIM_400000_NS6detail17trampoline_kernelINS0_14default_configENS1_25transform_config_selectorIhLb0EEEZNS1_14transform_implILb0ES3_S5_NS0_18transform_iteratorINS0_17counting_iteratorImlEEZNS1_24adjacent_difference_implIS3_Lb1ELb0EPhN6thrust23THRUST_200600_302600_NS16discard_iteratorINSD_11use_defaultEEENSD_5minusIhEEEE10hipError_tPvRmT2_T3_mT4_P12ihipStream_tbEUlmE_hEESB_NS0_8identityIvEEEESJ_SM_SN_mSO_SQ_bEUlT_E_NS1_11comp_targetILNS1_3genE9ELNS1_11target_archE1100ELNS1_3gpuE3ELNS1_3repE0EEENS1_30default_config_static_selectorELNS0_4arch9wavefront6targetE1EEEvT1_,"axG",@progbits,_ZN7rocprim17ROCPRIM_400000_NS6detail17trampoline_kernelINS0_14default_configENS1_25transform_config_selectorIhLb0EEEZNS1_14transform_implILb0ES3_S5_NS0_18transform_iteratorINS0_17counting_iteratorImlEEZNS1_24adjacent_difference_implIS3_Lb1ELb0EPhN6thrust23THRUST_200600_302600_NS16discard_iteratorINSD_11use_defaultEEENSD_5minusIhEEEE10hipError_tPvRmT2_T3_mT4_P12ihipStream_tbEUlmE_hEESB_NS0_8identityIvEEEESJ_SM_SN_mSO_SQ_bEUlT_E_NS1_11comp_targetILNS1_3genE9ELNS1_11target_archE1100ELNS1_3gpuE3ELNS1_3repE0EEENS1_30default_config_static_selectorELNS0_4arch9wavefront6targetE1EEEvT1_,comdat
	.protected	_ZN7rocprim17ROCPRIM_400000_NS6detail17trampoline_kernelINS0_14default_configENS1_25transform_config_selectorIhLb0EEEZNS1_14transform_implILb0ES3_S5_NS0_18transform_iteratorINS0_17counting_iteratorImlEEZNS1_24adjacent_difference_implIS3_Lb1ELb0EPhN6thrust23THRUST_200600_302600_NS16discard_iteratorINSD_11use_defaultEEENSD_5minusIhEEEE10hipError_tPvRmT2_T3_mT4_P12ihipStream_tbEUlmE_hEESB_NS0_8identityIvEEEESJ_SM_SN_mSO_SQ_bEUlT_E_NS1_11comp_targetILNS1_3genE9ELNS1_11target_archE1100ELNS1_3gpuE3ELNS1_3repE0EEENS1_30default_config_static_selectorELNS0_4arch9wavefront6targetE1EEEvT1_ ; -- Begin function _ZN7rocprim17ROCPRIM_400000_NS6detail17trampoline_kernelINS0_14default_configENS1_25transform_config_selectorIhLb0EEEZNS1_14transform_implILb0ES3_S5_NS0_18transform_iteratorINS0_17counting_iteratorImlEEZNS1_24adjacent_difference_implIS3_Lb1ELb0EPhN6thrust23THRUST_200600_302600_NS16discard_iteratorINSD_11use_defaultEEENSD_5minusIhEEEE10hipError_tPvRmT2_T3_mT4_P12ihipStream_tbEUlmE_hEESB_NS0_8identityIvEEEESJ_SM_SN_mSO_SQ_bEUlT_E_NS1_11comp_targetILNS1_3genE9ELNS1_11target_archE1100ELNS1_3gpuE3ELNS1_3repE0EEENS1_30default_config_static_selectorELNS0_4arch9wavefront6targetE1EEEvT1_
	.globl	_ZN7rocprim17ROCPRIM_400000_NS6detail17trampoline_kernelINS0_14default_configENS1_25transform_config_selectorIhLb0EEEZNS1_14transform_implILb0ES3_S5_NS0_18transform_iteratorINS0_17counting_iteratorImlEEZNS1_24adjacent_difference_implIS3_Lb1ELb0EPhN6thrust23THRUST_200600_302600_NS16discard_iteratorINSD_11use_defaultEEENSD_5minusIhEEEE10hipError_tPvRmT2_T3_mT4_P12ihipStream_tbEUlmE_hEESB_NS0_8identityIvEEEESJ_SM_SN_mSO_SQ_bEUlT_E_NS1_11comp_targetILNS1_3genE9ELNS1_11target_archE1100ELNS1_3gpuE3ELNS1_3repE0EEENS1_30default_config_static_selectorELNS0_4arch9wavefront6targetE1EEEvT1_
	.p2align	8
	.type	_ZN7rocprim17ROCPRIM_400000_NS6detail17trampoline_kernelINS0_14default_configENS1_25transform_config_selectorIhLb0EEEZNS1_14transform_implILb0ES3_S5_NS0_18transform_iteratorINS0_17counting_iteratorImlEEZNS1_24adjacent_difference_implIS3_Lb1ELb0EPhN6thrust23THRUST_200600_302600_NS16discard_iteratorINSD_11use_defaultEEENSD_5minusIhEEEE10hipError_tPvRmT2_T3_mT4_P12ihipStream_tbEUlmE_hEESB_NS0_8identityIvEEEESJ_SM_SN_mSO_SQ_bEUlT_E_NS1_11comp_targetILNS1_3genE9ELNS1_11target_archE1100ELNS1_3gpuE3ELNS1_3repE0EEENS1_30default_config_static_selectorELNS0_4arch9wavefront6targetE1EEEvT1_,@function
_ZN7rocprim17ROCPRIM_400000_NS6detail17trampoline_kernelINS0_14default_configENS1_25transform_config_selectorIhLb0EEEZNS1_14transform_implILb0ES3_S5_NS0_18transform_iteratorINS0_17counting_iteratorImlEEZNS1_24adjacent_difference_implIS3_Lb1ELb0EPhN6thrust23THRUST_200600_302600_NS16discard_iteratorINSD_11use_defaultEEENSD_5minusIhEEEE10hipError_tPvRmT2_T3_mT4_P12ihipStream_tbEUlmE_hEESB_NS0_8identityIvEEEESJ_SM_SN_mSO_SQ_bEUlT_E_NS1_11comp_targetILNS1_3genE9ELNS1_11target_archE1100ELNS1_3gpuE3ELNS1_3repE0EEENS1_30default_config_static_selectorELNS0_4arch9wavefront6targetE1EEEvT1_: ; @_ZN7rocprim17ROCPRIM_400000_NS6detail17trampoline_kernelINS0_14default_configENS1_25transform_config_selectorIhLb0EEEZNS1_14transform_implILb0ES3_S5_NS0_18transform_iteratorINS0_17counting_iteratorImlEEZNS1_24adjacent_difference_implIS3_Lb1ELb0EPhN6thrust23THRUST_200600_302600_NS16discard_iteratorINSD_11use_defaultEEENSD_5minusIhEEEE10hipError_tPvRmT2_T3_mT4_P12ihipStream_tbEUlmE_hEESB_NS0_8identityIvEEEESJ_SM_SN_mSO_SQ_bEUlT_E_NS1_11comp_targetILNS1_3genE9ELNS1_11target_archE1100ELNS1_3gpuE3ELNS1_3repE0EEENS1_30default_config_static_selectorELNS0_4arch9wavefront6targetE1EEEvT1_
; %bb.0:
	.section	.rodata,"a",@progbits
	.p2align	6, 0x0
	.amdhsa_kernel _ZN7rocprim17ROCPRIM_400000_NS6detail17trampoline_kernelINS0_14default_configENS1_25transform_config_selectorIhLb0EEEZNS1_14transform_implILb0ES3_S5_NS0_18transform_iteratorINS0_17counting_iteratorImlEEZNS1_24adjacent_difference_implIS3_Lb1ELb0EPhN6thrust23THRUST_200600_302600_NS16discard_iteratorINSD_11use_defaultEEENSD_5minusIhEEEE10hipError_tPvRmT2_T3_mT4_P12ihipStream_tbEUlmE_hEESB_NS0_8identityIvEEEESJ_SM_SN_mSO_SQ_bEUlT_E_NS1_11comp_targetILNS1_3genE9ELNS1_11target_archE1100ELNS1_3gpuE3ELNS1_3repE0EEENS1_30default_config_static_selectorELNS0_4arch9wavefront6targetE1EEEvT1_
		.amdhsa_group_segment_fixed_size 0
		.amdhsa_private_segment_fixed_size 0
		.amdhsa_kernarg_size 56
		.amdhsa_user_sgpr_count 6
		.amdhsa_user_sgpr_private_segment_buffer 1
		.amdhsa_user_sgpr_dispatch_ptr 0
		.amdhsa_user_sgpr_queue_ptr 0
		.amdhsa_user_sgpr_kernarg_segment_ptr 1
		.amdhsa_user_sgpr_dispatch_id 0
		.amdhsa_user_sgpr_flat_scratch_init 0
		.amdhsa_user_sgpr_kernarg_preload_length 0
		.amdhsa_user_sgpr_kernarg_preload_offset 0
		.amdhsa_user_sgpr_private_segment_size 0
		.amdhsa_uses_dynamic_stack 0
		.amdhsa_system_sgpr_private_segment_wavefront_offset 0
		.amdhsa_system_sgpr_workgroup_id_x 1
		.amdhsa_system_sgpr_workgroup_id_y 0
		.amdhsa_system_sgpr_workgroup_id_z 0
		.amdhsa_system_sgpr_workgroup_info 0
		.amdhsa_system_vgpr_workitem_id 0
		.amdhsa_next_free_vgpr 1
		.amdhsa_next_free_sgpr 0
		.amdhsa_accum_offset 4
		.amdhsa_reserve_vcc 0
		.amdhsa_reserve_flat_scratch 0
		.amdhsa_float_round_mode_32 0
		.amdhsa_float_round_mode_16_64 0
		.amdhsa_float_denorm_mode_32 3
		.amdhsa_float_denorm_mode_16_64 3
		.amdhsa_dx10_clamp 1
		.amdhsa_ieee_mode 1
		.amdhsa_fp16_overflow 0
		.amdhsa_tg_split 0
		.amdhsa_exception_fp_ieee_invalid_op 0
		.amdhsa_exception_fp_denorm_src 0
		.amdhsa_exception_fp_ieee_div_zero 0
		.amdhsa_exception_fp_ieee_overflow 0
		.amdhsa_exception_fp_ieee_underflow 0
		.amdhsa_exception_fp_ieee_inexact 0
		.amdhsa_exception_int_div_zero 0
	.end_amdhsa_kernel
	.section	.text._ZN7rocprim17ROCPRIM_400000_NS6detail17trampoline_kernelINS0_14default_configENS1_25transform_config_selectorIhLb0EEEZNS1_14transform_implILb0ES3_S5_NS0_18transform_iteratorINS0_17counting_iteratorImlEEZNS1_24adjacent_difference_implIS3_Lb1ELb0EPhN6thrust23THRUST_200600_302600_NS16discard_iteratorINSD_11use_defaultEEENSD_5minusIhEEEE10hipError_tPvRmT2_T3_mT4_P12ihipStream_tbEUlmE_hEESB_NS0_8identityIvEEEESJ_SM_SN_mSO_SQ_bEUlT_E_NS1_11comp_targetILNS1_3genE9ELNS1_11target_archE1100ELNS1_3gpuE3ELNS1_3repE0EEENS1_30default_config_static_selectorELNS0_4arch9wavefront6targetE1EEEvT1_,"axG",@progbits,_ZN7rocprim17ROCPRIM_400000_NS6detail17trampoline_kernelINS0_14default_configENS1_25transform_config_selectorIhLb0EEEZNS1_14transform_implILb0ES3_S5_NS0_18transform_iteratorINS0_17counting_iteratorImlEEZNS1_24adjacent_difference_implIS3_Lb1ELb0EPhN6thrust23THRUST_200600_302600_NS16discard_iteratorINSD_11use_defaultEEENSD_5minusIhEEEE10hipError_tPvRmT2_T3_mT4_P12ihipStream_tbEUlmE_hEESB_NS0_8identityIvEEEESJ_SM_SN_mSO_SQ_bEUlT_E_NS1_11comp_targetILNS1_3genE9ELNS1_11target_archE1100ELNS1_3gpuE3ELNS1_3repE0EEENS1_30default_config_static_selectorELNS0_4arch9wavefront6targetE1EEEvT1_,comdat
.Lfunc_end690:
	.size	_ZN7rocprim17ROCPRIM_400000_NS6detail17trampoline_kernelINS0_14default_configENS1_25transform_config_selectorIhLb0EEEZNS1_14transform_implILb0ES3_S5_NS0_18transform_iteratorINS0_17counting_iteratorImlEEZNS1_24adjacent_difference_implIS3_Lb1ELb0EPhN6thrust23THRUST_200600_302600_NS16discard_iteratorINSD_11use_defaultEEENSD_5minusIhEEEE10hipError_tPvRmT2_T3_mT4_P12ihipStream_tbEUlmE_hEESB_NS0_8identityIvEEEESJ_SM_SN_mSO_SQ_bEUlT_E_NS1_11comp_targetILNS1_3genE9ELNS1_11target_archE1100ELNS1_3gpuE3ELNS1_3repE0EEENS1_30default_config_static_selectorELNS0_4arch9wavefront6targetE1EEEvT1_, .Lfunc_end690-_ZN7rocprim17ROCPRIM_400000_NS6detail17trampoline_kernelINS0_14default_configENS1_25transform_config_selectorIhLb0EEEZNS1_14transform_implILb0ES3_S5_NS0_18transform_iteratorINS0_17counting_iteratorImlEEZNS1_24adjacent_difference_implIS3_Lb1ELb0EPhN6thrust23THRUST_200600_302600_NS16discard_iteratorINSD_11use_defaultEEENSD_5minusIhEEEE10hipError_tPvRmT2_T3_mT4_P12ihipStream_tbEUlmE_hEESB_NS0_8identityIvEEEESJ_SM_SN_mSO_SQ_bEUlT_E_NS1_11comp_targetILNS1_3genE9ELNS1_11target_archE1100ELNS1_3gpuE3ELNS1_3repE0EEENS1_30default_config_static_selectorELNS0_4arch9wavefront6targetE1EEEvT1_
                                        ; -- End function
	.section	.AMDGPU.csdata,"",@progbits
; Kernel info:
; codeLenInByte = 0
; NumSgprs: 4
; NumVgprs: 0
; NumAgprs: 0
; TotalNumVgprs: 0
; ScratchSize: 0
; MemoryBound: 0
; FloatMode: 240
; IeeeMode: 1
; LDSByteSize: 0 bytes/workgroup (compile time only)
; SGPRBlocks: 0
; VGPRBlocks: 0
; NumSGPRsForWavesPerEU: 4
; NumVGPRsForWavesPerEU: 1
; AccumOffset: 4
; Occupancy: 8
; WaveLimiterHint : 0
; COMPUTE_PGM_RSRC2:SCRATCH_EN: 0
; COMPUTE_PGM_RSRC2:USER_SGPR: 6
; COMPUTE_PGM_RSRC2:TRAP_HANDLER: 0
; COMPUTE_PGM_RSRC2:TGID_X_EN: 1
; COMPUTE_PGM_RSRC2:TGID_Y_EN: 0
; COMPUTE_PGM_RSRC2:TGID_Z_EN: 0
; COMPUTE_PGM_RSRC2:TIDIG_COMP_CNT: 0
; COMPUTE_PGM_RSRC3_GFX90A:ACCUM_OFFSET: 0
; COMPUTE_PGM_RSRC3_GFX90A:TG_SPLIT: 0
	.section	.text._ZN7rocprim17ROCPRIM_400000_NS6detail17trampoline_kernelINS0_14default_configENS1_25transform_config_selectorIhLb0EEEZNS1_14transform_implILb0ES3_S5_NS0_18transform_iteratorINS0_17counting_iteratorImlEEZNS1_24adjacent_difference_implIS3_Lb1ELb0EPhN6thrust23THRUST_200600_302600_NS16discard_iteratorINSD_11use_defaultEEENSD_5minusIhEEEE10hipError_tPvRmT2_T3_mT4_P12ihipStream_tbEUlmE_hEESB_NS0_8identityIvEEEESJ_SM_SN_mSO_SQ_bEUlT_E_NS1_11comp_targetILNS1_3genE8ELNS1_11target_archE1030ELNS1_3gpuE2ELNS1_3repE0EEENS1_30default_config_static_selectorELNS0_4arch9wavefront6targetE1EEEvT1_,"axG",@progbits,_ZN7rocprim17ROCPRIM_400000_NS6detail17trampoline_kernelINS0_14default_configENS1_25transform_config_selectorIhLb0EEEZNS1_14transform_implILb0ES3_S5_NS0_18transform_iteratorINS0_17counting_iteratorImlEEZNS1_24adjacent_difference_implIS3_Lb1ELb0EPhN6thrust23THRUST_200600_302600_NS16discard_iteratorINSD_11use_defaultEEENSD_5minusIhEEEE10hipError_tPvRmT2_T3_mT4_P12ihipStream_tbEUlmE_hEESB_NS0_8identityIvEEEESJ_SM_SN_mSO_SQ_bEUlT_E_NS1_11comp_targetILNS1_3genE8ELNS1_11target_archE1030ELNS1_3gpuE2ELNS1_3repE0EEENS1_30default_config_static_selectorELNS0_4arch9wavefront6targetE1EEEvT1_,comdat
	.protected	_ZN7rocprim17ROCPRIM_400000_NS6detail17trampoline_kernelINS0_14default_configENS1_25transform_config_selectorIhLb0EEEZNS1_14transform_implILb0ES3_S5_NS0_18transform_iteratorINS0_17counting_iteratorImlEEZNS1_24adjacent_difference_implIS3_Lb1ELb0EPhN6thrust23THRUST_200600_302600_NS16discard_iteratorINSD_11use_defaultEEENSD_5minusIhEEEE10hipError_tPvRmT2_T3_mT4_P12ihipStream_tbEUlmE_hEESB_NS0_8identityIvEEEESJ_SM_SN_mSO_SQ_bEUlT_E_NS1_11comp_targetILNS1_3genE8ELNS1_11target_archE1030ELNS1_3gpuE2ELNS1_3repE0EEENS1_30default_config_static_selectorELNS0_4arch9wavefront6targetE1EEEvT1_ ; -- Begin function _ZN7rocprim17ROCPRIM_400000_NS6detail17trampoline_kernelINS0_14default_configENS1_25transform_config_selectorIhLb0EEEZNS1_14transform_implILb0ES3_S5_NS0_18transform_iteratorINS0_17counting_iteratorImlEEZNS1_24adjacent_difference_implIS3_Lb1ELb0EPhN6thrust23THRUST_200600_302600_NS16discard_iteratorINSD_11use_defaultEEENSD_5minusIhEEEE10hipError_tPvRmT2_T3_mT4_P12ihipStream_tbEUlmE_hEESB_NS0_8identityIvEEEESJ_SM_SN_mSO_SQ_bEUlT_E_NS1_11comp_targetILNS1_3genE8ELNS1_11target_archE1030ELNS1_3gpuE2ELNS1_3repE0EEENS1_30default_config_static_selectorELNS0_4arch9wavefront6targetE1EEEvT1_
	.globl	_ZN7rocprim17ROCPRIM_400000_NS6detail17trampoline_kernelINS0_14default_configENS1_25transform_config_selectorIhLb0EEEZNS1_14transform_implILb0ES3_S5_NS0_18transform_iteratorINS0_17counting_iteratorImlEEZNS1_24adjacent_difference_implIS3_Lb1ELb0EPhN6thrust23THRUST_200600_302600_NS16discard_iteratorINSD_11use_defaultEEENSD_5minusIhEEEE10hipError_tPvRmT2_T3_mT4_P12ihipStream_tbEUlmE_hEESB_NS0_8identityIvEEEESJ_SM_SN_mSO_SQ_bEUlT_E_NS1_11comp_targetILNS1_3genE8ELNS1_11target_archE1030ELNS1_3gpuE2ELNS1_3repE0EEENS1_30default_config_static_selectorELNS0_4arch9wavefront6targetE1EEEvT1_
	.p2align	8
	.type	_ZN7rocprim17ROCPRIM_400000_NS6detail17trampoline_kernelINS0_14default_configENS1_25transform_config_selectorIhLb0EEEZNS1_14transform_implILb0ES3_S5_NS0_18transform_iteratorINS0_17counting_iteratorImlEEZNS1_24adjacent_difference_implIS3_Lb1ELb0EPhN6thrust23THRUST_200600_302600_NS16discard_iteratorINSD_11use_defaultEEENSD_5minusIhEEEE10hipError_tPvRmT2_T3_mT4_P12ihipStream_tbEUlmE_hEESB_NS0_8identityIvEEEESJ_SM_SN_mSO_SQ_bEUlT_E_NS1_11comp_targetILNS1_3genE8ELNS1_11target_archE1030ELNS1_3gpuE2ELNS1_3repE0EEENS1_30default_config_static_selectorELNS0_4arch9wavefront6targetE1EEEvT1_,@function
_ZN7rocprim17ROCPRIM_400000_NS6detail17trampoline_kernelINS0_14default_configENS1_25transform_config_selectorIhLb0EEEZNS1_14transform_implILb0ES3_S5_NS0_18transform_iteratorINS0_17counting_iteratorImlEEZNS1_24adjacent_difference_implIS3_Lb1ELb0EPhN6thrust23THRUST_200600_302600_NS16discard_iteratorINSD_11use_defaultEEENSD_5minusIhEEEE10hipError_tPvRmT2_T3_mT4_P12ihipStream_tbEUlmE_hEESB_NS0_8identityIvEEEESJ_SM_SN_mSO_SQ_bEUlT_E_NS1_11comp_targetILNS1_3genE8ELNS1_11target_archE1030ELNS1_3gpuE2ELNS1_3repE0EEENS1_30default_config_static_selectorELNS0_4arch9wavefront6targetE1EEEvT1_: ; @_ZN7rocprim17ROCPRIM_400000_NS6detail17trampoline_kernelINS0_14default_configENS1_25transform_config_selectorIhLb0EEEZNS1_14transform_implILb0ES3_S5_NS0_18transform_iteratorINS0_17counting_iteratorImlEEZNS1_24adjacent_difference_implIS3_Lb1ELb0EPhN6thrust23THRUST_200600_302600_NS16discard_iteratorINSD_11use_defaultEEENSD_5minusIhEEEE10hipError_tPvRmT2_T3_mT4_P12ihipStream_tbEUlmE_hEESB_NS0_8identityIvEEEESJ_SM_SN_mSO_SQ_bEUlT_E_NS1_11comp_targetILNS1_3genE8ELNS1_11target_archE1030ELNS1_3gpuE2ELNS1_3repE0EEENS1_30default_config_static_selectorELNS0_4arch9wavefront6targetE1EEEvT1_
; %bb.0:
	.section	.rodata,"a",@progbits
	.p2align	6, 0x0
	.amdhsa_kernel _ZN7rocprim17ROCPRIM_400000_NS6detail17trampoline_kernelINS0_14default_configENS1_25transform_config_selectorIhLb0EEEZNS1_14transform_implILb0ES3_S5_NS0_18transform_iteratorINS0_17counting_iteratorImlEEZNS1_24adjacent_difference_implIS3_Lb1ELb0EPhN6thrust23THRUST_200600_302600_NS16discard_iteratorINSD_11use_defaultEEENSD_5minusIhEEEE10hipError_tPvRmT2_T3_mT4_P12ihipStream_tbEUlmE_hEESB_NS0_8identityIvEEEESJ_SM_SN_mSO_SQ_bEUlT_E_NS1_11comp_targetILNS1_3genE8ELNS1_11target_archE1030ELNS1_3gpuE2ELNS1_3repE0EEENS1_30default_config_static_selectorELNS0_4arch9wavefront6targetE1EEEvT1_
		.amdhsa_group_segment_fixed_size 0
		.amdhsa_private_segment_fixed_size 0
		.amdhsa_kernarg_size 56
		.amdhsa_user_sgpr_count 6
		.amdhsa_user_sgpr_private_segment_buffer 1
		.amdhsa_user_sgpr_dispatch_ptr 0
		.amdhsa_user_sgpr_queue_ptr 0
		.amdhsa_user_sgpr_kernarg_segment_ptr 1
		.amdhsa_user_sgpr_dispatch_id 0
		.amdhsa_user_sgpr_flat_scratch_init 0
		.amdhsa_user_sgpr_kernarg_preload_length 0
		.amdhsa_user_sgpr_kernarg_preload_offset 0
		.amdhsa_user_sgpr_private_segment_size 0
		.amdhsa_uses_dynamic_stack 0
		.amdhsa_system_sgpr_private_segment_wavefront_offset 0
		.amdhsa_system_sgpr_workgroup_id_x 1
		.amdhsa_system_sgpr_workgroup_id_y 0
		.amdhsa_system_sgpr_workgroup_id_z 0
		.amdhsa_system_sgpr_workgroup_info 0
		.amdhsa_system_vgpr_workitem_id 0
		.amdhsa_next_free_vgpr 1
		.amdhsa_next_free_sgpr 0
		.amdhsa_accum_offset 4
		.amdhsa_reserve_vcc 0
		.amdhsa_reserve_flat_scratch 0
		.amdhsa_float_round_mode_32 0
		.amdhsa_float_round_mode_16_64 0
		.amdhsa_float_denorm_mode_32 3
		.amdhsa_float_denorm_mode_16_64 3
		.amdhsa_dx10_clamp 1
		.amdhsa_ieee_mode 1
		.amdhsa_fp16_overflow 0
		.amdhsa_tg_split 0
		.amdhsa_exception_fp_ieee_invalid_op 0
		.amdhsa_exception_fp_denorm_src 0
		.amdhsa_exception_fp_ieee_div_zero 0
		.amdhsa_exception_fp_ieee_overflow 0
		.amdhsa_exception_fp_ieee_underflow 0
		.amdhsa_exception_fp_ieee_inexact 0
		.amdhsa_exception_int_div_zero 0
	.end_amdhsa_kernel
	.section	.text._ZN7rocprim17ROCPRIM_400000_NS6detail17trampoline_kernelINS0_14default_configENS1_25transform_config_selectorIhLb0EEEZNS1_14transform_implILb0ES3_S5_NS0_18transform_iteratorINS0_17counting_iteratorImlEEZNS1_24adjacent_difference_implIS3_Lb1ELb0EPhN6thrust23THRUST_200600_302600_NS16discard_iteratorINSD_11use_defaultEEENSD_5minusIhEEEE10hipError_tPvRmT2_T3_mT4_P12ihipStream_tbEUlmE_hEESB_NS0_8identityIvEEEESJ_SM_SN_mSO_SQ_bEUlT_E_NS1_11comp_targetILNS1_3genE8ELNS1_11target_archE1030ELNS1_3gpuE2ELNS1_3repE0EEENS1_30default_config_static_selectorELNS0_4arch9wavefront6targetE1EEEvT1_,"axG",@progbits,_ZN7rocprim17ROCPRIM_400000_NS6detail17trampoline_kernelINS0_14default_configENS1_25transform_config_selectorIhLb0EEEZNS1_14transform_implILb0ES3_S5_NS0_18transform_iteratorINS0_17counting_iteratorImlEEZNS1_24adjacent_difference_implIS3_Lb1ELb0EPhN6thrust23THRUST_200600_302600_NS16discard_iteratorINSD_11use_defaultEEENSD_5minusIhEEEE10hipError_tPvRmT2_T3_mT4_P12ihipStream_tbEUlmE_hEESB_NS0_8identityIvEEEESJ_SM_SN_mSO_SQ_bEUlT_E_NS1_11comp_targetILNS1_3genE8ELNS1_11target_archE1030ELNS1_3gpuE2ELNS1_3repE0EEENS1_30default_config_static_selectorELNS0_4arch9wavefront6targetE1EEEvT1_,comdat
.Lfunc_end691:
	.size	_ZN7rocprim17ROCPRIM_400000_NS6detail17trampoline_kernelINS0_14default_configENS1_25transform_config_selectorIhLb0EEEZNS1_14transform_implILb0ES3_S5_NS0_18transform_iteratorINS0_17counting_iteratorImlEEZNS1_24adjacent_difference_implIS3_Lb1ELb0EPhN6thrust23THRUST_200600_302600_NS16discard_iteratorINSD_11use_defaultEEENSD_5minusIhEEEE10hipError_tPvRmT2_T3_mT4_P12ihipStream_tbEUlmE_hEESB_NS0_8identityIvEEEESJ_SM_SN_mSO_SQ_bEUlT_E_NS1_11comp_targetILNS1_3genE8ELNS1_11target_archE1030ELNS1_3gpuE2ELNS1_3repE0EEENS1_30default_config_static_selectorELNS0_4arch9wavefront6targetE1EEEvT1_, .Lfunc_end691-_ZN7rocprim17ROCPRIM_400000_NS6detail17trampoline_kernelINS0_14default_configENS1_25transform_config_selectorIhLb0EEEZNS1_14transform_implILb0ES3_S5_NS0_18transform_iteratorINS0_17counting_iteratorImlEEZNS1_24adjacent_difference_implIS3_Lb1ELb0EPhN6thrust23THRUST_200600_302600_NS16discard_iteratorINSD_11use_defaultEEENSD_5minusIhEEEE10hipError_tPvRmT2_T3_mT4_P12ihipStream_tbEUlmE_hEESB_NS0_8identityIvEEEESJ_SM_SN_mSO_SQ_bEUlT_E_NS1_11comp_targetILNS1_3genE8ELNS1_11target_archE1030ELNS1_3gpuE2ELNS1_3repE0EEENS1_30default_config_static_selectorELNS0_4arch9wavefront6targetE1EEEvT1_
                                        ; -- End function
	.section	.AMDGPU.csdata,"",@progbits
; Kernel info:
; codeLenInByte = 0
; NumSgprs: 4
; NumVgprs: 0
; NumAgprs: 0
; TotalNumVgprs: 0
; ScratchSize: 0
; MemoryBound: 0
; FloatMode: 240
; IeeeMode: 1
; LDSByteSize: 0 bytes/workgroup (compile time only)
; SGPRBlocks: 0
; VGPRBlocks: 0
; NumSGPRsForWavesPerEU: 4
; NumVGPRsForWavesPerEU: 1
; AccumOffset: 4
; Occupancy: 8
; WaveLimiterHint : 0
; COMPUTE_PGM_RSRC2:SCRATCH_EN: 0
; COMPUTE_PGM_RSRC2:USER_SGPR: 6
; COMPUTE_PGM_RSRC2:TRAP_HANDLER: 0
; COMPUTE_PGM_RSRC2:TGID_X_EN: 1
; COMPUTE_PGM_RSRC2:TGID_Y_EN: 0
; COMPUTE_PGM_RSRC2:TGID_Z_EN: 0
; COMPUTE_PGM_RSRC2:TIDIG_COMP_CNT: 0
; COMPUTE_PGM_RSRC3_GFX90A:ACCUM_OFFSET: 0
; COMPUTE_PGM_RSRC3_GFX90A:TG_SPLIT: 0
	.section	.text._ZN7rocprim17ROCPRIM_400000_NS6detail17trampoline_kernelINS0_14default_configENS1_35adjacent_difference_config_selectorILb1EhEEZNS1_24adjacent_difference_implIS3_Lb1ELb0EPhN6thrust23THRUST_200600_302600_NS16discard_iteratorINS9_11use_defaultEEENS9_5minusIhEEEE10hipError_tPvRmT2_T3_mT4_P12ihipStream_tbEUlT_E_NS1_11comp_targetILNS1_3genE0ELNS1_11target_archE4294967295ELNS1_3gpuE0ELNS1_3repE0EEENS1_30default_config_static_selectorELNS0_4arch9wavefront6targetE1EEEvT1_,"axG",@progbits,_ZN7rocprim17ROCPRIM_400000_NS6detail17trampoline_kernelINS0_14default_configENS1_35adjacent_difference_config_selectorILb1EhEEZNS1_24adjacent_difference_implIS3_Lb1ELb0EPhN6thrust23THRUST_200600_302600_NS16discard_iteratorINS9_11use_defaultEEENS9_5minusIhEEEE10hipError_tPvRmT2_T3_mT4_P12ihipStream_tbEUlT_E_NS1_11comp_targetILNS1_3genE0ELNS1_11target_archE4294967295ELNS1_3gpuE0ELNS1_3repE0EEENS1_30default_config_static_selectorELNS0_4arch9wavefront6targetE1EEEvT1_,comdat
	.protected	_ZN7rocprim17ROCPRIM_400000_NS6detail17trampoline_kernelINS0_14default_configENS1_35adjacent_difference_config_selectorILb1EhEEZNS1_24adjacent_difference_implIS3_Lb1ELb0EPhN6thrust23THRUST_200600_302600_NS16discard_iteratorINS9_11use_defaultEEENS9_5minusIhEEEE10hipError_tPvRmT2_T3_mT4_P12ihipStream_tbEUlT_E_NS1_11comp_targetILNS1_3genE0ELNS1_11target_archE4294967295ELNS1_3gpuE0ELNS1_3repE0EEENS1_30default_config_static_selectorELNS0_4arch9wavefront6targetE1EEEvT1_ ; -- Begin function _ZN7rocprim17ROCPRIM_400000_NS6detail17trampoline_kernelINS0_14default_configENS1_35adjacent_difference_config_selectorILb1EhEEZNS1_24adjacent_difference_implIS3_Lb1ELb0EPhN6thrust23THRUST_200600_302600_NS16discard_iteratorINS9_11use_defaultEEENS9_5minusIhEEEE10hipError_tPvRmT2_T3_mT4_P12ihipStream_tbEUlT_E_NS1_11comp_targetILNS1_3genE0ELNS1_11target_archE4294967295ELNS1_3gpuE0ELNS1_3repE0EEENS1_30default_config_static_selectorELNS0_4arch9wavefront6targetE1EEEvT1_
	.globl	_ZN7rocprim17ROCPRIM_400000_NS6detail17trampoline_kernelINS0_14default_configENS1_35adjacent_difference_config_selectorILb1EhEEZNS1_24adjacent_difference_implIS3_Lb1ELb0EPhN6thrust23THRUST_200600_302600_NS16discard_iteratorINS9_11use_defaultEEENS9_5minusIhEEEE10hipError_tPvRmT2_T3_mT4_P12ihipStream_tbEUlT_E_NS1_11comp_targetILNS1_3genE0ELNS1_11target_archE4294967295ELNS1_3gpuE0ELNS1_3repE0EEENS1_30default_config_static_selectorELNS0_4arch9wavefront6targetE1EEEvT1_
	.p2align	8
	.type	_ZN7rocprim17ROCPRIM_400000_NS6detail17trampoline_kernelINS0_14default_configENS1_35adjacent_difference_config_selectorILb1EhEEZNS1_24adjacent_difference_implIS3_Lb1ELb0EPhN6thrust23THRUST_200600_302600_NS16discard_iteratorINS9_11use_defaultEEENS9_5minusIhEEEE10hipError_tPvRmT2_T3_mT4_P12ihipStream_tbEUlT_E_NS1_11comp_targetILNS1_3genE0ELNS1_11target_archE4294967295ELNS1_3gpuE0ELNS1_3repE0EEENS1_30default_config_static_selectorELNS0_4arch9wavefront6targetE1EEEvT1_,@function
_ZN7rocprim17ROCPRIM_400000_NS6detail17trampoline_kernelINS0_14default_configENS1_35adjacent_difference_config_selectorILb1EhEEZNS1_24adjacent_difference_implIS3_Lb1ELb0EPhN6thrust23THRUST_200600_302600_NS16discard_iteratorINS9_11use_defaultEEENS9_5minusIhEEEE10hipError_tPvRmT2_T3_mT4_P12ihipStream_tbEUlT_E_NS1_11comp_targetILNS1_3genE0ELNS1_11target_archE4294967295ELNS1_3gpuE0ELNS1_3repE0EEENS1_30default_config_static_selectorELNS0_4arch9wavefront6targetE1EEEvT1_: ; @_ZN7rocprim17ROCPRIM_400000_NS6detail17trampoline_kernelINS0_14default_configENS1_35adjacent_difference_config_selectorILb1EhEEZNS1_24adjacent_difference_implIS3_Lb1ELb0EPhN6thrust23THRUST_200600_302600_NS16discard_iteratorINS9_11use_defaultEEENS9_5minusIhEEEE10hipError_tPvRmT2_T3_mT4_P12ihipStream_tbEUlT_E_NS1_11comp_targetILNS1_3genE0ELNS1_11target_archE4294967295ELNS1_3gpuE0ELNS1_3repE0EEENS1_30default_config_static_selectorELNS0_4arch9wavefront6targetE1EEEvT1_
; %bb.0:
	.section	.rodata,"a",@progbits
	.p2align	6, 0x0
	.amdhsa_kernel _ZN7rocprim17ROCPRIM_400000_NS6detail17trampoline_kernelINS0_14default_configENS1_35adjacent_difference_config_selectorILb1EhEEZNS1_24adjacent_difference_implIS3_Lb1ELb0EPhN6thrust23THRUST_200600_302600_NS16discard_iteratorINS9_11use_defaultEEENS9_5minusIhEEEE10hipError_tPvRmT2_T3_mT4_P12ihipStream_tbEUlT_E_NS1_11comp_targetILNS1_3genE0ELNS1_11target_archE4294967295ELNS1_3gpuE0ELNS1_3repE0EEENS1_30default_config_static_selectorELNS0_4arch9wavefront6targetE1EEEvT1_
		.amdhsa_group_segment_fixed_size 0
		.amdhsa_private_segment_fixed_size 0
		.amdhsa_kernarg_size 64
		.amdhsa_user_sgpr_count 6
		.amdhsa_user_sgpr_private_segment_buffer 1
		.amdhsa_user_sgpr_dispatch_ptr 0
		.amdhsa_user_sgpr_queue_ptr 0
		.amdhsa_user_sgpr_kernarg_segment_ptr 1
		.amdhsa_user_sgpr_dispatch_id 0
		.amdhsa_user_sgpr_flat_scratch_init 0
		.amdhsa_user_sgpr_kernarg_preload_length 0
		.amdhsa_user_sgpr_kernarg_preload_offset 0
		.amdhsa_user_sgpr_private_segment_size 0
		.amdhsa_uses_dynamic_stack 0
		.amdhsa_system_sgpr_private_segment_wavefront_offset 0
		.amdhsa_system_sgpr_workgroup_id_x 1
		.amdhsa_system_sgpr_workgroup_id_y 0
		.amdhsa_system_sgpr_workgroup_id_z 0
		.amdhsa_system_sgpr_workgroup_info 0
		.amdhsa_system_vgpr_workitem_id 0
		.amdhsa_next_free_vgpr 1
		.amdhsa_next_free_sgpr 0
		.amdhsa_accum_offset 4
		.amdhsa_reserve_vcc 0
		.amdhsa_reserve_flat_scratch 0
		.amdhsa_float_round_mode_32 0
		.amdhsa_float_round_mode_16_64 0
		.amdhsa_float_denorm_mode_32 3
		.amdhsa_float_denorm_mode_16_64 3
		.amdhsa_dx10_clamp 1
		.amdhsa_ieee_mode 1
		.amdhsa_fp16_overflow 0
		.amdhsa_tg_split 0
		.amdhsa_exception_fp_ieee_invalid_op 0
		.amdhsa_exception_fp_denorm_src 0
		.amdhsa_exception_fp_ieee_div_zero 0
		.amdhsa_exception_fp_ieee_overflow 0
		.amdhsa_exception_fp_ieee_underflow 0
		.amdhsa_exception_fp_ieee_inexact 0
		.amdhsa_exception_int_div_zero 0
	.end_amdhsa_kernel
	.section	.text._ZN7rocprim17ROCPRIM_400000_NS6detail17trampoline_kernelINS0_14default_configENS1_35adjacent_difference_config_selectorILb1EhEEZNS1_24adjacent_difference_implIS3_Lb1ELb0EPhN6thrust23THRUST_200600_302600_NS16discard_iteratorINS9_11use_defaultEEENS9_5minusIhEEEE10hipError_tPvRmT2_T3_mT4_P12ihipStream_tbEUlT_E_NS1_11comp_targetILNS1_3genE0ELNS1_11target_archE4294967295ELNS1_3gpuE0ELNS1_3repE0EEENS1_30default_config_static_selectorELNS0_4arch9wavefront6targetE1EEEvT1_,"axG",@progbits,_ZN7rocprim17ROCPRIM_400000_NS6detail17trampoline_kernelINS0_14default_configENS1_35adjacent_difference_config_selectorILb1EhEEZNS1_24adjacent_difference_implIS3_Lb1ELb0EPhN6thrust23THRUST_200600_302600_NS16discard_iteratorINS9_11use_defaultEEENS9_5minusIhEEEE10hipError_tPvRmT2_T3_mT4_P12ihipStream_tbEUlT_E_NS1_11comp_targetILNS1_3genE0ELNS1_11target_archE4294967295ELNS1_3gpuE0ELNS1_3repE0EEENS1_30default_config_static_selectorELNS0_4arch9wavefront6targetE1EEEvT1_,comdat
.Lfunc_end692:
	.size	_ZN7rocprim17ROCPRIM_400000_NS6detail17trampoline_kernelINS0_14default_configENS1_35adjacent_difference_config_selectorILb1EhEEZNS1_24adjacent_difference_implIS3_Lb1ELb0EPhN6thrust23THRUST_200600_302600_NS16discard_iteratorINS9_11use_defaultEEENS9_5minusIhEEEE10hipError_tPvRmT2_T3_mT4_P12ihipStream_tbEUlT_E_NS1_11comp_targetILNS1_3genE0ELNS1_11target_archE4294967295ELNS1_3gpuE0ELNS1_3repE0EEENS1_30default_config_static_selectorELNS0_4arch9wavefront6targetE1EEEvT1_, .Lfunc_end692-_ZN7rocprim17ROCPRIM_400000_NS6detail17trampoline_kernelINS0_14default_configENS1_35adjacent_difference_config_selectorILb1EhEEZNS1_24adjacent_difference_implIS3_Lb1ELb0EPhN6thrust23THRUST_200600_302600_NS16discard_iteratorINS9_11use_defaultEEENS9_5minusIhEEEE10hipError_tPvRmT2_T3_mT4_P12ihipStream_tbEUlT_E_NS1_11comp_targetILNS1_3genE0ELNS1_11target_archE4294967295ELNS1_3gpuE0ELNS1_3repE0EEENS1_30default_config_static_selectorELNS0_4arch9wavefront6targetE1EEEvT1_
                                        ; -- End function
	.section	.AMDGPU.csdata,"",@progbits
; Kernel info:
; codeLenInByte = 0
; NumSgprs: 4
; NumVgprs: 0
; NumAgprs: 0
; TotalNumVgprs: 0
; ScratchSize: 0
; MemoryBound: 0
; FloatMode: 240
; IeeeMode: 1
; LDSByteSize: 0 bytes/workgroup (compile time only)
; SGPRBlocks: 0
; VGPRBlocks: 0
; NumSGPRsForWavesPerEU: 4
; NumVGPRsForWavesPerEU: 1
; AccumOffset: 4
; Occupancy: 8
; WaveLimiterHint : 0
; COMPUTE_PGM_RSRC2:SCRATCH_EN: 0
; COMPUTE_PGM_RSRC2:USER_SGPR: 6
; COMPUTE_PGM_RSRC2:TRAP_HANDLER: 0
; COMPUTE_PGM_RSRC2:TGID_X_EN: 1
; COMPUTE_PGM_RSRC2:TGID_Y_EN: 0
; COMPUTE_PGM_RSRC2:TGID_Z_EN: 0
; COMPUTE_PGM_RSRC2:TIDIG_COMP_CNT: 0
; COMPUTE_PGM_RSRC3_GFX90A:ACCUM_OFFSET: 0
; COMPUTE_PGM_RSRC3_GFX90A:TG_SPLIT: 0
	.section	.text._ZN7rocprim17ROCPRIM_400000_NS6detail17trampoline_kernelINS0_14default_configENS1_35adjacent_difference_config_selectorILb1EhEEZNS1_24adjacent_difference_implIS3_Lb1ELb0EPhN6thrust23THRUST_200600_302600_NS16discard_iteratorINS9_11use_defaultEEENS9_5minusIhEEEE10hipError_tPvRmT2_T3_mT4_P12ihipStream_tbEUlT_E_NS1_11comp_targetILNS1_3genE10ELNS1_11target_archE1201ELNS1_3gpuE5ELNS1_3repE0EEENS1_30default_config_static_selectorELNS0_4arch9wavefront6targetE1EEEvT1_,"axG",@progbits,_ZN7rocprim17ROCPRIM_400000_NS6detail17trampoline_kernelINS0_14default_configENS1_35adjacent_difference_config_selectorILb1EhEEZNS1_24adjacent_difference_implIS3_Lb1ELb0EPhN6thrust23THRUST_200600_302600_NS16discard_iteratorINS9_11use_defaultEEENS9_5minusIhEEEE10hipError_tPvRmT2_T3_mT4_P12ihipStream_tbEUlT_E_NS1_11comp_targetILNS1_3genE10ELNS1_11target_archE1201ELNS1_3gpuE5ELNS1_3repE0EEENS1_30default_config_static_selectorELNS0_4arch9wavefront6targetE1EEEvT1_,comdat
	.protected	_ZN7rocprim17ROCPRIM_400000_NS6detail17trampoline_kernelINS0_14default_configENS1_35adjacent_difference_config_selectorILb1EhEEZNS1_24adjacent_difference_implIS3_Lb1ELb0EPhN6thrust23THRUST_200600_302600_NS16discard_iteratorINS9_11use_defaultEEENS9_5minusIhEEEE10hipError_tPvRmT2_T3_mT4_P12ihipStream_tbEUlT_E_NS1_11comp_targetILNS1_3genE10ELNS1_11target_archE1201ELNS1_3gpuE5ELNS1_3repE0EEENS1_30default_config_static_selectorELNS0_4arch9wavefront6targetE1EEEvT1_ ; -- Begin function _ZN7rocprim17ROCPRIM_400000_NS6detail17trampoline_kernelINS0_14default_configENS1_35adjacent_difference_config_selectorILb1EhEEZNS1_24adjacent_difference_implIS3_Lb1ELb0EPhN6thrust23THRUST_200600_302600_NS16discard_iteratorINS9_11use_defaultEEENS9_5minusIhEEEE10hipError_tPvRmT2_T3_mT4_P12ihipStream_tbEUlT_E_NS1_11comp_targetILNS1_3genE10ELNS1_11target_archE1201ELNS1_3gpuE5ELNS1_3repE0EEENS1_30default_config_static_selectorELNS0_4arch9wavefront6targetE1EEEvT1_
	.globl	_ZN7rocprim17ROCPRIM_400000_NS6detail17trampoline_kernelINS0_14default_configENS1_35adjacent_difference_config_selectorILb1EhEEZNS1_24adjacent_difference_implIS3_Lb1ELb0EPhN6thrust23THRUST_200600_302600_NS16discard_iteratorINS9_11use_defaultEEENS9_5minusIhEEEE10hipError_tPvRmT2_T3_mT4_P12ihipStream_tbEUlT_E_NS1_11comp_targetILNS1_3genE10ELNS1_11target_archE1201ELNS1_3gpuE5ELNS1_3repE0EEENS1_30default_config_static_selectorELNS0_4arch9wavefront6targetE1EEEvT1_
	.p2align	8
	.type	_ZN7rocprim17ROCPRIM_400000_NS6detail17trampoline_kernelINS0_14default_configENS1_35adjacent_difference_config_selectorILb1EhEEZNS1_24adjacent_difference_implIS3_Lb1ELb0EPhN6thrust23THRUST_200600_302600_NS16discard_iteratorINS9_11use_defaultEEENS9_5minusIhEEEE10hipError_tPvRmT2_T3_mT4_P12ihipStream_tbEUlT_E_NS1_11comp_targetILNS1_3genE10ELNS1_11target_archE1201ELNS1_3gpuE5ELNS1_3repE0EEENS1_30default_config_static_selectorELNS0_4arch9wavefront6targetE1EEEvT1_,@function
_ZN7rocprim17ROCPRIM_400000_NS6detail17trampoline_kernelINS0_14default_configENS1_35adjacent_difference_config_selectorILb1EhEEZNS1_24adjacent_difference_implIS3_Lb1ELb0EPhN6thrust23THRUST_200600_302600_NS16discard_iteratorINS9_11use_defaultEEENS9_5minusIhEEEE10hipError_tPvRmT2_T3_mT4_P12ihipStream_tbEUlT_E_NS1_11comp_targetILNS1_3genE10ELNS1_11target_archE1201ELNS1_3gpuE5ELNS1_3repE0EEENS1_30default_config_static_selectorELNS0_4arch9wavefront6targetE1EEEvT1_: ; @_ZN7rocprim17ROCPRIM_400000_NS6detail17trampoline_kernelINS0_14default_configENS1_35adjacent_difference_config_selectorILb1EhEEZNS1_24adjacent_difference_implIS3_Lb1ELb0EPhN6thrust23THRUST_200600_302600_NS16discard_iteratorINS9_11use_defaultEEENS9_5minusIhEEEE10hipError_tPvRmT2_T3_mT4_P12ihipStream_tbEUlT_E_NS1_11comp_targetILNS1_3genE10ELNS1_11target_archE1201ELNS1_3gpuE5ELNS1_3repE0EEENS1_30default_config_static_selectorELNS0_4arch9wavefront6targetE1EEEvT1_
; %bb.0:
	.section	.rodata,"a",@progbits
	.p2align	6, 0x0
	.amdhsa_kernel _ZN7rocprim17ROCPRIM_400000_NS6detail17trampoline_kernelINS0_14default_configENS1_35adjacent_difference_config_selectorILb1EhEEZNS1_24adjacent_difference_implIS3_Lb1ELb0EPhN6thrust23THRUST_200600_302600_NS16discard_iteratorINS9_11use_defaultEEENS9_5minusIhEEEE10hipError_tPvRmT2_T3_mT4_P12ihipStream_tbEUlT_E_NS1_11comp_targetILNS1_3genE10ELNS1_11target_archE1201ELNS1_3gpuE5ELNS1_3repE0EEENS1_30default_config_static_selectorELNS0_4arch9wavefront6targetE1EEEvT1_
		.amdhsa_group_segment_fixed_size 0
		.amdhsa_private_segment_fixed_size 0
		.amdhsa_kernarg_size 64
		.amdhsa_user_sgpr_count 6
		.amdhsa_user_sgpr_private_segment_buffer 1
		.amdhsa_user_sgpr_dispatch_ptr 0
		.amdhsa_user_sgpr_queue_ptr 0
		.amdhsa_user_sgpr_kernarg_segment_ptr 1
		.amdhsa_user_sgpr_dispatch_id 0
		.amdhsa_user_sgpr_flat_scratch_init 0
		.amdhsa_user_sgpr_kernarg_preload_length 0
		.amdhsa_user_sgpr_kernarg_preload_offset 0
		.amdhsa_user_sgpr_private_segment_size 0
		.amdhsa_uses_dynamic_stack 0
		.amdhsa_system_sgpr_private_segment_wavefront_offset 0
		.amdhsa_system_sgpr_workgroup_id_x 1
		.amdhsa_system_sgpr_workgroup_id_y 0
		.amdhsa_system_sgpr_workgroup_id_z 0
		.amdhsa_system_sgpr_workgroup_info 0
		.amdhsa_system_vgpr_workitem_id 0
		.amdhsa_next_free_vgpr 1
		.amdhsa_next_free_sgpr 0
		.amdhsa_accum_offset 4
		.amdhsa_reserve_vcc 0
		.amdhsa_reserve_flat_scratch 0
		.amdhsa_float_round_mode_32 0
		.amdhsa_float_round_mode_16_64 0
		.amdhsa_float_denorm_mode_32 3
		.amdhsa_float_denorm_mode_16_64 3
		.amdhsa_dx10_clamp 1
		.amdhsa_ieee_mode 1
		.amdhsa_fp16_overflow 0
		.amdhsa_tg_split 0
		.amdhsa_exception_fp_ieee_invalid_op 0
		.amdhsa_exception_fp_denorm_src 0
		.amdhsa_exception_fp_ieee_div_zero 0
		.amdhsa_exception_fp_ieee_overflow 0
		.amdhsa_exception_fp_ieee_underflow 0
		.amdhsa_exception_fp_ieee_inexact 0
		.amdhsa_exception_int_div_zero 0
	.end_amdhsa_kernel
	.section	.text._ZN7rocprim17ROCPRIM_400000_NS6detail17trampoline_kernelINS0_14default_configENS1_35adjacent_difference_config_selectorILb1EhEEZNS1_24adjacent_difference_implIS3_Lb1ELb0EPhN6thrust23THRUST_200600_302600_NS16discard_iteratorINS9_11use_defaultEEENS9_5minusIhEEEE10hipError_tPvRmT2_T3_mT4_P12ihipStream_tbEUlT_E_NS1_11comp_targetILNS1_3genE10ELNS1_11target_archE1201ELNS1_3gpuE5ELNS1_3repE0EEENS1_30default_config_static_selectorELNS0_4arch9wavefront6targetE1EEEvT1_,"axG",@progbits,_ZN7rocprim17ROCPRIM_400000_NS6detail17trampoline_kernelINS0_14default_configENS1_35adjacent_difference_config_selectorILb1EhEEZNS1_24adjacent_difference_implIS3_Lb1ELb0EPhN6thrust23THRUST_200600_302600_NS16discard_iteratorINS9_11use_defaultEEENS9_5minusIhEEEE10hipError_tPvRmT2_T3_mT4_P12ihipStream_tbEUlT_E_NS1_11comp_targetILNS1_3genE10ELNS1_11target_archE1201ELNS1_3gpuE5ELNS1_3repE0EEENS1_30default_config_static_selectorELNS0_4arch9wavefront6targetE1EEEvT1_,comdat
.Lfunc_end693:
	.size	_ZN7rocprim17ROCPRIM_400000_NS6detail17trampoline_kernelINS0_14default_configENS1_35adjacent_difference_config_selectorILb1EhEEZNS1_24adjacent_difference_implIS3_Lb1ELb0EPhN6thrust23THRUST_200600_302600_NS16discard_iteratorINS9_11use_defaultEEENS9_5minusIhEEEE10hipError_tPvRmT2_T3_mT4_P12ihipStream_tbEUlT_E_NS1_11comp_targetILNS1_3genE10ELNS1_11target_archE1201ELNS1_3gpuE5ELNS1_3repE0EEENS1_30default_config_static_selectorELNS0_4arch9wavefront6targetE1EEEvT1_, .Lfunc_end693-_ZN7rocprim17ROCPRIM_400000_NS6detail17trampoline_kernelINS0_14default_configENS1_35adjacent_difference_config_selectorILb1EhEEZNS1_24adjacent_difference_implIS3_Lb1ELb0EPhN6thrust23THRUST_200600_302600_NS16discard_iteratorINS9_11use_defaultEEENS9_5minusIhEEEE10hipError_tPvRmT2_T3_mT4_P12ihipStream_tbEUlT_E_NS1_11comp_targetILNS1_3genE10ELNS1_11target_archE1201ELNS1_3gpuE5ELNS1_3repE0EEENS1_30default_config_static_selectorELNS0_4arch9wavefront6targetE1EEEvT1_
                                        ; -- End function
	.section	.AMDGPU.csdata,"",@progbits
; Kernel info:
; codeLenInByte = 0
; NumSgprs: 4
; NumVgprs: 0
; NumAgprs: 0
; TotalNumVgprs: 0
; ScratchSize: 0
; MemoryBound: 0
; FloatMode: 240
; IeeeMode: 1
; LDSByteSize: 0 bytes/workgroup (compile time only)
; SGPRBlocks: 0
; VGPRBlocks: 0
; NumSGPRsForWavesPerEU: 4
; NumVGPRsForWavesPerEU: 1
; AccumOffset: 4
; Occupancy: 8
; WaveLimiterHint : 0
; COMPUTE_PGM_RSRC2:SCRATCH_EN: 0
; COMPUTE_PGM_RSRC2:USER_SGPR: 6
; COMPUTE_PGM_RSRC2:TRAP_HANDLER: 0
; COMPUTE_PGM_RSRC2:TGID_X_EN: 1
; COMPUTE_PGM_RSRC2:TGID_Y_EN: 0
; COMPUTE_PGM_RSRC2:TGID_Z_EN: 0
; COMPUTE_PGM_RSRC2:TIDIG_COMP_CNT: 0
; COMPUTE_PGM_RSRC3_GFX90A:ACCUM_OFFSET: 0
; COMPUTE_PGM_RSRC3_GFX90A:TG_SPLIT: 0
	.section	.text._ZN7rocprim17ROCPRIM_400000_NS6detail17trampoline_kernelINS0_14default_configENS1_35adjacent_difference_config_selectorILb1EhEEZNS1_24adjacent_difference_implIS3_Lb1ELb0EPhN6thrust23THRUST_200600_302600_NS16discard_iteratorINS9_11use_defaultEEENS9_5minusIhEEEE10hipError_tPvRmT2_T3_mT4_P12ihipStream_tbEUlT_E_NS1_11comp_targetILNS1_3genE5ELNS1_11target_archE942ELNS1_3gpuE9ELNS1_3repE0EEENS1_30default_config_static_selectorELNS0_4arch9wavefront6targetE1EEEvT1_,"axG",@progbits,_ZN7rocprim17ROCPRIM_400000_NS6detail17trampoline_kernelINS0_14default_configENS1_35adjacent_difference_config_selectorILb1EhEEZNS1_24adjacent_difference_implIS3_Lb1ELb0EPhN6thrust23THRUST_200600_302600_NS16discard_iteratorINS9_11use_defaultEEENS9_5minusIhEEEE10hipError_tPvRmT2_T3_mT4_P12ihipStream_tbEUlT_E_NS1_11comp_targetILNS1_3genE5ELNS1_11target_archE942ELNS1_3gpuE9ELNS1_3repE0EEENS1_30default_config_static_selectorELNS0_4arch9wavefront6targetE1EEEvT1_,comdat
	.protected	_ZN7rocprim17ROCPRIM_400000_NS6detail17trampoline_kernelINS0_14default_configENS1_35adjacent_difference_config_selectorILb1EhEEZNS1_24adjacent_difference_implIS3_Lb1ELb0EPhN6thrust23THRUST_200600_302600_NS16discard_iteratorINS9_11use_defaultEEENS9_5minusIhEEEE10hipError_tPvRmT2_T3_mT4_P12ihipStream_tbEUlT_E_NS1_11comp_targetILNS1_3genE5ELNS1_11target_archE942ELNS1_3gpuE9ELNS1_3repE0EEENS1_30default_config_static_selectorELNS0_4arch9wavefront6targetE1EEEvT1_ ; -- Begin function _ZN7rocprim17ROCPRIM_400000_NS6detail17trampoline_kernelINS0_14default_configENS1_35adjacent_difference_config_selectorILb1EhEEZNS1_24adjacent_difference_implIS3_Lb1ELb0EPhN6thrust23THRUST_200600_302600_NS16discard_iteratorINS9_11use_defaultEEENS9_5minusIhEEEE10hipError_tPvRmT2_T3_mT4_P12ihipStream_tbEUlT_E_NS1_11comp_targetILNS1_3genE5ELNS1_11target_archE942ELNS1_3gpuE9ELNS1_3repE0EEENS1_30default_config_static_selectorELNS0_4arch9wavefront6targetE1EEEvT1_
	.globl	_ZN7rocprim17ROCPRIM_400000_NS6detail17trampoline_kernelINS0_14default_configENS1_35adjacent_difference_config_selectorILb1EhEEZNS1_24adjacent_difference_implIS3_Lb1ELb0EPhN6thrust23THRUST_200600_302600_NS16discard_iteratorINS9_11use_defaultEEENS9_5minusIhEEEE10hipError_tPvRmT2_T3_mT4_P12ihipStream_tbEUlT_E_NS1_11comp_targetILNS1_3genE5ELNS1_11target_archE942ELNS1_3gpuE9ELNS1_3repE0EEENS1_30default_config_static_selectorELNS0_4arch9wavefront6targetE1EEEvT1_
	.p2align	8
	.type	_ZN7rocprim17ROCPRIM_400000_NS6detail17trampoline_kernelINS0_14default_configENS1_35adjacent_difference_config_selectorILb1EhEEZNS1_24adjacent_difference_implIS3_Lb1ELb0EPhN6thrust23THRUST_200600_302600_NS16discard_iteratorINS9_11use_defaultEEENS9_5minusIhEEEE10hipError_tPvRmT2_T3_mT4_P12ihipStream_tbEUlT_E_NS1_11comp_targetILNS1_3genE5ELNS1_11target_archE942ELNS1_3gpuE9ELNS1_3repE0EEENS1_30default_config_static_selectorELNS0_4arch9wavefront6targetE1EEEvT1_,@function
_ZN7rocprim17ROCPRIM_400000_NS6detail17trampoline_kernelINS0_14default_configENS1_35adjacent_difference_config_selectorILb1EhEEZNS1_24adjacent_difference_implIS3_Lb1ELb0EPhN6thrust23THRUST_200600_302600_NS16discard_iteratorINS9_11use_defaultEEENS9_5minusIhEEEE10hipError_tPvRmT2_T3_mT4_P12ihipStream_tbEUlT_E_NS1_11comp_targetILNS1_3genE5ELNS1_11target_archE942ELNS1_3gpuE9ELNS1_3repE0EEENS1_30default_config_static_selectorELNS0_4arch9wavefront6targetE1EEEvT1_: ; @_ZN7rocprim17ROCPRIM_400000_NS6detail17trampoline_kernelINS0_14default_configENS1_35adjacent_difference_config_selectorILb1EhEEZNS1_24adjacent_difference_implIS3_Lb1ELb0EPhN6thrust23THRUST_200600_302600_NS16discard_iteratorINS9_11use_defaultEEENS9_5minusIhEEEE10hipError_tPvRmT2_T3_mT4_P12ihipStream_tbEUlT_E_NS1_11comp_targetILNS1_3genE5ELNS1_11target_archE942ELNS1_3gpuE9ELNS1_3repE0EEENS1_30default_config_static_selectorELNS0_4arch9wavefront6targetE1EEEvT1_
; %bb.0:
	.section	.rodata,"a",@progbits
	.p2align	6, 0x0
	.amdhsa_kernel _ZN7rocprim17ROCPRIM_400000_NS6detail17trampoline_kernelINS0_14default_configENS1_35adjacent_difference_config_selectorILb1EhEEZNS1_24adjacent_difference_implIS3_Lb1ELb0EPhN6thrust23THRUST_200600_302600_NS16discard_iteratorINS9_11use_defaultEEENS9_5minusIhEEEE10hipError_tPvRmT2_T3_mT4_P12ihipStream_tbEUlT_E_NS1_11comp_targetILNS1_3genE5ELNS1_11target_archE942ELNS1_3gpuE9ELNS1_3repE0EEENS1_30default_config_static_selectorELNS0_4arch9wavefront6targetE1EEEvT1_
		.amdhsa_group_segment_fixed_size 0
		.amdhsa_private_segment_fixed_size 0
		.amdhsa_kernarg_size 64
		.amdhsa_user_sgpr_count 6
		.amdhsa_user_sgpr_private_segment_buffer 1
		.amdhsa_user_sgpr_dispatch_ptr 0
		.amdhsa_user_sgpr_queue_ptr 0
		.amdhsa_user_sgpr_kernarg_segment_ptr 1
		.amdhsa_user_sgpr_dispatch_id 0
		.amdhsa_user_sgpr_flat_scratch_init 0
		.amdhsa_user_sgpr_kernarg_preload_length 0
		.amdhsa_user_sgpr_kernarg_preload_offset 0
		.amdhsa_user_sgpr_private_segment_size 0
		.amdhsa_uses_dynamic_stack 0
		.amdhsa_system_sgpr_private_segment_wavefront_offset 0
		.amdhsa_system_sgpr_workgroup_id_x 1
		.amdhsa_system_sgpr_workgroup_id_y 0
		.amdhsa_system_sgpr_workgroup_id_z 0
		.amdhsa_system_sgpr_workgroup_info 0
		.amdhsa_system_vgpr_workitem_id 0
		.amdhsa_next_free_vgpr 1
		.amdhsa_next_free_sgpr 0
		.amdhsa_accum_offset 4
		.amdhsa_reserve_vcc 0
		.amdhsa_reserve_flat_scratch 0
		.amdhsa_float_round_mode_32 0
		.amdhsa_float_round_mode_16_64 0
		.amdhsa_float_denorm_mode_32 3
		.amdhsa_float_denorm_mode_16_64 3
		.amdhsa_dx10_clamp 1
		.amdhsa_ieee_mode 1
		.amdhsa_fp16_overflow 0
		.amdhsa_tg_split 0
		.amdhsa_exception_fp_ieee_invalid_op 0
		.amdhsa_exception_fp_denorm_src 0
		.amdhsa_exception_fp_ieee_div_zero 0
		.amdhsa_exception_fp_ieee_overflow 0
		.amdhsa_exception_fp_ieee_underflow 0
		.amdhsa_exception_fp_ieee_inexact 0
		.amdhsa_exception_int_div_zero 0
	.end_amdhsa_kernel
	.section	.text._ZN7rocprim17ROCPRIM_400000_NS6detail17trampoline_kernelINS0_14default_configENS1_35adjacent_difference_config_selectorILb1EhEEZNS1_24adjacent_difference_implIS3_Lb1ELb0EPhN6thrust23THRUST_200600_302600_NS16discard_iteratorINS9_11use_defaultEEENS9_5minusIhEEEE10hipError_tPvRmT2_T3_mT4_P12ihipStream_tbEUlT_E_NS1_11comp_targetILNS1_3genE5ELNS1_11target_archE942ELNS1_3gpuE9ELNS1_3repE0EEENS1_30default_config_static_selectorELNS0_4arch9wavefront6targetE1EEEvT1_,"axG",@progbits,_ZN7rocprim17ROCPRIM_400000_NS6detail17trampoline_kernelINS0_14default_configENS1_35adjacent_difference_config_selectorILb1EhEEZNS1_24adjacent_difference_implIS3_Lb1ELb0EPhN6thrust23THRUST_200600_302600_NS16discard_iteratorINS9_11use_defaultEEENS9_5minusIhEEEE10hipError_tPvRmT2_T3_mT4_P12ihipStream_tbEUlT_E_NS1_11comp_targetILNS1_3genE5ELNS1_11target_archE942ELNS1_3gpuE9ELNS1_3repE0EEENS1_30default_config_static_selectorELNS0_4arch9wavefront6targetE1EEEvT1_,comdat
.Lfunc_end694:
	.size	_ZN7rocprim17ROCPRIM_400000_NS6detail17trampoline_kernelINS0_14default_configENS1_35adjacent_difference_config_selectorILb1EhEEZNS1_24adjacent_difference_implIS3_Lb1ELb0EPhN6thrust23THRUST_200600_302600_NS16discard_iteratorINS9_11use_defaultEEENS9_5minusIhEEEE10hipError_tPvRmT2_T3_mT4_P12ihipStream_tbEUlT_E_NS1_11comp_targetILNS1_3genE5ELNS1_11target_archE942ELNS1_3gpuE9ELNS1_3repE0EEENS1_30default_config_static_selectorELNS0_4arch9wavefront6targetE1EEEvT1_, .Lfunc_end694-_ZN7rocprim17ROCPRIM_400000_NS6detail17trampoline_kernelINS0_14default_configENS1_35adjacent_difference_config_selectorILb1EhEEZNS1_24adjacent_difference_implIS3_Lb1ELb0EPhN6thrust23THRUST_200600_302600_NS16discard_iteratorINS9_11use_defaultEEENS9_5minusIhEEEE10hipError_tPvRmT2_T3_mT4_P12ihipStream_tbEUlT_E_NS1_11comp_targetILNS1_3genE5ELNS1_11target_archE942ELNS1_3gpuE9ELNS1_3repE0EEENS1_30default_config_static_selectorELNS0_4arch9wavefront6targetE1EEEvT1_
                                        ; -- End function
	.section	.AMDGPU.csdata,"",@progbits
; Kernel info:
; codeLenInByte = 0
; NumSgprs: 4
; NumVgprs: 0
; NumAgprs: 0
; TotalNumVgprs: 0
; ScratchSize: 0
; MemoryBound: 0
; FloatMode: 240
; IeeeMode: 1
; LDSByteSize: 0 bytes/workgroup (compile time only)
; SGPRBlocks: 0
; VGPRBlocks: 0
; NumSGPRsForWavesPerEU: 4
; NumVGPRsForWavesPerEU: 1
; AccumOffset: 4
; Occupancy: 8
; WaveLimiterHint : 0
; COMPUTE_PGM_RSRC2:SCRATCH_EN: 0
; COMPUTE_PGM_RSRC2:USER_SGPR: 6
; COMPUTE_PGM_RSRC2:TRAP_HANDLER: 0
; COMPUTE_PGM_RSRC2:TGID_X_EN: 1
; COMPUTE_PGM_RSRC2:TGID_Y_EN: 0
; COMPUTE_PGM_RSRC2:TGID_Z_EN: 0
; COMPUTE_PGM_RSRC2:TIDIG_COMP_CNT: 0
; COMPUTE_PGM_RSRC3_GFX90A:ACCUM_OFFSET: 0
; COMPUTE_PGM_RSRC3_GFX90A:TG_SPLIT: 0
	.section	.text._ZN7rocprim17ROCPRIM_400000_NS6detail17trampoline_kernelINS0_14default_configENS1_35adjacent_difference_config_selectorILb1EhEEZNS1_24adjacent_difference_implIS3_Lb1ELb0EPhN6thrust23THRUST_200600_302600_NS16discard_iteratorINS9_11use_defaultEEENS9_5minusIhEEEE10hipError_tPvRmT2_T3_mT4_P12ihipStream_tbEUlT_E_NS1_11comp_targetILNS1_3genE4ELNS1_11target_archE910ELNS1_3gpuE8ELNS1_3repE0EEENS1_30default_config_static_selectorELNS0_4arch9wavefront6targetE1EEEvT1_,"axG",@progbits,_ZN7rocprim17ROCPRIM_400000_NS6detail17trampoline_kernelINS0_14default_configENS1_35adjacent_difference_config_selectorILb1EhEEZNS1_24adjacent_difference_implIS3_Lb1ELb0EPhN6thrust23THRUST_200600_302600_NS16discard_iteratorINS9_11use_defaultEEENS9_5minusIhEEEE10hipError_tPvRmT2_T3_mT4_P12ihipStream_tbEUlT_E_NS1_11comp_targetILNS1_3genE4ELNS1_11target_archE910ELNS1_3gpuE8ELNS1_3repE0EEENS1_30default_config_static_selectorELNS0_4arch9wavefront6targetE1EEEvT1_,comdat
	.protected	_ZN7rocprim17ROCPRIM_400000_NS6detail17trampoline_kernelINS0_14default_configENS1_35adjacent_difference_config_selectorILb1EhEEZNS1_24adjacent_difference_implIS3_Lb1ELb0EPhN6thrust23THRUST_200600_302600_NS16discard_iteratorINS9_11use_defaultEEENS9_5minusIhEEEE10hipError_tPvRmT2_T3_mT4_P12ihipStream_tbEUlT_E_NS1_11comp_targetILNS1_3genE4ELNS1_11target_archE910ELNS1_3gpuE8ELNS1_3repE0EEENS1_30default_config_static_selectorELNS0_4arch9wavefront6targetE1EEEvT1_ ; -- Begin function _ZN7rocprim17ROCPRIM_400000_NS6detail17trampoline_kernelINS0_14default_configENS1_35adjacent_difference_config_selectorILb1EhEEZNS1_24adjacent_difference_implIS3_Lb1ELb0EPhN6thrust23THRUST_200600_302600_NS16discard_iteratorINS9_11use_defaultEEENS9_5minusIhEEEE10hipError_tPvRmT2_T3_mT4_P12ihipStream_tbEUlT_E_NS1_11comp_targetILNS1_3genE4ELNS1_11target_archE910ELNS1_3gpuE8ELNS1_3repE0EEENS1_30default_config_static_selectorELNS0_4arch9wavefront6targetE1EEEvT1_
	.globl	_ZN7rocprim17ROCPRIM_400000_NS6detail17trampoline_kernelINS0_14default_configENS1_35adjacent_difference_config_selectorILb1EhEEZNS1_24adjacent_difference_implIS3_Lb1ELb0EPhN6thrust23THRUST_200600_302600_NS16discard_iteratorINS9_11use_defaultEEENS9_5minusIhEEEE10hipError_tPvRmT2_T3_mT4_P12ihipStream_tbEUlT_E_NS1_11comp_targetILNS1_3genE4ELNS1_11target_archE910ELNS1_3gpuE8ELNS1_3repE0EEENS1_30default_config_static_selectorELNS0_4arch9wavefront6targetE1EEEvT1_
	.p2align	8
	.type	_ZN7rocprim17ROCPRIM_400000_NS6detail17trampoline_kernelINS0_14default_configENS1_35adjacent_difference_config_selectorILb1EhEEZNS1_24adjacent_difference_implIS3_Lb1ELb0EPhN6thrust23THRUST_200600_302600_NS16discard_iteratorINS9_11use_defaultEEENS9_5minusIhEEEE10hipError_tPvRmT2_T3_mT4_P12ihipStream_tbEUlT_E_NS1_11comp_targetILNS1_3genE4ELNS1_11target_archE910ELNS1_3gpuE8ELNS1_3repE0EEENS1_30default_config_static_selectorELNS0_4arch9wavefront6targetE1EEEvT1_,@function
_ZN7rocprim17ROCPRIM_400000_NS6detail17trampoline_kernelINS0_14default_configENS1_35adjacent_difference_config_selectorILb1EhEEZNS1_24adjacent_difference_implIS3_Lb1ELb0EPhN6thrust23THRUST_200600_302600_NS16discard_iteratorINS9_11use_defaultEEENS9_5minusIhEEEE10hipError_tPvRmT2_T3_mT4_P12ihipStream_tbEUlT_E_NS1_11comp_targetILNS1_3genE4ELNS1_11target_archE910ELNS1_3gpuE8ELNS1_3repE0EEENS1_30default_config_static_selectorELNS0_4arch9wavefront6targetE1EEEvT1_: ; @_ZN7rocprim17ROCPRIM_400000_NS6detail17trampoline_kernelINS0_14default_configENS1_35adjacent_difference_config_selectorILb1EhEEZNS1_24adjacent_difference_implIS3_Lb1ELb0EPhN6thrust23THRUST_200600_302600_NS16discard_iteratorINS9_11use_defaultEEENS9_5minusIhEEEE10hipError_tPvRmT2_T3_mT4_P12ihipStream_tbEUlT_E_NS1_11comp_targetILNS1_3genE4ELNS1_11target_archE910ELNS1_3gpuE8ELNS1_3repE0EEENS1_30default_config_static_selectorELNS0_4arch9wavefront6targetE1EEEvT1_
; %bb.0:
	s_load_dwordx4 s[0:3], s[4:5], 0x0
	s_load_dwordx2 s[12:13], s[4:5], 0x20
	s_load_dwordx4 s[8:11], s[4:5], 0x30
	v_bfrev_b32_e32 v1, 6
	s_mul_i32 s17, s6, 0x980
	s_waitcnt lgkmcnt(0)
	s_add_u32 s7, s0, s2
	s_addc_u32 s16, s1, s3
	s_mov_b32 s1, 0x5ca1aca0
	s_add_u32 s1, 0x14a, s1
	s_addc_u32 s2, 0, 0
	v_add_co_u32_e32 v1, vcc, s1, v1
	s_cmp_lg_u64 vcc, 0
	v_readfirstlane_b32 s3, v1
	s_addc_u32 s1, s2, 0x1af286
	s_mul_hi_u32 s4, s3, 0xfffff680
	s_mul_i32 s2, s1, 0xfffff680
	s_sub_i32 s4, s4, s3
	s_add_i32 s4, s4, s2
	s_mul_i32 s15, s3, 0xfffff680
	s_mul_hi_u32 s2, s3, s4
	s_mul_i32 s5, s3, s4
	s_mul_hi_u32 s3, s3, s15
	s_add_u32 s3, s3, s5
	s_addc_u32 s2, 0, s2
	s_mul_hi_u32 s18, s1, s15
	s_mul_i32 s15, s1, s15
	s_add_u32 s3, s3, s15
	s_mul_hi_u32 s5, s1, s4
	s_addc_u32 s2, s2, s18
	s_addc_u32 s3, s5, 0
	s_mul_i32 s4, s1, s4
	s_add_u32 s2, s2, s4
	s_addc_u32 s3, 0, s3
	v_add_co_u32_e32 v1, vcc, s2, v1
	s_cmp_lg_u64 vcc, 0
	s_addc_u32 s1, s1, s3
	v_readfirstlane_b32 s4, v1
	s_mul_i32 s3, s12, s1
	s_mul_hi_u32 s5, s12, s4
	s_mul_hi_u32 s2, s12, s1
	s_add_u32 s3, s5, s3
	s_addc_u32 s2, 0, s2
	s_mul_hi_u32 s15, s13, s4
	s_mul_i32 s4, s13, s4
	s_add_u32 s3, s3, s4
	s_mul_hi_u32 s5, s13, s1
	s_addc_u32 s2, s2, s15
	s_addc_u32 s3, s5, 0
	s_mul_i32 s1, s13, s1
	s_add_u32 s1, s2, s1
	s_addc_u32 s2, 0, s3
	s_add_u32 s3, s1, 1
	s_addc_u32 s4, s2, 0
	s_add_u32 s5, s1, 2
	s_mul_i32 s18, s2, 0x980
	s_mul_hi_u32 s19, s1, 0x980
	s_addc_u32 s15, s2, 0
	s_add_i32 s19, s19, s18
	s_mul_i32 s18, s1, 0x980
	v_mov_b32_e32 v1, s18
	v_sub_co_u32_e32 v1, vcc, s12, v1
	s_movk_i32 s0, 0x980
	s_cmp_lg_u64 vcc, 0
	s_subb_u32 s18, s13, s19
	v_subrev_co_u32_e32 v2, vcc, s0, v1
	s_cmp_lg_u64 vcc, 0
	s_subb_u32 s0, s18, 0
	v_readfirstlane_b32 s19, v2
	s_cmpk_gt_u32 s19, 0x97f
	s_cselect_b32 s19, -1, 0
	s_cmp_eq_u32 s0, 0
	s_cselect_b32 s0, s19, -1
	s_cmp_lg_u32 s0, 0
	s_cselect_b32 s0, s5, s3
	s_cselect_b32 s3, s15, s4
	v_readfirstlane_b32 s4, v1
	s_cmpk_gt_u32 s4, 0x97f
	s_cselect_b32 s4, -1, 0
	s_cmp_eq_u32 s18, 0
	s_cselect_b32 s4, s4, -1
	s_cmp_lg_u32 s4, 0
	s_cselect_b32 s2, s3, s2
	s_cselect_b32 s3, s0, s1
	s_mul_i32 s0, s2, 0x980
	s_mul_hi_u32 s1, s3, 0x980
	s_add_i32 s1, s1, s0
	s_mul_i32 s0, s3, 0x980
	s_sub_u32 s0, s12, s0
	s_subb_u32 s1, s13, s1
	s_cmp_lg_u64 s[0:1], 0
	s_cselect_b64 s[0:1], -1, 0
	v_cndmask_b32_e64 v1, 0, 1, s[0:1]
	v_mov_b32_e32 v3, s2
	v_add_co_u32_e32 v2, vcc, s3, v1
	v_addc_co_u32_e32 v3, vcc, 0, v3, vcc
	s_add_u32 s2, s10, s6
	v_add_co_u32_e32 v8, vcc, -1, v2
	s_addc_u32 s3, s11, 0
	v_addc_co_u32_e32 v9, vcc, -1, v3, vcc
	v_cmp_ge_u64_e64 s[0:1], s[2:3], v[8:9]
	s_movk_i32 s14, 0xf680
	s_mov_b64 s[4:5], -1
	s_and_b64 vcc, exec, s[0:1]
	s_cbranch_vccz .LBB695_40
; %bb.1:
	v_mul_lo_u32 v1, v8, s14
	v_add_u32_e32 v4, s12, v1
	s_add_u32 s4, s7, s17
	s_addc_u32 s5, s16, 0
	v_cmp_lt_u32_e32 vcc, v0, v4
                                        ; implicit-def: $vgpr1
	s_and_saveexec_b64 s[14:15], vcc
	s_cbranch_execz .LBB695_3
; %bb.2:
	global_load_ubyte v1, v0, s[4:5]
.LBB695_3:
	s_or_b64 exec, exec, s[14:15]
	v_or_b32_e32 v5, 0x80, v0
	v_cmp_lt_u32_e32 vcc, v5, v4
                                        ; implicit-def: $vgpr5
	s_and_saveexec_b64 s[14:15], vcc
	s_cbranch_execz .LBB695_5
; %bb.4:
	global_load_ubyte v5, v0, s[4:5] offset:128
.LBB695_5:
	s_or_b64 exec, exec, s[14:15]
	v_or_b32_e32 v6, 0x100, v0
	v_cmp_lt_u32_e32 vcc, v6, v4
                                        ; implicit-def: $vgpr6
	s_and_saveexec_b64 s[14:15], vcc
	s_cbranch_execz .LBB695_7
; %bb.6:
	global_load_ubyte v6, v0, s[4:5] offset:256
.LBB695_7:
	s_or_b64 exec, exec, s[14:15]
	v_or_b32_e32 v7, 0x180, v0
	v_cmp_lt_u32_e32 vcc, v7, v4
                                        ; implicit-def: $vgpr7
	s_and_saveexec_b64 s[14:15], vcc
	s_cbranch_execz .LBB695_9
; %bb.8:
	global_load_ubyte v7, v0, s[4:5] offset:384
.LBB695_9:
	s_or_b64 exec, exec, s[14:15]
	v_or_b32_e32 v10, 0x200, v0
	v_cmp_lt_u32_e32 vcc, v10, v4
                                        ; implicit-def: $vgpr10
	s_and_saveexec_b64 s[14:15], vcc
	s_cbranch_execz .LBB695_11
; %bb.10:
	global_load_ubyte v10, v0, s[4:5] offset:512
.LBB695_11:
	s_or_b64 exec, exec, s[14:15]
	v_or_b32_e32 v11, 0x280, v0
	v_cmp_lt_u32_e32 vcc, v11, v4
                                        ; implicit-def: $vgpr11
	s_and_saveexec_b64 s[14:15], vcc
	s_cbranch_execz .LBB695_13
; %bb.12:
	global_load_ubyte v11, v0, s[4:5] offset:640
.LBB695_13:
	s_or_b64 exec, exec, s[14:15]
	v_or_b32_e32 v12, 0x300, v0
	v_cmp_lt_u32_e32 vcc, v12, v4
                                        ; implicit-def: $vgpr12
	s_and_saveexec_b64 s[14:15], vcc
	s_cbranch_execz .LBB695_15
; %bb.14:
	global_load_ubyte v12, v0, s[4:5] offset:768
.LBB695_15:
	s_or_b64 exec, exec, s[14:15]
	v_or_b32_e32 v13, 0x380, v0
	v_cmp_lt_u32_e32 vcc, v13, v4
                                        ; implicit-def: $vgpr13
	s_and_saveexec_b64 s[14:15], vcc
	s_cbranch_execz .LBB695_17
; %bb.16:
	global_load_ubyte v13, v0, s[4:5] offset:896
.LBB695_17:
	s_or_b64 exec, exec, s[14:15]
	v_or_b32_e32 v14, 0x400, v0
	v_cmp_lt_u32_e32 vcc, v14, v4
                                        ; implicit-def: $vgpr14
	s_and_saveexec_b64 s[14:15], vcc
	s_cbranch_execz .LBB695_19
; %bb.18:
	global_load_ubyte v14, v0, s[4:5] offset:1024
.LBB695_19:
	s_or_b64 exec, exec, s[14:15]
	v_or_b32_e32 v15, 0x480, v0
	v_cmp_lt_u32_e32 vcc, v15, v4
                                        ; implicit-def: $vgpr15
	s_and_saveexec_b64 s[14:15], vcc
	s_cbranch_execz .LBB695_21
; %bb.20:
	global_load_ubyte v15, v0, s[4:5] offset:1152
.LBB695_21:
	s_or_b64 exec, exec, s[14:15]
	v_or_b32_e32 v16, 0x500, v0
	v_cmp_lt_u32_e32 vcc, v16, v4
                                        ; implicit-def: $vgpr16
	s_and_saveexec_b64 s[14:15], vcc
	s_cbranch_execz .LBB695_23
; %bb.22:
	global_load_ubyte v16, v0, s[4:5] offset:1280
.LBB695_23:
	s_or_b64 exec, exec, s[14:15]
	v_or_b32_e32 v17, 0x580, v0
	v_cmp_lt_u32_e32 vcc, v17, v4
                                        ; implicit-def: $vgpr17
	s_and_saveexec_b64 s[14:15], vcc
	s_cbranch_execz .LBB695_25
; %bb.24:
	global_load_ubyte v17, v0, s[4:5] offset:1408
.LBB695_25:
	s_or_b64 exec, exec, s[14:15]
	v_or_b32_e32 v18, 0x600, v0
	v_cmp_lt_u32_e32 vcc, v18, v4
                                        ; implicit-def: $vgpr18
	s_and_saveexec_b64 s[14:15], vcc
	s_cbranch_execz .LBB695_27
; %bb.26:
	global_load_ubyte v18, v0, s[4:5] offset:1536
.LBB695_27:
	s_or_b64 exec, exec, s[14:15]
	v_or_b32_e32 v19, 0x680, v0
	v_cmp_lt_u32_e32 vcc, v19, v4
                                        ; implicit-def: $vgpr19
	s_and_saveexec_b64 s[14:15], vcc
	s_cbranch_execz .LBB695_29
; %bb.28:
	global_load_ubyte v19, v0, s[4:5] offset:1664
.LBB695_29:
	s_or_b64 exec, exec, s[14:15]
	v_or_b32_e32 v20, 0x700, v0
	v_cmp_lt_u32_e32 vcc, v20, v4
                                        ; implicit-def: $vgpr20
	s_and_saveexec_b64 s[14:15], vcc
	s_cbranch_execz .LBB695_31
; %bb.30:
	global_load_ubyte v20, v0, s[4:5] offset:1792
.LBB695_31:
	s_or_b64 exec, exec, s[14:15]
	v_or_b32_e32 v21, 0x780, v0
	v_cmp_lt_u32_e32 vcc, v21, v4
                                        ; implicit-def: $vgpr21
	s_and_saveexec_b64 s[14:15], vcc
	s_cbranch_execz .LBB695_33
; %bb.32:
	global_load_ubyte v21, v0, s[4:5] offset:1920
.LBB695_33:
	s_or_b64 exec, exec, s[14:15]
	v_or_b32_e32 v22, 0x800, v0
	v_cmp_lt_u32_e32 vcc, v22, v4
                                        ; implicit-def: $vgpr22
	s_and_saveexec_b64 s[14:15], vcc
	s_cbranch_execz .LBB695_35
; %bb.34:
	global_load_ubyte v22, v0, s[4:5] offset:2048
.LBB695_35:
	s_or_b64 exec, exec, s[14:15]
	v_or_b32_e32 v23, 0x880, v0
	v_cmp_lt_u32_e32 vcc, v23, v4
                                        ; implicit-def: $vgpr23
	s_and_saveexec_b64 s[14:15], vcc
	s_cbranch_execz .LBB695_37
; %bb.36:
	global_load_ubyte v23, v0, s[4:5] offset:2176
.LBB695_37:
	s_or_b64 exec, exec, s[14:15]
	v_or_b32_e32 v24, 0x900, v0
	v_cmp_lt_u32_e32 vcc, v24, v4
                                        ; implicit-def: $vgpr4
	s_and_saveexec_b64 s[14:15], vcc
	s_cbranch_execz .LBB695_39
; %bb.38:
	global_load_ubyte v4, v0, s[4:5] offset:2304
.LBB695_39:
	s_or_b64 exec, exec, s[14:15]
	s_mov_b64 s[4:5], 0
	s_waitcnt vmcnt(0)
	ds_write_b8 v0, v1
	ds_write_b8 v0, v5 offset:128
	ds_write_b8 v0, v6 offset:256
	;; [unrolled: 1-line block ×18, first 2 shown]
	s_waitcnt lgkmcnt(0)
	s_barrier
.LBB695_40:
	s_and_b64 vcc, exec, s[4:5]
	s_cbranch_vccz .LBB695_42
; %bb.41:
	s_add_u32 s4, s7, s17
	s_addc_u32 s5, s16, 0
	global_load_ubyte v1, v0, s[4:5]
	global_load_ubyte v4, v0, s[4:5] offset:128
	global_load_ubyte v5, v0, s[4:5] offset:256
	global_load_ubyte v6, v0, s[4:5] offset:384
	global_load_ubyte v7, v0, s[4:5] offset:512
	global_load_ubyte v10, v0, s[4:5] offset:640
	global_load_ubyte v11, v0, s[4:5] offset:768
	global_load_ubyte v12, v0, s[4:5] offset:896
	global_load_ubyte v13, v0, s[4:5] offset:1024
	global_load_ubyte v14, v0, s[4:5] offset:1152
	global_load_ubyte v15, v0, s[4:5] offset:1280
	global_load_ubyte v16, v0, s[4:5] offset:1408
	global_load_ubyte v17, v0, s[4:5] offset:1536
	global_load_ubyte v18, v0, s[4:5] offset:1664
	global_load_ubyte v19, v0, s[4:5] offset:1792
	global_load_ubyte v20, v0, s[4:5] offset:1920
	global_load_ubyte v21, v0, s[4:5] offset:2048
	global_load_ubyte v22, v0, s[4:5] offset:2176
	global_load_ubyte v23, v0, s[4:5] offset:2304
	s_waitcnt vmcnt(18)
	ds_write_b8 v0, v1
	s_waitcnt vmcnt(17)
	ds_write_b8 v0, v4 offset:128
	s_waitcnt vmcnt(16)
	ds_write_b8 v0, v5 offset:256
	;; [unrolled: 2-line block ×18, first 2 shown]
	s_waitcnt lgkmcnt(0)
	s_barrier
.LBB695_42:
	v_mul_u32_u24_e32 v1, 19, v0
	ds_read_u8 v11, v1
	ds_read_b64 v[6:7], v1 offset:1
	ds_read_u8 v10, v1 offset:9
	ds_read_b64 v[4:5], v1 offset:10
	ds_read_u8 v1, v1 offset:18
	s_cmp_eq_u64 s[2:3], 0
	s_waitcnt lgkmcnt(0)
	s_barrier
	s_cbranch_scc1 .LBB695_47
; %bb.43:
	s_add_u32 s4, s8, s10
	s_addc_u32 s5, s9, s11
	s_add_u32 s4, s4, s6
	s_addc_u32 s5, s5, 0
	v_mov_b32_e32 v12, 0
	global_load_ubyte v16, v12, s[4:5] offset:-1
	v_cmp_eq_u64_e32 vcc, s[2:3], v[8:9]
	s_cbranch_vccnz .LBB695_48
; %bb.44:
	v_cmp_ne_u32_e32 vcc, 0, v0
	s_waitcnt vmcnt(0)
	v_mov_b32_e32 v8, v16
	ds_write_b8 v0, v1
	s_waitcnt lgkmcnt(0)
	s_barrier
	s_and_saveexec_b64 s[4:5], vcc
	s_cbranch_execz .LBB695_46
; %bb.45:
	v_add_u32_e32 v8, -1, v0
	ds_read_u8 v8, v8
.LBB695_46:
	s_or_b64 exec, exec, s[4:5]
	v_lshrrev_b32_e32 v9, 16, v6
	v_lshlrev_b16_e32 v14, 8, v6
	v_lshlrev_b16_e32 v17, 8, v9
	v_mov_b32_e32 v20, 8
	v_lshrrev_b32_e32 v9, 16, v4
	v_lshrrev_b32_sdwa v14, v20, v14 dst_sel:BYTE_1 dst_unused:UNUSED_PAD src0_sel:DWORD src1_sel:DWORD
	v_lshrrev_b32_sdwa v17, v20, v17 dst_sel:BYTE_1 dst_unused:UNUSED_PAD src0_sel:DWORD src1_sel:DWORD
	v_lshlrev_b16_e32 v18, 8, v4
	v_lshlrev_b16_e32 v19, 8, v9
	v_or_b32_sdwa v14, v11, v14 dst_sel:DWORD dst_unused:UNUSED_PAD src0_sel:BYTE_0 src1_sel:DWORD
	v_or_b32_sdwa v17, v6, v17 dst_sel:WORD_1 dst_unused:UNUSED_PAD src0_sel:BYTE_1 src1_sel:DWORD
	v_or_b32_sdwa v17, v14, v17 dst_sel:DWORD dst_unused:UNUSED_PAD src0_sel:WORD_0 src1_sel:DWORD
	v_lshrrev_b32_sdwa v14, v20, v18 dst_sel:BYTE_1 dst_unused:UNUSED_PAD src0_sel:DWORD src1_sel:DWORD
	v_lshrrev_b32_sdwa v18, v20, v19 dst_sel:BYTE_1 dst_unused:UNUSED_PAD src0_sel:DWORD src1_sel:DWORD
	s_mov_b32 s3, 0x2010007
	v_or_b32_sdwa v14, v10, v14 dst_sel:DWORD dst_unused:UNUSED_PAD src0_sel:BYTE_0 src1_sel:DWORD
	v_or_b32_sdwa v18, v4, v18 dst_sel:WORD_1 dst_unused:UNUSED_PAD src0_sel:BYTE_1 src1_sel:DWORD
	s_waitcnt lgkmcnt(0)
	v_sub_u16_e32 v12, v11, v8
	v_perm_b32 v15, v6, v7, s3
	v_lshrrev_b32_e32 v9, 24, v7
	v_perm_b32 v13, v4, v5, s3
	v_lshrrev_b32_e32 v8, 24, v5
	v_or_b32_sdwa v14, v14, v18 dst_sel:DWORD dst_unused:UNUSED_PAD src0_sel:WORD_0 src1_sel:DWORD
	s_branch .LBB695_52
.LBB695_47:
                                        ; implicit-def: $vgpr13
                                        ; implicit-def: $vgpr14
                                        ; implicit-def: $vgpr15
                                        ; implicit-def: $vgpr17
                                        ; implicit-def: $vgpr12
                                        ; implicit-def: $vgpr9
                                        ; implicit-def: $vgpr8
	s_branch .LBB695_53
.LBB695_48:
                                        ; implicit-def: $vgpr13
                                        ; implicit-def: $vgpr14
                                        ; implicit-def: $vgpr15
                                        ; implicit-def: $vgpr17
                                        ; implicit-def: $vgpr12
                                        ; implicit-def: $vgpr9
                                        ; implicit-def: $vgpr8
	s_cbranch_execz .LBB695_52
; %bb.49:
	v_mul_u32_u24_e32 v12, 19, v0
	v_cmp_ne_u32_e32 vcc, 0, v0
	ds_write_b8 v0, v1
	s_waitcnt lgkmcnt(0)
	s_barrier
	s_and_saveexec_b64 s[4:5], vcc
	s_cbranch_execz .LBB695_51
; %bb.50:
	v_add_u32_e32 v8, -1, v0
	s_waitcnt vmcnt(0)
	ds_read_u8 v16, v8
.LBB695_51:
	s_or_b64 exec, exec, s[4:5]
	s_mulk_i32 s2, 0xf680
	s_add_i32 s2, s2, s12
	v_add_u32_e32 v8, 18, v12
	v_lshrrev_b32_e32 v23, 24, v5
	v_cmp_gt_u32_e32 vcc, s2, v8
	v_cndmask_b32_e32 v8, 0, v23, vcc
	v_add_u32_e32 v23, 16, v12
	v_lshrrev_b16_e32 v22, 8, v5
	v_add_u32_e32 v24, 17, v12
	v_cmp_gt_u32_e32 vcc, s2, v23
	v_lshrrev_b32_e32 v21, 16, v5
	v_add_u32_e32 v25, 14, v12
	v_cndmask_b32_e32 v22, 0, v22, vcc
	v_cmp_gt_u32_e32 vcc, s2, v24
	v_lshrrev_b32_e32 v20, 24, v4
	v_add_u32_e32 v26, 15, v12
	v_cndmask_b32_e32 v21, 0, v21, vcc
	v_cmp_gt_u32_e32 vcc, s2, v25
	v_add_u32_e32 v27, 12, v12
	v_cndmask_b32_e32 v20, 0, v20, vcc
	v_cmp_gt_u32_e32 vcc, s2, v26
	v_lshrrev_b16_e32 v19, 8, v4
	v_add_u32_e32 v28, 13, v12
	v_cndmask_b32_e32 v24, 0, v5, vcc
	v_cmp_gt_u32_e32 vcc, s2, v27
	v_lshrrev_b32_e32 v9, 16, v4
	v_add_u32_e32 v29, 11, v12
	v_cndmask_b32_e32 v19, 0, v19, vcc
	v_cmp_gt_u32_e32 vcc, s2, v28
	v_cndmask_b32_e32 v9, 0, v9, vcc
	v_cmp_gt_u32_e32 vcc, s2, v29
	v_add_u32_e32 v30, 10, v12
	v_lshlrev_b16_e32 v25, 8, v9
	v_cndmask_b32_e32 v9, 0, v4, vcc
	v_lshlrev_b16_e32 v26, 8, v9
	v_cmp_gt_u32_e32 vcc, s2, v30
	v_add_u32_e32 v9, 9, v12
	v_cndmask_b32_e32 v27, 0, v10, vcc
	v_lshrrev_b32_e32 v28, 24, v7
	v_cmp_gt_u32_e32 vcc, s2, v9
	v_cndmask_b32_e32 v9, 0, v28, vcc
	v_add_u32_e32 v28, 7, v12
	v_lshrrev_b16_e32 v18, 8, v7
	v_add_u32_e32 v29, 8, v12
	v_cmp_gt_u32_e32 vcc, s2, v28
	v_lshrrev_b32_e32 v17, 16, v7
	v_add_u32_e32 v30, 5, v12
	v_cndmask_b32_e32 v18, 0, v18, vcc
	v_cmp_gt_u32_e32 vcc, s2, v29
	v_lshrrev_b32_e32 v15, 24, v6
	v_add_u32_e32 v31, 6, v12
	v_cndmask_b32_e32 v17, 0, v17, vcc
	v_cmp_gt_u32_e32 vcc, s2, v30
	v_mov_b32_e32 v23, 8
	v_add_u32_e32 v32, 3, v12
	v_lshlrev_b16_e32 v17, 8, v17
	v_cndmask_b32_e32 v15, 0, v15, vcc
	v_cmp_gt_u32_e32 vcc, s2, v31
	v_lshrrev_b16_e32 v14, 8, v6
	v_add_u32_e32 v33, 4, v12
	v_lshrrev_b32_sdwa v28, v23, v17 dst_sel:BYTE_1 dst_unused:UNUSED_PAD src0_sel:DWORD src1_sel:DWORD
	v_cndmask_b32_e32 v17, 0, v7, vcc
	v_cmp_gt_u32_e32 vcc, s2, v32
	v_lshrrev_b32_e32 v13, 16, v6
	v_add_u32_e32 v34, 2, v12
	v_cndmask_b32_e32 v14, 0, v14, vcc
	v_cmp_gt_u32_e32 vcc, s2, v33
	v_add_u32_e32 v35, 1, v12
	v_lshlrev_b16_e32 v17, 8, v17
	v_cndmask_b32_e32 v13, 0, v13, vcc
	v_cmp_gt_u32_e32 vcc, s2, v34
	v_lshrrev_b32_sdwa v29, v23, v17 dst_sel:BYTE_1 dst_unused:UNUSED_PAD src0_sel:DWORD src1_sel:DWORD
	v_cndmask_b32_e32 v17, 0, v6, vcc
	v_cmp_gt_u32_e32 vcc, s2, v35
	v_lshlrev_b16_e32 v13, 8, v13
	v_lshlrev_b16_e32 v17, 8, v17
	v_cndmask_b32_e32 v30, 0, v11, vcc
	v_cmp_gt_u32_e32 vcc, s2, v12
	s_waitcnt vmcnt(0) lgkmcnt(0)
	v_cndmask_b32_e32 v12, 0, v16, vcc
	v_lshrrev_b32_sdwa v16, v23, v17 dst_sel:BYTE_1 dst_unused:UNUSED_PAD src0_sel:DWORD src1_sel:DWORD
	v_lshrrev_b32_sdwa v13, v23, v13 dst_sel:BYTE_1 dst_unused:UNUSED_PAD src0_sel:DWORD src1_sel:DWORD
	v_or_b32_sdwa v16, v30, v16 dst_sel:DWORD dst_unused:UNUSED_PAD src0_sel:BYTE_0 src1_sel:DWORD
	v_or_b32_sdwa v13, v14, v13 dst_sel:WORD_1 dst_unused:UNUSED_PAD src0_sel:DWORD src1_sel:DWORD
	v_or_b32_sdwa v17, v16, v13 dst_sel:DWORD dst_unused:UNUSED_PAD src0_sel:WORD_0 src1_sel:DWORD
	v_or_b32_e32 v13, v15, v29
	v_or_b32_sdwa v14, v18, v28 dst_sel:WORD_1 dst_unused:UNUSED_PAD src0_sel:DWORD src1_sel:DWORD
	v_lshlrev_b16_e32 v21, 8, v21
	v_lshlrev_b16_e32 v24, 8, v24
	v_or_b32_sdwa v15, v13, v14 dst_sel:DWORD dst_unused:UNUSED_PAD src0_sel:WORD_0 src1_sel:DWORD
	v_lshrrev_b32_sdwa v13, v23, v26 dst_sel:BYTE_1 dst_unused:UNUSED_PAD src0_sel:DWORD src1_sel:DWORD
	v_lshrrev_b32_sdwa v14, v23, v25 dst_sel:BYTE_1 dst_unused:UNUSED_PAD src0_sel:DWORD src1_sel:DWORD
	;; [unrolled: 1-line block ×4, first 2 shown]
	v_or_b32_sdwa v13, v27, v13 dst_sel:DWORD dst_unused:UNUSED_PAD src0_sel:BYTE_0 src1_sel:DWORD
	v_or_b32_sdwa v14, v19, v14 dst_sel:WORD_1 dst_unused:UNUSED_PAD src0_sel:DWORD src1_sel:DWORD
	v_or_b32_sdwa v14, v13, v14 dst_sel:DWORD dst_unused:UNUSED_PAD src0_sel:WORD_0 src1_sel:DWORD
	v_or_b32_e32 v13, v20, v24
	v_or_b32_sdwa v16, v22, v21 dst_sel:WORD_1 dst_unused:UNUSED_PAD src0_sel:DWORD src1_sel:DWORD
	v_sub_u16_e32 v12, v11, v12
	v_or_b32_sdwa v13, v13, v16 dst_sel:DWORD dst_unused:UNUSED_PAD src0_sel:WORD_0 src1_sel:DWORD
.LBB695_52:
	s_cbranch_execnz .LBB695_62
.LBB695_53:
	v_cmp_eq_u64_e32 vcc, 1, v[2:3]
	v_cmp_ne_u32_e64 s[2:3], 0, v0
	s_cbranch_vccnz .LBB695_57
; %bb.54:
	v_lshlrev_b16_e32 v2, 8, v6
	v_lshrrev_b32_e32 v3, 16, v6
	v_mov_b32_e32 v13, 8
	v_lshlrev_b16_e32 v8, 8, v3
	v_lshrrev_b32_e32 v3, 16, v4
	v_lshrrev_b32_sdwa v2, v13, v2 dst_sel:BYTE_1 dst_unused:UNUSED_PAD src0_sel:DWORD src1_sel:DWORD
	v_lshlrev_b16_e32 v9, 8, v4
	v_lshlrev_b16_e32 v12, 8, v3
	v_or_b32_sdwa v3, v11, v2 dst_sel:DWORD dst_unused:UNUSED_PAD src0_sel:BYTE_0 src1_sel:DWORD
	v_lshrrev_b32_sdwa v2, v13, v8 dst_sel:BYTE_1 dst_unused:UNUSED_PAD src0_sel:DWORD src1_sel:DWORD
	v_or_b32_sdwa v14, v6, v2 dst_sel:WORD_1 dst_unused:UNUSED_PAD src0_sel:BYTE_1 src1_sel:DWORD
	v_lshrrev_b32_sdwa v2, v13, v9 dst_sel:BYTE_1 dst_unused:UNUSED_PAD src0_sel:DWORD src1_sel:DWORD
	s_waitcnt vmcnt(0)
	v_or_b32_sdwa v16, v10, v2 dst_sel:DWORD dst_unused:UNUSED_PAD src0_sel:BYTE_0 src1_sel:DWORD
	v_lshrrev_b32_sdwa v2, v13, v12 dst_sel:BYTE_1 dst_unused:UNUSED_PAD src0_sel:DWORD src1_sel:DWORD
	s_mov_b32 s6, 0x2010007
	v_or_b32_sdwa v18, v4, v2 dst_sel:WORD_1 dst_unused:UNUSED_PAD src0_sel:BYTE_1 src1_sel:DWORD
	v_mov_b32_e32 v2, 0
	v_mov_b32_e32 v12, v11
	ds_write_b8 v0, v1
	s_waitcnt lgkmcnt(0)
	s_barrier
	s_and_saveexec_b64 s[4:5], s[2:3]
	s_cbranch_execz .LBB695_56
; %bb.55:
	v_add_u32_e32 v2, -1, v0
	ds_read_u8 v2, v2
	s_waitcnt lgkmcnt(0)
	v_sub_u16_e32 v12, v11, v2
	v_mov_b32_e32 v2, v0
.LBB695_56:
	s_or_b64 exec, exec, s[4:5]
	v_perm_b32 v15, v6, v7, s6
	v_lshrrev_b32_e32 v9, 24, v7
	v_perm_b32 v13, v4, v5, s6
	v_lshrrev_b32_e32 v8, 24, v5
	v_or_b32_sdwa v17, v3, v14 dst_sel:DWORD dst_unused:UNUSED_PAD src0_sel:WORD_0 src1_sel:DWORD
	v_or_b32_sdwa v14, v16, v18 dst_sel:DWORD dst_unused:UNUSED_PAD src0_sel:WORD_0 src1_sel:DWORD
	s_cbranch_execz .LBB695_58
	s_branch .LBB695_61
.LBB695_57:
                                        ; implicit-def: $vgpr13
                                        ; implicit-def: $vgpr14
                                        ; implicit-def: $vgpr15
                                        ; implicit-def: $vgpr17
                                        ; implicit-def: $vgpr12
                                        ; implicit-def: $vgpr9
                                        ; implicit-def: $vgpr8
                                        ; implicit-def: $vgpr2
.LBB695_58:
	v_mad_u32_u24 v20, v0, 19, 16
	v_lshrrev_b16_e32 v18, 8, v5
	v_mad_u32_u24 v21, v0, 19, 17
	v_cmp_gt_u32_e64 s[2:3], s12, v20
	v_lshrrev_b32_e32 v17, 16, v5
	v_mad_u32_u24 v22, v0, 19, 14
	v_cndmask_b32_e64 v20, 0, v18, s[2:3]
	v_cmp_gt_u32_e64 s[2:3], s12, v21
	s_waitcnt vmcnt(0)
	v_lshrrev_b32_e32 v16, 24, v4
	v_mad_u32_u24 v23, v0, 19, 15
	v_cndmask_b32_e64 v17, 0, v17, s[2:3]
	v_cmp_gt_u32_e64 s[2:3], s12, v22
	v_mad_u32_u24 v24, v0, 19, 12
	v_cndmask_b32_e64 v21, 0, v16, s[2:3]
	v_cmp_gt_u32_e64 s[2:3], s12, v23
	v_lshrrev_b16_e32 v15, 8, v4
	v_mad_u32_u24 v25, v0, 19, 13
	v_cndmask_b32_e64 v16, 0, v5, s[2:3]
	v_cmp_gt_u32_e64 s[2:3], s12, v24
	v_lshrrev_b32_e32 v3, 16, v4
	v_mad_u32_u24 v26, v0, 19, 11
	v_cndmask_b32_e64 v23, 0, v15, s[2:3]
	v_cmp_gt_u32_e64 s[2:3], s12, v25
	v_mad_u32_u24 v15, v0, 19, 7
	v_lshrrev_b16_e32 v14, 8, v7
	v_mad_u32_u24 v27, v0, 19, 10
	v_cndmask_b32_e64 v3, 0, v3, s[2:3]
	v_cmp_gt_u32_e64 s[2:3], s12, v26
	v_mad_u32_u24 v26, v0, 19, 8
	v_cmp_gt_u32_e64 s[4:5], s12, v15
	v_lshrrev_b32_e32 v13, 16, v7
	v_lshlrev_b16_e32 v24, 8, v3
	v_cndmask_b32_e64 v3, 0, v4, s[2:3]
	v_cmp_gt_u32_e64 s[2:3], s12, v27
	v_mad_u32_u24 v27, v0, 19, 5
	v_cndmask_b32_e64 v15, 0, v14, s[4:5]
	v_cmp_gt_u32_e64 s[4:5], s12, v26
	v_lshrrev_b32_e32 v12, 24, v6
	v_mad_u32_u24 v28, v0, 19, 6
	v_cndmask_b32_e64 v13, 0, v13, s[4:5]
	v_cmp_gt_u32_e64 s[4:5], s12, v27
	v_mad_u32_u24 v29, v0, 19, 3
	v_cndmask_b32_e64 v14, 0, v12, s[4:5]
	v_cmp_gt_u32_e64 s[4:5], s12, v28
	v_lshrrev_b16_e32 v9, 8, v6
	v_mad_u32_u24 v30, v0, 19, 4
	v_cndmask_b32_e64 v12, 0, v7, s[4:5]
	v_cmp_gt_u32_e64 s[4:5], s12, v29
	v_lshrrev_b32_e32 v8, 16, v6
	v_mad_u32_u24 v31, v0, 19, 2
	v_cndmask_b32_e64 v9, 0, v9, s[4:5]
	v_cmp_gt_u32_e64 s[4:5], s12, v30
	v_mov_b32_e32 v18, 8
	v_lshlrev_b16_e32 v12, 8, v12
	v_cndmask_b32_e64 v8, 0, v8, s[4:5]
	v_cmp_gt_u32_e64 s[4:5], s12, v31
	v_mad_u32_u24 v32, v0, 19, 1
	v_lshrrev_b32_sdwa v27, v18, v12 dst_sel:BYTE_1 dst_unused:UNUSED_PAD src0_sel:DWORD src1_sel:DWORD
	v_cndmask_b32_e64 v12, 0, v6, s[4:5]
	v_lshlrev_b16_e32 v16, 8, v16
	v_lshlrev_b16_e32 v13, 8, v13
	;; [unrolled: 1-line block ×4, first 2 shown]
	v_cmp_gt_u32_e64 s[4:5], s12, v32
	v_lshrrev_b32_sdwa v22, v18, v16 dst_sel:BYTE_1 dst_unused:UNUSED_PAD src0_sel:DWORD src1_sel:DWORD
	v_lshlrev_b16_e32 v16, 8, v3
	v_lshrrev_b32_sdwa v26, v18, v13 dst_sel:BYTE_1 dst_unused:UNUSED_PAD src0_sel:DWORD src1_sel:DWORD
	v_cndmask_b32_e64 v13, 0, v11, s[4:5]
	v_lshrrev_b32_sdwa v12, v18, v12 dst_sel:BYTE_1 dst_unused:UNUSED_PAD src0_sel:DWORD src1_sel:DWORD
	v_lshrrev_b32_sdwa v8, v18, v8 dst_sel:BYTE_1 dst_unused:UNUSED_PAD src0_sel:DWORD src1_sel:DWORD
	v_mul_u32_u24_e32 v19, 19, v0
	v_lshlrev_b16_e32 v17, 8, v17
	v_cndmask_b32_e64 v25, 0, v10, s[2:3]
	v_or_b32_sdwa v12, v13, v12 dst_sel:DWORD dst_unused:UNUSED_PAD src0_sel:BYTE_0 src1_sel:DWORD
	v_or_b32_sdwa v13, v9, v8 dst_sel:WORD_1 dst_unused:UNUSED_PAD src0_sel:DWORD src1_sel:DWORD
	v_lshrrev_b32_sdwa v8, v18, v16 dst_sel:BYTE_1 dst_unused:UNUSED_PAD src0_sel:DWORD src1_sel:DWORD
	v_mad_u32_u24 v2, v0, 19, 18
	v_lshrrev_b32_sdwa v17, v18, v17 dst_sel:BYTE_1 dst_unused:UNUSED_PAD src0_sel:DWORD src1_sel:DWORD
	v_mad_u32_u24 v3, v0, 19, 9
	v_cmp_ne_u32_e64 s[4:5], 0, v0
	v_cmp_gt_u32_e64 s[6:7], s12, v19
	v_or_b32_sdwa v16, v25, v8 dst_sel:DWORD dst_unused:UNUSED_PAD src0_sel:BYTE_0 src1_sel:DWORD
	v_lshrrev_b32_sdwa v8, v18, v24 dst_sel:BYTE_1 dst_unused:UNUSED_PAD src0_sel:DWORD src1_sel:DWORD
	v_cmp_gt_u32_e32 vcc, s12, v2
	v_lshrrev_b32_e32 v2, 24, v5
	v_cmp_gt_u32_e64 s[2:3], s12, v3
	v_lshrrev_b32_e32 v3, 24, v7
	s_and_b64 s[6:7], s[4:5], s[6:7]
	v_or_b32_e32 v14, v14, v27
	v_or_b32_sdwa v15, v15, v26 dst_sel:WORD_1 dst_unused:UNUSED_PAD src0_sel:DWORD src1_sel:DWORD
	v_or_b32_sdwa v18, v23, v8 dst_sel:WORD_1 dst_unused:UNUSED_PAD src0_sel:DWORD src1_sel:DWORD
	v_or_b32_e32 v19, v21, v22
	v_or_b32_sdwa v20, v20, v17 dst_sel:WORD_1 dst_unused:UNUSED_PAD src0_sel:DWORD src1_sel:DWORD
	ds_write_b8 v0, v1
	s_waitcnt lgkmcnt(0)
	s_barrier
	s_and_saveexec_b64 s[4:5], s[6:7]
	s_cbranch_execz .LBB695_60
; %bb.59:
	v_add_u32_e32 v8, -1, v0
	ds_read_u8 v8, v8
	s_waitcnt lgkmcnt(0)
	v_sub_u16_e32 v11, v11, v8
.LBB695_60:
	s_or_b64 exec, exec, s[4:5]
	v_cndmask_b32_e32 v8, 0, v2, vcc
	v_cndmask_b32_e64 v9, 0, v3, s[2:3]
	v_or_b32_sdwa v17, v12, v13 dst_sel:DWORD dst_unused:UNUSED_PAD src0_sel:WORD_0 src1_sel:DWORD
	v_or_b32_sdwa v15, v14, v15 dst_sel:DWORD dst_unused:UNUSED_PAD src0_sel:WORD_0 src1_sel:DWORD
	;; [unrolled: 1-line block ×4, first 2 shown]
	v_mov_b32_e32 v12, v11
	v_mov_b32_e32 v2, v0
.LBB695_61:
	v_mov_b32_e32 v0, v2
.LBB695_62:
	v_sub_u16_sdwa v2, v7, v15 dst_sel:BYTE_1 dst_unused:UNUSED_PAD src0_sel:BYTE_3 src1_sel:BYTE_3
	v_sub_u16_sdwa v3, v7, v15 dst_sel:DWORD dst_unused:UNUSED_PAD src0_sel:WORD_1 src1_sel:WORD_1
	v_or_b32_sdwa v2, v3, v2 dst_sel:WORD_1 dst_unused:UNUSED_PAD src0_sel:BYTE_0 src1_sel:DWORD
	v_sub_u16_sdwa v3, v7, v15 dst_sel:BYTE_1 dst_unused:UNUSED_PAD src0_sel:BYTE_1 src1_sel:BYTE_1
	v_sub_u16_e32 v7, v7, v15
	v_or_b32_sdwa v3, v7, v3 dst_sel:DWORD dst_unused:UNUSED_PAD src0_sel:BYTE_0 src1_sel:DWORD
	v_or_b32_sdwa v3, v3, v2 dst_sel:DWORD dst_unused:UNUSED_PAD src0_sel:WORD_0 src1_sel:DWORD
	v_sub_u16_sdwa v2, v6, v17 dst_sel:BYTE_1 dst_unused:UNUSED_PAD src0_sel:BYTE_3 src1_sel:BYTE_3
	v_sub_u16_sdwa v7, v6, v17 dst_sel:DWORD dst_unused:UNUSED_PAD src0_sel:WORD_1 src1_sel:WORD_1
	v_or_b32_sdwa v2, v7, v2 dst_sel:WORD_1 dst_unused:UNUSED_PAD src0_sel:BYTE_0 src1_sel:DWORD
	v_sub_u16_sdwa v7, v6, v17 dst_sel:BYTE_1 dst_unused:UNUSED_PAD src0_sel:BYTE_1 src1_sel:BYTE_1
	v_sub_u16_e32 v6, v6, v17
	v_or_b32_sdwa v6, v6, v7 dst_sel:DWORD dst_unused:UNUSED_PAD src0_sel:BYTE_0 src1_sel:DWORD
	v_or_b32_sdwa v2, v6, v2 dst_sel:DWORD dst_unused:UNUSED_PAD src0_sel:WORD_0 src1_sel:DWORD
	v_sub_u16_e32 v6, v10, v9
	v_sub_u16_sdwa v7, v5, v13 dst_sel:BYTE_1 dst_unused:UNUSED_PAD src0_sel:BYTE_3 src1_sel:BYTE_3
	v_sub_u16_sdwa v9, v5, v13 dst_sel:DWORD dst_unused:UNUSED_PAD src0_sel:WORD_1 src1_sel:WORD_1
	v_or_b32_sdwa v7, v9, v7 dst_sel:WORD_1 dst_unused:UNUSED_PAD src0_sel:BYTE_0 src1_sel:DWORD
	v_sub_u16_sdwa v9, v5, v13 dst_sel:BYTE_1 dst_unused:UNUSED_PAD src0_sel:BYTE_1 src1_sel:BYTE_1
	v_sub_u16_e32 v5, v5, v13
	v_or_b32_sdwa v5, v5, v9 dst_sel:DWORD dst_unused:UNUSED_PAD src0_sel:BYTE_0 src1_sel:DWORD
	v_or_b32_sdwa v5, v5, v7 dst_sel:DWORD dst_unused:UNUSED_PAD src0_sel:WORD_0 src1_sel:DWORD
	v_sub_u16_sdwa v7, v4, v14 dst_sel:BYTE_1 dst_unused:UNUSED_PAD src0_sel:BYTE_3 src1_sel:BYTE_3
	v_sub_u16_sdwa v9, v4, v14 dst_sel:DWORD dst_unused:UNUSED_PAD src0_sel:WORD_1 src1_sel:WORD_1
	v_or_b32_sdwa v7, v9, v7 dst_sel:WORD_1 dst_unused:UNUSED_PAD src0_sel:BYTE_0 src1_sel:DWORD
	v_sub_u16_sdwa v9, v4, v14 dst_sel:BYTE_1 dst_unused:UNUSED_PAD src0_sel:BYTE_1 src1_sel:BYTE_1
	v_sub_u16_e32 v4, v4, v14
	v_or_b32_sdwa v4, v4, v9 dst_sel:DWORD dst_unused:UNUSED_PAD src0_sel:BYTE_0 src1_sel:DWORD
	v_mul_u32_u24_e32 v0, 19, v0
	s_mov_b64 s[2:3], -1
	s_and_b64 vcc, exec, s[0:1]
	v_or_b32_sdwa v4, v4, v7 dst_sel:DWORD dst_unused:UNUSED_PAD src0_sel:WORD_0 src1_sel:DWORD
	v_sub_u16_e32 v1, v1, v8
	s_barrier
	ds_write_b8 v0, v12
	ds_write_b64 v0, v[2:3] offset:1
	ds_write_b8 v0, v6 offset:9
	ds_write_b64 v0, v[4:5] offset:10
	ds_write_b8 v0, v1 offset:18
	s_waitcnt lgkmcnt(0)
	s_cbranch_vccnz .LBB695_65
; %bb.63:
	s_andn2_b64 vcc, exec, s[2:3]
	s_cbranch_vccz .LBB695_66
.LBB695_64:
	s_endpgm
.LBB695_65:
	s_barrier
	s_cbranch_execnz .LBB695_64
.LBB695_66:
	s_barrier
	s_endpgm
	.section	.rodata,"a",@progbits
	.p2align	6, 0x0
	.amdhsa_kernel _ZN7rocprim17ROCPRIM_400000_NS6detail17trampoline_kernelINS0_14default_configENS1_35adjacent_difference_config_selectorILb1EhEEZNS1_24adjacent_difference_implIS3_Lb1ELb0EPhN6thrust23THRUST_200600_302600_NS16discard_iteratorINS9_11use_defaultEEENS9_5minusIhEEEE10hipError_tPvRmT2_T3_mT4_P12ihipStream_tbEUlT_E_NS1_11comp_targetILNS1_3genE4ELNS1_11target_archE910ELNS1_3gpuE8ELNS1_3repE0EEENS1_30default_config_static_selectorELNS0_4arch9wavefront6targetE1EEEvT1_
		.amdhsa_group_segment_fixed_size 2432
		.amdhsa_private_segment_fixed_size 0
		.amdhsa_kernarg_size 64
		.amdhsa_user_sgpr_count 6
		.amdhsa_user_sgpr_private_segment_buffer 1
		.amdhsa_user_sgpr_dispatch_ptr 0
		.amdhsa_user_sgpr_queue_ptr 0
		.amdhsa_user_sgpr_kernarg_segment_ptr 1
		.amdhsa_user_sgpr_dispatch_id 0
		.amdhsa_user_sgpr_flat_scratch_init 0
		.amdhsa_user_sgpr_kernarg_preload_length 0
		.amdhsa_user_sgpr_kernarg_preload_offset 0
		.amdhsa_user_sgpr_private_segment_size 0
		.amdhsa_uses_dynamic_stack 0
		.amdhsa_system_sgpr_private_segment_wavefront_offset 0
		.amdhsa_system_sgpr_workgroup_id_x 1
		.amdhsa_system_sgpr_workgroup_id_y 0
		.amdhsa_system_sgpr_workgroup_id_z 0
		.amdhsa_system_sgpr_workgroup_info 0
		.amdhsa_system_vgpr_workitem_id 0
		.amdhsa_next_free_vgpr 36
		.amdhsa_next_free_sgpr 20
		.amdhsa_accum_offset 36
		.amdhsa_reserve_vcc 1
		.amdhsa_reserve_flat_scratch 0
		.amdhsa_float_round_mode_32 0
		.amdhsa_float_round_mode_16_64 0
		.amdhsa_float_denorm_mode_32 3
		.amdhsa_float_denorm_mode_16_64 3
		.amdhsa_dx10_clamp 1
		.amdhsa_ieee_mode 1
		.amdhsa_fp16_overflow 0
		.amdhsa_tg_split 0
		.amdhsa_exception_fp_ieee_invalid_op 0
		.amdhsa_exception_fp_denorm_src 0
		.amdhsa_exception_fp_ieee_div_zero 0
		.amdhsa_exception_fp_ieee_overflow 0
		.amdhsa_exception_fp_ieee_underflow 0
		.amdhsa_exception_fp_ieee_inexact 0
		.amdhsa_exception_int_div_zero 0
	.end_amdhsa_kernel
	.section	.text._ZN7rocprim17ROCPRIM_400000_NS6detail17trampoline_kernelINS0_14default_configENS1_35adjacent_difference_config_selectorILb1EhEEZNS1_24adjacent_difference_implIS3_Lb1ELb0EPhN6thrust23THRUST_200600_302600_NS16discard_iteratorINS9_11use_defaultEEENS9_5minusIhEEEE10hipError_tPvRmT2_T3_mT4_P12ihipStream_tbEUlT_E_NS1_11comp_targetILNS1_3genE4ELNS1_11target_archE910ELNS1_3gpuE8ELNS1_3repE0EEENS1_30default_config_static_selectorELNS0_4arch9wavefront6targetE1EEEvT1_,"axG",@progbits,_ZN7rocprim17ROCPRIM_400000_NS6detail17trampoline_kernelINS0_14default_configENS1_35adjacent_difference_config_selectorILb1EhEEZNS1_24adjacent_difference_implIS3_Lb1ELb0EPhN6thrust23THRUST_200600_302600_NS16discard_iteratorINS9_11use_defaultEEENS9_5minusIhEEEE10hipError_tPvRmT2_T3_mT4_P12ihipStream_tbEUlT_E_NS1_11comp_targetILNS1_3genE4ELNS1_11target_archE910ELNS1_3gpuE8ELNS1_3repE0EEENS1_30default_config_static_selectorELNS0_4arch9wavefront6targetE1EEEvT1_,comdat
.Lfunc_end695:
	.size	_ZN7rocprim17ROCPRIM_400000_NS6detail17trampoline_kernelINS0_14default_configENS1_35adjacent_difference_config_selectorILb1EhEEZNS1_24adjacent_difference_implIS3_Lb1ELb0EPhN6thrust23THRUST_200600_302600_NS16discard_iteratorINS9_11use_defaultEEENS9_5minusIhEEEE10hipError_tPvRmT2_T3_mT4_P12ihipStream_tbEUlT_E_NS1_11comp_targetILNS1_3genE4ELNS1_11target_archE910ELNS1_3gpuE8ELNS1_3repE0EEENS1_30default_config_static_selectorELNS0_4arch9wavefront6targetE1EEEvT1_, .Lfunc_end695-_ZN7rocprim17ROCPRIM_400000_NS6detail17trampoline_kernelINS0_14default_configENS1_35adjacent_difference_config_selectorILb1EhEEZNS1_24adjacent_difference_implIS3_Lb1ELb0EPhN6thrust23THRUST_200600_302600_NS16discard_iteratorINS9_11use_defaultEEENS9_5minusIhEEEE10hipError_tPvRmT2_T3_mT4_P12ihipStream_tbEUlT_E_NS1_11comp_targetILNS1_3genE4ELNS1_11target_archE910ELNS1_3gpuE8ELNS1_3repE0EEENS1_30default_config_static_selectorELNS0_4arch9wavefront6targetE1EEEvT1_
                                        ; -- End function
	.section	.AMDGPU.csdata,"",@progbits
; Kernel info:
; codeLenInByte = 3808
; NumSgprs: 24
; NumVgprs: 36
; NumAgprs: 0
; TotalNumVgprs: 36
; ScratchSize: 0
; MemoryBound: 0
; FloatMode: 240
; IeeeMode: 1
; LDSByteSize: 2432 bytes/workgroup (compile time only)
; SGPRBlocks: 2
; VGPRBlocks: 4
; NumSGPRsForWavesPerEU: 24
; NumVGPRsForWavesPerEU: 36
; AccumOffset: 36
; Occupancy: 8
; WaveLimiterHint : 1
; COMPUTE_PGM_RSRC2:SCRATCH_EN: 0
; COMPUTE_PGM_RSRC2:USER_SGPR: 6
; COMPUTE_PGM_RSRC2:TRAP_HANDLER: 0
; COMPUTE_PGM_RSRC2:TGID_X_EN: 1
; COMPUTE_PGM_RSRC2:TGID_Y_EN: 0
; COMPUTE_PGM_RSRC2:TGID_Z_EN: 0
; COMPUTE_PGM_RSRC2:TIDIG_COMP_CNT: 0
; COMPUTE_PGM_RSRC3_GFX90A:ACCUM_OFFSET: 8
; COMPUTE_PGM_RSRC3_GFX90A:TG_SPLIT: 0
	.section	.text._ZN7rocprim17ROCPRIM_400000_NS6detail17trampoline_kernelINS0_14default_configENS1_35adjacent_difference_config_selectorILb1EhEEZNS1_24adjacent_difference_implIS3_Lb1ELb0EPhN6thrust23THRUST_200600_302600_NS16discard_iteratorINS9_11use_defaultEEENS9_5minusIhEEEE10hipError_tPvRmT2_T3_mT4_P12ihipStream_tbEUlT_E_NS1_11comp_targetILNS1_3genE3ELNS1_11target_archE908ELNS1_3gpuE7ELNS1_3repE0EEENS1_30default_config_static_selectorELNS0_4arch9wavefront6targetE1EEEvT1_,"axG",@progbits,_ZN7rocprim17ROCPRIM_400000_NS6detail17trampoline_kernelINS0_14default_configENS1_35adjacent_difference_config_selectorILb1EhEEZNS1_24adjacent_difference_implIS3_Lb1ELb0EPhN6thrust23THRUST_200600_302600_NS16discard_iteratorINS9_11use_defaultEEENS9_5minusIhEEEE10hipError_tPvRmT2_T3_mT4_P12ihipStream_tbEUlT_E_NS1_11comp_targetILNS1_3genE3ELNS1_11target_archE908ELNS1_3gpuE7ELNS1_3repE0EEENS1_30default_config_static_selectorELNS0_4arch9wavefront6targetE1EEEvT1_,comdat
	.protected	_ZN7rocprim17ROCPRIM_400000_NS6detail17trampoline_kernelINS0_14default_configENS1_35adjacent_difference_config_selectorILb1EhEEZNS1_24adjacent_difference_implIS3_Lb1ELb0EPhN6thrust23THRUST_200600_302600_NS16discard_iteratorINS9_11use_defaultEEENS9_5minusIhEEEE10hipError_tPvRmT2_T3_mT4_P12ihipStream_tbEUlT_E_NS1_11comp_targetILNS1_3genE3ELNS1_11target_archE908ELNS1_3gpuE7ELNS1_3repE0EEENS1_30default_config_static_selectorELNS0_4arch9wavefront6targetE1EEEvT1_ ; -- Begin function _ZN7rocprim17ROCPRIM_400000_NS6detail17trampoline_kernelINS0_14default_configENS1_35adjacent_difference_config_selectorILb1EhEEZNS1_24adjacent_difference_implIS3_Lb1ELb0EPhN6thrust23THRUST_200600_302600_NS16discard_iteratorINS9_11use_defaultEEENS9_5minusIhEEEE10hipError_tPvRmT2_T3_mT4_P12ihipStream_tbEUlT_E_NS1_11comp_targetILNS1_3genE3ELNS1_11target_archE908ELNS1_3gpuE7ELNS1_3repE0EEENS1_30default_config_static_selectorELNS0_4arch9wavefront6targetE1EEEvT1_
	.globl	_ZN7rocprim17ROCPRIM_400000_NS6detail17trampoline_kernelINS0_14default_configENS1_35adjacent_difference_config_selectorILb1EhEEZNS1_24adjacent_difference_implIS3_Lb1ELb0EPhN6thrust23THRUST_200600_302600_NS16discard_iteratorINS9_11use_defaultEEENS9_5minusIhEEEE10hipError_tPvRmT2_T3_mT4_P12ihipStream_tbEUlT_E_NS1_11comp_targetILNS1_3genE3ELNS1_11target_archE908ELNS1_3gpuE7ELNS1_3repE0EEENS1_30default_config_static_selectorELNS0_4arch9wavefront6targetE1EEEvT1_
	.p2align	8
	.type	_ZN7rocprim17ROCPRIM_400000_NS6detail17trampoline_kernelINS0_14default_configENS1_35adjacent_difference_config_selectorILb1EhEEZNS1_24adjacent_difference_implIS3_Lb1ELb0EPhN6thrust23THRUST_200600_302600_NS16discard_iteratorINS9_11use_defaultEEENS9_5minusIhEEEE10hipError_tPvRmT2_T3_mT4_P12ihipStream_tbEUlT_E_NS1_11comp_targetILNS1_3genE3ELNS1_11target_archE908ELNS1_3gpuE7ELNS1_3repE0EEENS1_30default_config_static_selectorELNS0_4arch9wavefront6targetE1EEEvT1_,@function
_ZN7rocprim17ROCPRIM_400000_NS6detail17trampoline_kernelINS0_14default_configENS1_35adjacent_difference_config_selectorILb1EhEEZNS1_24adjacent_difference_implIS3_Lb1ELb0EPhN6thrust23THRUST_200600_302600_NS16discard_iteratorINS9_11use_defaultEEENS9_5minusIhEEEE10hipError_tPvRmT2_T3_mT4_P12ihipStream_tbEUlT_E_NS1_11comp_targetILNS1_3genE3ELNS1_11target_archE908ELNS1_3gpuE7ELNS1_3repE0EEENS1_30default_config_static_selectorELNS0_4arch9wavefront6targetE1EEEvT1_: ; @_ZN7rocprim17ROCPRIM_400000_NS6detail17trampoline_kernelINS0_14default_configENS1_35adjacent_difference_config_selectorILb1EhEEZNS1_24adjacent_difference_implIS3_Lb1ELb0EPhN6thrust23THRUST_200600_302600_NS16discard_iteratorINS9_11use_defaultEEENS9_5minusIhEEEE10hipError_tPvRmT2_T3_mT4_P12ihipStream_tbEUlT_E_NS1_11comp_targetILNS1_3genE3ELNS1_11target_archE908ELNS1_3gpuE7ELNS1_3repE0EEENS1_30default_config_static_selectorELNS0_4arch9wavefront6targetE1EEEvT1_
; %bb.0:
	.section	.rodata,"a",@progbits
	.p2align	6, 0x0
	.amdhsa_kernel _ZN7rocprim17ROCPRIM_400000_NS6detail17trampoline_kernelINS0_14default_configENS1_35adjacent_difference_config_selectorILb1EhEEZNS1_24adjacent_difference_implIS3_Lb1ELb0EPhN6thrust23THRUST_200600_302600_NS16discard_iteratorINS9_11use_defaultEEENS9_5minusIhEEEE10hipError_tPvRmT2_T3_mT4_P12ihipStream_tbEUlT_E_NS1_11comp_targetILNS1_3genE3ELNS1_11target_archE908ELNS1_3gpuE7ELNS1_3repE0EEENS1_30default_config_static_selectorELNS0_4arch9wavefront6targetE1EEEvT1_
		.amdhsa_group_segment_fixed_size 0
		.amdhsa_private_segment_fixed_size 0
		.amdhsa_kernarg_size 64
		.amdhsa_user_sgpr_count 6
		.amdhsa_user_sgpr_private_segment_buffer 1
		.amdhsa_user_sgpr_dispatch_ptr 0
		.amdhsa_user_sgpr_queue_ptr 0
		.amdhsa_user_sgpr_kernarg_segment_ptr 1
		.amdhsa_user_sgpr_dispatch_id 0
		.amdhsa_user_sgpr_flat_scratch_init 0
		.amdhsa_user_sgpr_kernarg_preload_length 0
		.amdhsa_user_sgpr_kernarg_preload_offset 0
		.amdhsa_user_sgpr_private_segment_size 0
		.amdhsa_uses_dynamic_stack 0
		.amdhsa_system_sgpr_private_segment_wavefront_offset 0
		.amdhsa_system_sgpr_workgroup_id_x 1
		.amdhsa_system_sgpr_workgroup_id_y 0
		.amdhsa_system_sgpr_workgroup_id_z 0
		.amdhsa_system_sgpr_workgroup_info 0
		.amdhsa_system_vgpr_workitem_id 0
		.amdhsa_next_free_vgpr 1
		.amdhsa_next_free_sgpr 0
		.amdhsa_accum_offset 4
		.amdhsa_reserve_vcc 0
		.amdhsa_reserve_flat_scratch 0
		.amdhsa_float_round_mode_32 0
		.amdhsa_float_round_mode_16_64 0
		.amdhsa_float_denorm_mode_32 3
		.amdhsa_float_denorm_mode_16_64 3
		.amdhsa_dx10_clamp 1
		.amdhsa_ieee_mode 1
		.amdhsa_fp16_overflow 0
		.amdhsa_tg_split 0
		.amdhsa_exception_fp_ieee_invalid_op 0
		.amdhsa_exception_fp_denorm_src 0
		.amdhsa_exception_fp_ieee_div_zero 0
		.amdhsa_exception_fp_ieee_overflow 0
		.amdhsa_exception_fp_ieee_underflow 0
		.amdhsa_exception_fp_ieee_inexact 0
		.amdhsa_exception_int_div_zero 0
	.end_amdhsa_kernel
	.section	.text._ZN7rocprim17ROCPRIM_400000_NS6detail17trampoline_kernelINS0_14default_configENS1_35adjacent_difference_config_selectorILb1EhEEZNS1_24adjacent_difference_implIS3_Lb1ELb0EPhN6thrust23THRUST_200600_302600_NS16discard_iteratorINS9_11use_defaultEEENS9_5minusIhEEEE10hipError_tPvRmT2_T3_mT4_P12ihipStream_tbEUlT_E_NS1_11comp_targetILNS1_3genE3ELNS1_11target_archE908ELNS1_3gpuE7ELNS1_3repE0EEENS1_30default_config_static_selectorELNS0_4arch9wavefront6targetE1EEEvT1_,"axG",@progbits,_ZN7rocprim17ROCPRIM_400000_NS6detail17trampoline_kernelINS0_14default_configENS1_35adjacent_difference_config_selectorILb1EhEEZNS1_24adjacent_difference_implIS3_Lb1ELb0EPhN6thrust23THRUST_200600_302600_NS16discard_iteratorINS9_11use_defaultEEENS9_5minusIhEEEE10hipError_tPvRmT2_T3_mT4_P12ihipStream_tbEUlT_E_NS1_11comp_targetILNS1_3genE3ELNS1_11target_archE908ELNS1_3gpuE7ELNS1_3repE0EEENS1_30default_config_static_selectorELNS0_4arch9wavefront6targetE1EEEvT1_,comdat
.Lfunc_end696:
	.size	_ZN7rocprim17ROCPRIM_400000_NS6detail17trampoline_kernelINS0_14default_configENS1_35adjacent_difference_config_selectorILb1EhEEZNS1_24adjacent_difference_implIS3_Lb1ELb0EPhN6thrust23THRUST_200600_302600_NS16discard_iteratorINS9_11use_defaultEEENS9_5minusIhEEEE10hipError_tPvRmT2_T3_mT4_P12ihipStream_tbEUlT_E_NS1_11comp_targetILNS1_3genE3ELNS1_11target_archE908ELNS1_3gpuE7ELNS1_3repE0EEENS1_30default_config_static_selectorELNS0_4arch9wavefront6targetE1EEEvT1_, .Lfunc_end696-_ZN7rocprim17ROCPRIM_400000_NS6detail17trampoline_kernelINS0_14default_configENS1_35adjacent_difference_config_selectorILb1EhEEZNS1_24adjacent_difference_implIS3_Lb1ELb0EPhN6thrust23THRUST_200600_302600_NS16discard_iteratorINS9_11use_defaultEEENS9_5minusIhEEEE10hipError_tPvRmT2_T3_mT4_P12ihipStream_tbEUlT_E_NS1_11comp_targetILNS1_3genE3ELNS1_11target_archE908ELNS1_3gpuE7ELNS1_3repE0EEENS1_30default_config_static_selectorELNS0_4arch9wavefront6targetE1EEEvT1_
                                        ; -- End function
	.section	.AMDGPU.csdata,"",@progbits
; Kernel info:
; codeLenInByte = 0
; NumSgprs: 4
; NumVgprs: 0
; NumAgprs: 0
; TotalNumVgprs: 0
; ScratchSize: 0
; MemoryBound: 0
; FloatMode: 240
; IeeeMode: 1
; LDSByteSize: 0 bytes/workgroup (compile time only)
; SGPRBlocks: 0
; VGPRBlocks: 0
; NumSGPRsForWavesPerEU: 4
; NumVGPRsForWavesPerEU: 1
; AccumOffset: 4
; Occupancy: 8
; WaveLimiterHint : 0
; COMPUTE_PGM_RSRC2:SCRATCH_EN: 0
; COMPUTE_PGM_RSRC2:USER_SGPR: 6
; COMPUTE_PGM_RSRC2:TRAP_HANDLER: 0
; COMPUTE_PGM_RSRC2:TGID_X_EN: 1
; COMPUTE_PGM_RSRC2:TGID_Y_EN: 0
; COMPUTE_PGM_RSRC2:TGID_Z_EN: 0
; COMPUTE_PGM_RSRC2:TIDIG_COMP_CNT: 0
; COMPUTE_PGM_RSRC3_GFX90A:ACCUM_OFFSET: 0
; COMPUTE_PGM_RSRC3_GFX90A:TG_SPLIT: 0
	.section	.text._ZN7rocprim17ROCPRIM_400000_NS6detail17trampoline_kernelINS0_14default_configENS1_35adjacent_difference_config_selectorILb1EhEEZNS1_24adjacent_difference_implIS3_Lb1ELb0EPhN6thrust23THRUST_200600_302600_NS16discard_iteratorINS9_11use_defaultEEENS9_5minusIhEEEE10hipError_tPvRmT2_T3_mT4_P12ihipStream_tbEUlT_E_NS1_11comp_targetILNS1_3genE2ELNS1_11target_archE906ELNS1_3gpuE6ELNS1_3repE0EEENS1_30default_config_static_selectorELNS0_4arch9wavefront6targetE1EEEvT1_,"axG",@progbits,_ZN7rocprim17ROCPRIM_400000_NS6detail17trampoline_kernelINS0_14default_configENS1_35adjacent_difference_config_selectorILb1EhEEZNS1_24adjacent_difference_implIS3_Lb1ELb0EPhN6thrust23THRUST_200600_302600_NS16discard_iteratorINS9_11use_defaultEEENS9_5minusIhEEEE10hipError_tPvRmT2_T3_mT4_P12ihipStream_tbEUlT_E_NS1_11comp_targetILNS1_3genE2ELNS1_11target_archE906ELNS1_3gpuE6ELNS1_3repE0EEENS1_30default_config_static_selectorELNS0_4arch9wavefront6targetE1EEEvT1_,comdat
	.protected	_ZN7rocprim17ROCPRIM_400000_NS6detail17trampoline_kernelINS0_14default_configENS1_35adjacent_difference_config_selectorILb1EhEEZNS1_24adjacent_difference_implIS3_Lb1ELb0EPhN6thrust23THRUST_200600_302600_NS16discard_iteratorINS9_11use_defaultEEENS9_5minusIhEEEE10hipError_tPvRmT2_T3_mT4_P12ihipStream_tbEUlT_E_NS1_11comp_targetILNS1_3genE2ELNS1_11target_archE906ELNS1_3gpuE6ELNS1_3repE0EEENS1_30default_config_static_selectorELNS0_4arch9wavefront6targetE1EEEvT1_ ; -- Begin function _ZN7rocprim17ROCPRIM_400000_NS6detail17trampoline_kernelINS0_14default_configENS1_35adjacent_difference_config_selectorILb1EhEEZNS1_24adjacent_difference_implIS3_Lb1ELb0EPhN6thrust23THRUST_200600_302600_NS16discard_iteratorINS9_11use_defaultEEENS9_5minusIhEEEE10hipError_tPvRmT2_T3_mT4_P12ihipStream_tbEUlT_E_NS1_11comp_targetILNS1_3genE2ELNS1_11target_archE906ELNS1_3gpuE6ELNS1_3repE0EEENS1_30default_config_static_selectorELNS0_4arch9wavefront6targetE1EEEvT1_
	.globl	_ZN7rocprim17ROCPRIM_400000_NS6detail17trampoline_kernelINS0_14default_configENS1_35adjacent_difference_config_selectorILb1EhEEZNS1_24adjacent_difference_implIS3_Lb1ELb0EPhN6thrust23THRUST_200600_302600_NS16discard_iteratorINS9_11use_defaultEEENS9_5minusIhEEEE10hipError_tPvRmT2_T3_mT4_P12ihipStream_tbEUlT_E_NS1_11comp_targetILNS1_3genE2ELNS1_11target_archE906ELNS1_3gpuE6ELNS1_3repE0EEENS1_30default_config_static_selectorELNS0_4arch9wavefront6targetE1EEEvT1_
	.p2align	8
	.type	_ZN7rocprim17ROCPRIM_400000_NS6detail17trampoline_kernelINS0_14default_configENS1_35adjacent_difference_config_selectorILb1EhEEZNS1_24adjacent_difference_implIS3_Lb1ELb0EPhN6thrust23THRUST_200600_302600_NS16discard_iteratorINS9_11use_defaultEEENS9_5minusIhEEEE10hipError_tPvRmT2_T3_mT4_P12ihipStream_tbEUlT_E_NS1_11comp_targetILNS1_3genE2ELNS1_11target_archE906ELNS1_3gpuE6ELNS1_3repE0EEENS1_30default_config_static_selectorELNS0_4arch9wavefront6targetE1EEEvT1_,@function
_ZN7rocprim17ROCPRIM_400000_NS6detail17trampoline_kernelINS0_14default_configENS1_35adjacent_difference_config_selectorILb1EhEEZNS1_24adjacent_difference_implIS3_Lb1ELb0EPhN6thrust23THRUST_200600_302600_NS16discard_iteratorINS9_11use_defaultEEENS9_5minusIhEEEE10hipError_tPvRmT2_T3_mT4_P12ihipStream_tbEUlT_E_NS1_11comp_targetILNS1_3genE2ELNS1_11target_archE906ELNS1_3gpuE6ELNS1_3repE0EEENS1_30default_config_static_selectorELNS0_4arch9wavefront6targetE1EEEvT1_: ; @_ZN7rocprim17ROCPRIM_400000_NS6detail17trampoline_kernelINS0_14default_configENS1_35adjacent_difference_config_selectorILb1EhEEZNS1_24adjacent_difference_implIS3_Lb1ELb0EPhN6thrust23THRUST_200600_302600_NS16discard_iteratorINS9_11use_defaultEEENS9_5minusIhEEEE10hipError_tPvRmT2_T3_mT4_P12ihipStream_tbEUlT_E_NS1_11comp_targetILNS1_3genE2ELNS1_11target_archE906ELNS1_3gpuE6ELNS1_3repE0EEENS1_30default_config_static_selectorELNS0_4arch9wavefront6targetE1EEEvT1_
; %bb.0:
	.section	.rodata,"a",@progbits
	.p2align	6, 0x0
	.amdhsa_kernel _ZN7rocprim17ROCPRIM_400000_NS6detail17trampoline_kernelINS0_14default_configENS1_35adjacent_difference_config_selectorILb1EhEEZNS1_24adjacent_difference_implIS3_Lb1ELb0EPhN6thrust23THRUST_200600_302600_NS16discard_iteratorINS9_11use_defaultEEENS9_5minusIhEEEE10hipError_tPvRmT2_T3_mT4_P12ihipStream_tbEUlT_E_NS1_11comp_targetILNS1_3genE2ELNS1_11target_archE906ELNS1_3gpuE6ELNS1_3repE0EEENS1_30default_config_static_selectorELNS0_4arch9wavefront6targetE1EEEvT1_
		.amdhsa_group_segment_fixed_size 0
		.amdhsa_private_segment_fixed_size 0
		.amdhsa_kernarg_size 64
		.amdhsa_user_sgpr_count 6
		.amdhsa_user_sgpr_private_segment_buffer 1
		.amdhsa_user_sgpr_dispatch_ptr 0
		.amdhsa_user_sgpr_queue_ptr 0
		.amdhsa_user_sgpr_kernarg_segment_ptr 1
		.amdhsa_user_sgpr_dispatch_id 0
		.amdhsa_user_sgpr_flat_scratch_init 0
		.amdhsa_user_sgpr_kernarg_preload_length 0
		.amdhsa_user_sgpr_kernarg_preload_offset 0
		.amdhsa_user_sgpr_private_segment_size 0
		.amdhsa_uses_dynamic_stack 0
		.amdhsa_system_sgpr_private_segment_wavefront_offset 0
		.amdhsa_system_sgpr_workgroup_id_x 1
		.amdhsa_system_sgpr_workgroup_id_y 0
		.amdhsa_system_sgpr_workgroup_id_z 0
		.amdhsa_system_sgpr_workgroup_info 0
		.amdhsa_system_vgpr_workitem_id 0
		.amdhsa_next_free_vgpr 1
		.amdhsa_next_free_sgpr 0
		.amdhsa_accum_offset 4
		.amdhsa_reserve_vcc 0
		.amdhsa_reserve_flat_scratch 0
		.amdhsa_float_round_mode_32 0
		.amdhsa_float_round_mode_16_64 0
		.amdhsa_float_denorm_mode_32 3
		.amdhsa_float_denorm_mode_16_64 3
		.amdhsa_dx10_clamp 1
		.amdhsa_ieee_mode 1
		.amdhsa_fp16_overflow 0
		.amdhsa_tg_split 0
		.amdhsa_exception_fp_ieee_invalid_op 0
		.amdhsa_exception_fp_denorm_src 0
		.amdhsa_exception_fp_ieee_div_zero 0
		.amdhsa_exception_fp_ieee_overflow 0
		.amdhsa_exception_fp_ieee_underflow 0
		.amdhsa_exception_fp_ieee_inexact 0
		.amdhsa_exception_int_div_zero 0
	.end_amdhsa_kernel
	.section	.text._ZN7rocprim17ROCPRIM_400000_NS6detail17trampoline_kernelINS0_14default_configENS1_35adjacent_difference_config_selectorILb1EhEEZNS1_24adjacent_difference_implIS3_Lb1ELb0EPhN6thrust23THRUST_200600_302600_NS16discard_iteratorINS9_11use_defaultEEENS9_5minusIhEEEE10hipError_tPvRmT2_T3_mT4_P12ihipStream_tbEUlT_E_NS1_11comp_targetILNS1_3genE2ELNS1_11target_archE906ELNS1_3gpuE6ELNS1_3repE0EEENS1_30default_config_static_selectorELNS0_4arch9wavefront6targetE1EEEvT1_,"axG",@progbits,_ZN7rocprim17ROCPRIM_400000_NS6detail17trampoline_kernelINS0_14default_configENS1_35adjacent_difference_config_selectorILb1EhEEZNS1_24adjacent_difference_implIS3_Lb1ELb0EPhN6thrust23THRUST_200600_302600_NS16discard_iteratorINS9_11use_defaultEEENS9_5minusIhEEEE10hipError_tPvRmT2_T3_mT4_P12ihipStream_tbEUlT_E_NS1_11comp_targetILNS1_3genE2ELNS1_11target_archE906ELNS1_3gpuE6ELNS1_3repE0EEENS1_30default_config_static_selectorELNS0_4arch9wavefront6targetE1EEEvT1_,comdat
.Lfunc_end697:
	.size	_ZN7rocprim17ROCPRIM_400000_NS6detail17trampoline_kernelINS0_14default_configENS1_35adjacent_difference_config_selectorILb1EhEEZNS1_24adjacent_difference_implIS3_Lb1ELb0EPhN6thrust23THRUST_200600_302600_NS16discard_iteratorINS9_11use_defaultEEENS9_5minusIhEEEE10hipError_tPvRmT2_T3_mT4_P12ihipStream_tbEUlT_E_NS1_11comp_targetILNS1_3genE2ELNS1_11target_archE906ELNS1_3gpuE6ELNS1_3repE0EEENS1_30default_config_static_selectorELNS0_4arch9wavefront6targetE1EEEvT1_, .Lfunc_end697-_ZN7rocprim17ROCPRIM_400000_NS6detail17trampoline_kernelINS0_14default_configENS1_35adjacent_difference_config_selectorILb1EhEEZNS1_24adjacent_difference_implIS3_Lb1ELb0EPhN6thrust23THRUST_200600_302600_NS16discard_iteratorINS9_11use_defaultEEENS9_5minusIhEEEE10hipError_tPvRmT2_T3_mT4_P12ihipStream_tbEUlT_E_NS1_11comp_targetILNS1_3genE2ELNS1_11target_archE906ELNS1_3gpuE6ELNS1_3repE0EEENS1_30default_config_static_selectorELNS0_4arch9wavefront6targetE1EEEvT1_
                                        ; -- End function
	.section	.AMDGPU.csdata,"",@progbits
; Kernel info:
; codeLenInByte = 0
; NumSgprs: 4
; NumVgprs: 0
; NumAgprs: 0
; TotalNumVgprs: 0
; ScratchSize: 0
; MemoryBound: 0
; FloatMode: 240
; IeeeMode: 1
; LDSByteSize: 0 bytes/workgroup (compile time only)
; SGPRBlocks: 0
; VGPRBlocks: 0
; NumSGPRsForWavesPerEU: 4
; NumVGPRsForWavesPerEU: 1
; AccumOffset: 4
; Occupancy: 8
; WaveLimiterHint : 0
; COMPUTE_PGM_RSRC2:SCRATCH_EN: 0
; COMPUTE_PGM_RSRC2:USER_SGPR: 6
; COMPUTE_PGM_RSRC2:TRAP_HANDLER: 0
; COMPUTE_PGM_RSRC2:TGID_X_EN: 1
; COMPUTE_PGM_RSRC2:TGID_Y_EN: 0
; COMPUTE_PGM_RSRC2:TGID_Z_EN: 0
; COMPUTE_PGM_RSRC2:TIDIG_COMP_CNT: 0
; COMPUTE_PGM_RSRC3_GFX90A:ACCUM_OFFSET: 0
; COMPUTE_PGM_RSRC3_GFX90A:TG_SPLIT: 0
	.section	.text._ZN7rocprim17ROCPRIM_400000_NS6detail17trampoline_kernelINS0_14default_configENS1_35adjacent_difference_config_selectorILb1EhEEZNS1_24adjacent_difference_implIS3_Lb1ELb0EPhN6thrust23THRUST_200600_302600_NS16discard_iteratorINS9_11use_defaultEEENS9_5minusIhEEEE10hipError_tPvRmT2_T3_mT4_P12ihipStream_tbEUlT_E_NS1_11comp_targetILNS1_3genE9ELNS1_11target_archE1100ELNS1_3gpuE3ELNS1_3repE0EEENS1_30default_config_static_selectorELNS0_4arch9wavefront6targetE1EEEvT1_,"axG",@progbits,_ZN7rocprim17ROCPRIM_400000_NS6detail17trampoline_kernelINS0_14default_configENS1_35adjacent_difference_config_selectorILb1EhEEZNS1_24adjacent_difference_implIS3_Lb1ELb0EPhN6thrust23THRUST_200600_302600_NS16discard_iteratorINS9_11use_defaultEEENS9_5minusIhEEEE10hipError_tPvRmT2_T3_mT4_P12ihipStream_tbEUlT_E_NS1_11comp_targetILNS1_3genE9ELNS1_11target_archE1100ELNS1_3gpuE3ELNS1_3repE0EEENS1_30default_config_static_selectorELNS0_4arch9wavefront6targetE1EEEvT1_,comdat
	.protected	_ZN7rocprim17ROCPRIM_400000_NS6detail17trampoline_kernelINS0_14default_configENS1_35adjacent_difference_config_selectorILb1EhEEZNS1_24adjacent_difference_implIS3_Lb1ELb0EPhN6thrust23THRUST_200600_302600_NS16discard_iteratorINS9_11use_defaultEEENS9_5minusIhEEEE10hipError_tPvRmT2_T3_mT4_P12ihipStream_tbEUlT_E_NS1_11comp_targetILNS1_3genE9ELNS1_11target_archE1100ELNS1_3gpuE3ELNS1_3repE0EEENS1_30default_config_static_selectorELNS0_4arch9wavefront6targetE1EEEvT1_ ; -- Begin function _ZN7rocprim17ROCPRIM_400000_NS6detail17trampoline_kernelINS0_14default_configENS1_35adjacent_difference_config_selectorILb1EhEEZNS1_24adjacent_difference_implIS3_Lb1ELb0EPhN6thrust23THRUST_200600_302600_NS16discard_iteratorINS9_11use_defaultEEENS9_5minusIhEEEE10hipError_tPvRmT2_T3_mT4_P12ihipStream_tbEUlT_E_NS1_11comp_targetILNS1_3genE9ELNS1_11target_archE1100ELNS1_3gpuE3ELNS1_3repE0EEENS1_30default_config_static_selectorELNS0_4arch9wavefront6targetE1EEEvT1_
	.globl	_ZN7rocprim17ROCPRIM_400000_NS6detail17trampoline_kernelINS0_14default_configENS1_35adjacent_difference_config_selectorILb1EhEEZNS1_24adjacent_difference_implIS3_Lb1ELb0EPhN6thrust23THRUST_200600_302600_NS16discard_iteratorINS9_11use_defaultEEENS9_5minusIhEEEE10hipError_tPvRmT2_T3_mT4_P12ihipStream_tbEUlT_E_NS1_11comp_targetILNS1_3genE9ELNS1_11target_archE1100ELNS1_3gpuE3ELNS1_3repE0EEENS1_30default_config_static_selectorELNS0_4arch9wavefront6targetE1EEEvT1_
	.p2align	8
	.type	_ZN7rocprim17ROCPRIM_400000_NS6detail17trampoline_kernelINS0_14default_configENS1_35adjacent_difference_config_selectorILb1EhEEZNS1_24adjacent_difference_implIS3_Lb1ELb0EPhN6thrust23THRUST_200600_302600_NS16discard_iteratorINS9_11use_defaultEEENS9_5minusIhEEEE10hipError_tPvRmT2_T3_mT4_P12ihipStream_tbEUlT_E_NS1_11comp_targetILNS1_3genE9ELNS1_11target_archE1100ELNS1_3gpuE3ELNS1_3repE0EEENS1_30default_config_static_selectorELNS0_4arch9wavefront6targetE1EEEvT1_,@function
_ZN7rocprim17ROCPRIM_400000_NS6detail17trampoline_kernelINS0_14default_configENS1_35adjacent_difference_config_selectorILb1EhEEZNS1_24adjacent_difference_implIS3_Lb1ELb0EPhN6thrust23THRUST_200600_302600_NS16discard_iteratorINS9_11use_defaultEEENS9_5minusIhEEEE10hipError_tPvRmT2_T3_mT4_P12ihipStream_tbEUlT_E_NS1_11comp_targetILNS1_3genE9ELNS1_11target_archE1100ELNS1_3gpuE3ELNS1_3repE0EEENS1_30default_config_static_selectorELNS0_4arch9wavefront6targetE1EEEvT1_: ; @_ZN7rocprim17ROCPRIM_400000_NS6detail17trampoline_kernelINS0_14default_configENS1_35adjacent_difference_config_selectorILb1EhEEZNS1_24adjacent_difference_implIS3_Lb1ELb0EPhN6thrust23THRUST_200600_302600_NS16discard_iteratorINS9_11use_defaultEEENS9_5minusIhEEEE10hipError_tPvRmT2_T3_mT4_P12ihipStream_tbEUlT_E_NS1_11comp_targetILNS1_3genE9ELNS1_11target_archE1100ELNS1_3gpuE3ELNS1_3repE0EEENS1_30default_config_static_selectorELNS0_4arch9wavefront6targetE1EEEvT1_
; %bb.0:
	.section	.rodata,"a",@progbits
	.p2align	6, 0x0
	.amdhsa_kernel _ZN7rocprim17ROCPRIM_400000_NS6detail17trampoline_kernelINS0_14default_configENS1_35adjacent_difference_config_selectorILb1EhEEZNS1_24adjacent_difference_implIS3_Lb1ELb0EPhN6thrust23THRUST_200600_302600_NS16discard_iteratorINS9_11use_defaultEEENS9_5minusIhEEEE10hipError_tPvRmT2_T3_mT4_P12ihipStream_tbEUlT_E_NS1_11comp_targetILNS1_3genE9ELNS1_11target_archE1100ELNS1_3gpuE3ELNS1_3repE0EEENS1_30default_config_static_selectorELNS0_4arch9wavefront6targetE1EEEvT1_
		.amdhsa_group_segment_fixed_size 0
		.amdhsa_private_segment_fixed_size 0
		.amdhsa_kernarg_size 64
		.amdhsa_user_sgpr_count 6
		.amdhsa_user_sgpr_private_segment_buffer 1
		.amdhsa_user_sgpr_dispatch_ptr 0
		.amdhsa_user_sgpr_queue_ptr 0
		.amdhsa_user_sgpr_kernarg_segment_ptr 1
		.amdhsa_user_sgpr_dispatch_id 0
		.amdhsa_user_sgpr_flat_scratch_init 0
		.amdhsa_user_sgpr_kernarg_preload_length 0
		.amdhsa_user_sgpr_kernarg_preload_offset 0
		.amdhsa_user_sgpr_private_segment_size 0
		.amdhsa_uses_dynamic_stack 0
		.amdhsa_system_sgpr_private_segment_wavefront_offset 0
		.amdhsa_system_sgpr_workgroup_id_x 1
		.amdhsa_system_sgpr_workgroup_id_y 0
		.amdhsa_system_sgpr_workgroup_id_z 0
		.amdhsa_system_sgpr_workgroup_info 0
		.amdhsa_system_vgpr_workitem_id 0
		.amdhsa_next_free_vgpr 1
		.amdhsa_next_free_sgpr 0
		.amdhsa_accum_offset 4
		.amdhsa_reserve_vcc 0
		.amdhsa_reserve_flat_scratch 0
		.amdhsa_float_round_mode_32 0
		.amdhsa_float_round_mode_16_64 0
		.amdhsa_float_denorm_mode_32 3
		.amdhsa_float_denorm_mode_16_64 3
		.amdhsa_dx10_clamp 1
		.amdhsa_ieee_mode 1
		.amdhsa_fp16_overflow 0
		.amdhsa_tg_split 0
		.amdhsa_exception_fp_ieee_invalid_op 0
		.amdhsa_exception_fp_denorm_src 0
		.amdhsa_exception_fp_ieee_div_zero 0
		.amdhsa_exception_fp_ieee_overflow 0
		.amdhsa_exception_fp_ieee_underflow 0
		.amdhsa_exception_fp_ieee_inexact 0
		.amdhsa_exception_int_div_zero 0
	.end_amdhsa_kernel
	.section	.text._ZN7rocprim17ROCPRIM_400000_NS6detail17trampoline_kernelINS0_14default_configENS1_35adjacent_difference_config_selectorILb1EhEEZNS1_24adjacent_difference_implIS3_Lb1ELb0EPhN6thrust23THRUST_200600_302600_NS16discard_iteratorINS9_11use_defaultEEENS9_5minusIhEEEE10hipError_tPvRmT2_T3_mT4_P12ihipStream_tbEUlT_E_NS1_11comp_targetILNS1_3genE9ELNS1_11target_archE1100ELNS1_3gpuE3ELNS1_3repE0EEENS1_30default_config_static_selectorELNS0_4arch9wavefront6targetE1EEEvT1_,"axG",@progbits,_ZN7rocprim17ROCPRIM_400000_NS6detail17trampoline_kernelINS0_14default_configENS1_35adjacent_difference_config_selectorILb1EhEEZNS1_24adjacent_difference_implIS3_Lb1ELb0EPhN6thrust23THRUST_200600_302600_NS16discard_iteratorINS9_11use_defaultEEENS9_5minusIhEEEE10hipError_tPvRmT2_T3_mT4_P12ihipStream_tbEUlT_E_NS1_11comp_targetILNS1_3genE9ELNS1_11target_archE1100ELNS1_3gpuE3ELNS1_3repE0EEENS1_30default_config_static_selectorELNS0_4arch9wavefront6targetE1EEEvT1_,comdat
.Lfunc_end698:
	.size	_ZN7rocprim17ROCPRIM_400000_NS6detail17trampoline_kernelINS0_14default_configENS1_35adjacent_difference_config_selectorILb1EhEEZNS1_24adjacent_difference_implIS3_Lb1ELb0EPhN6thrust23THRUST_200600_302600_NS16discard_iteratorINS9_11use_defaultEEENS9_5minusIhEEEE10hipError_tPvRmT2_T3_mT4_P12ihipStream_tbEUlT_E_NS1_11comp_targetILNS1_3genE9ELNS1_11target_archE1100ELNS1_3gpuE3ELNS1_3repE0EEENS1_30default_config_static_selectorELNS0_4arch9wavefront6targetE1EEEvT1_, .Lfunc_end698-_ZN7rocprim17ROCPRIM_400000_NS6detail17trampoline_kernelINS0_14default_configENS1_35adjacent_difference_config_selectorILb1EhEEZNS1_24adjacent_difference_implIS3_Lb1ELb0EPhN6thrust23THRUST_200600_302600_NS16discard_iteratorINS9_11use_defaultEEENS9_5minusIhEEEE10hipError_tPvRmT2_T3_mT4_P12ihipStream_tbEUlT_E_NS1_11comp_targetILNS1_3genE9ELNS1_11target_archE1100ELNS1_3gpuE3ELNS1_3repE0EEENS1_30default_config_static_selectorELNS0_4arch9wavefront6targetE1EEEvT1_
                                        ; -- End function
	.section	.AMDGPU.csdata,"",@progbits
; Kernel info:
; codeLenInByte = 0
; NumSgprs: 4
; NumVgprs: 0
; NumAgprs: 0
; TotalNumVgprs: 0
; ScratchSize: 0
; MemoryBound: 0
; FloatMode: 240
; IeeeMode: 1
; LDSByteSize: 0 bytes/workgroup (compile time only)
; SGPRBlocks: 0
; VGPRBlocks: 0
; NumSGPRsForWavesPerEU: 4
; NumVGPRsForWavesPerEU: 1
; AccumOffset: 4
; Occupancy: 8
; WaveLimiterHint : 0
; COMPUTE_PGM_RSRC2:SCRATCH_EN: 0
; COMPUTE_PGM_RSRC2:USER_SGPR: 6
; COMPUTE_PGM_RSRC2:TRAP_HANDLER: 0
; COMPUTE_PGM_RSRC2:TGID_X_EN: 1
; COMPUTE_PGM_RSRC2:TGID_Y_EN: 0
; COMPUTE_PGM_RSRC2:TGID_Z_EN: 0
; COMPUTE_PGM_RSRC2:TIDIG_COMP_CNT: 0
; COMPUTE_PGM_RSRC3_GFX90A:ACCUM_OFFSET: 0
; COMPUTE_PGM_RSRC3_GFX90A:TG_SPLIT: 0
	.section	.text._ZN7rocprim17ROCPRIM_400000_NS6detail17trampoline_kernelINS0_14default_configENS1_35adjacent_difference_config_selectorILb1EhEEZNS1_24adjacent_difference_implIS3_Lb1ELb0EPhN6thrust23THRUST_200600_302600_NS16discard_iteratorINS9_11use_defaultEEENS9_5minusIhEEEE10hipError_tPvRmT2_T3_mT4_P12ihipStream_tbEUlT_E_NS1_11comp_targetILNS1_3genE8ELNS1_11target_archE1030ELNS1_3gpuE2ELNS1_3repE0EEENS1_30default_config_static_selectorELNS0_4arch9wavefront6targetE1EEEvT1_,"axG",@progbits,_ZN7rocprim17ROCPRIM_400000_NS6detail17trampoline_kernelINS0_14default_configENS1_35adjacent_difference_config_selectorILb1EhEEZNS1_24adjacent_difference_implIS3_Lb1ELb0EPhN6thrust23THRUST_200600_302600_NS16discard_iteratorINS9_11use_defaultEEENS9_5minusIhEEEE10hipError_tPvRmT2_T3_mT4_P12ihipStream_tbEUlT_E_NS1_11comp_targetILNS1_3genE8ELNS1_11target_archE1030ELNS1_3gpuE2ELNS1_3repE0EEENS1_30default_config_static_selectorELNS0_4arch9wavefront6targetE1EEEvT1_,comdat
	.protected	_ZN7rocprim17ROCPRIM_400000_NS6detail17trampoline_kernelINS0_14default_configENS1_35adjacent_difference_config_selectorILb1EhEEZNS1_24adjacent_difference_implIS3_Lb1ELb0EPhN6thrust23THRUST_200600_302600_NS16discard_iteratorINS9_11use_defaultEEENS9_5minusIhEEEE10hipError_tPvRmT2_T3_mT4_P12ihipStream_tbEUlT_E_NS1_11comp_targetILNS1_3genE8ELNS1_11target_archE1030ELNS1_3gpuE2ELNS1_3repE0EEENS1_30default_config_static_selectorELNS0_4arch9wavefront6targetE1EEEvT1_ ; -- Begin function _ZN7rocprim17ROCPRIM_400000_NS6detail17trampoline_kernelINS0_14default_configENS1_35adjacent_difference_config_selectorILb1EhEEZNS1_24adjacent_difference_implIS3_Lb1ELb0EPhN6thrust23THRUST_200600_302600_NS16discard_iteratorINS9_11use_defaultEEENS9_5minusIhEEEE10hipError_tPvRmT2_T3_mT4_P12ihipStream_tbEUlT_E_NS1_11comp_targetILNS1_3genE8ELNS1_11target_archE1030ELNS1_3gpuE2ELNS1_3repE0EEENS1_30default_config_static_selectorELNS0_4arch9wavefront6targetE1EEEvT1_
	.globl	_ZN7rocprim17ROCPRIM_400000_NS6detail17trampoline_kernelINS0_14default_configENS1_35adjacent_difference_config_selectorILb1EhEEZNS1_24adjacent_difference_implIS3_Lb1ELb0EPhN6thrust23THRUST_200600_302600_NS16discard_iteratorINS9_11use_defaultEEENS9_5minusIhEEEE10hipError_tPvRmT2_T3_mT4_P12ihipStream_tbEUlT_E_NS1_11comp_targetILNS1_3genE8ELNS1_11target_archE1030ELNS1_3gpuE2ELNS1_3repE0EEENS1_30default_config_static_selectorELNS0_4arch9wavefront6targetE1EEEvT1_
	.p2align	8
	.type	_ZN7rocprim17ROCPRIM_400000_NS6detail17trampoline_kernelINS0_14default_configENS1_35adjacent_difference_config_selectorILb1EhEEZNS1_24adjacent_difference_implIS3_Lb1ELb0EPhN6thrust23THRUST_200600_302600_NS16discard_iteratorINS9_11use_defaultEEENS9_5minusIhEEEE10hipError_tPvRmT2_T3_mT4_P12ihipStream_tbEUlT_E_NS1_11comp_targetILNS1_3genE8ELNS1_11target_archE1030ELNS1_3gpuE2ELNS1_3repE0EEENS1_30default_config_static_selectorELNS0_4arch9wavefront6targetE1EEEvT1_,@function
_ZN7rocprim17ROCPRIM_400000_NS6detail17trampoline_kernelINS0_14default_configENS1_35adjacent_difference_config_selectorILb1EhEEZNS1_24adjacent_difference_implIS3_Lb1ELb0EPhN6thrust23THRUST_200600_302600_NS16discard_iteratorINS9_11use_defaultEEENS9_5minusIhEEEE10hipError_tPvRmT2_T3_mT4_P12ihipStream_tbEUlT_E_NS1_11comp_targetILNS1_3genE8ELNS1_11target_archE1030ELNS1_3gpuE2ELNS1_3repE0EEENS1_30default_config_static_selectorELNS0_4arch9wavefront6targetE1EEEvT1_: ; @_ZN7rocprim17ROCPRIM_400000_NS6detail17trampoline_kernelINS0_14default_configENS1_35adjacent_difference_config_selectorILb1EhEEZNS1_24adjacent_difference_implIS3_Lb1ELb0EPhN6thrust23THRUST_200600_302600_NS16discard_iteratorINS9_11use_defaultEEENS9_5minusIhEEEE10hipError_tPvRmT2_T3_mT4_P12ihipStream_tbEUlT_E_NS1_11comp_targetILNS1_3genE8ELNS1_11target_archE1030ELNS1_3gpuE2ELNS1_3repE0EEENS1_30default_config_static_selectorELNS0_4arch9wavefront6targetE1EEEvT1_
; %bb.0:
	.section	.rodata,"a",@progbits
	.p2align	6, 0x0
	.amdhsa_kernel _ZN7rocprim17ROCPRIM_400000_NS6detail17trampoline_kernelINS0_14default_configENS1_35adjacent_difference_config_selectorILb1EhEEZNS1_24adjacent_difference_implIS3_Lb1ELb0EPhN6thrust23THRUST_200600_302600_NS16discard_iteratorINS9_11use_defaultEEENS9_5minusIhEEEE10hipError_tPvRmT2_T3_mT4_P12ihipStream_tbEUlT_E_NS1_11comp_targetILNS1_3genE8ELNS1_11target_archE1030ELNS1_3gpuE2ELNS1_3repE0EEENS1_30default_config_static_selectorELNS0_4arch9wavefront6targetE1EEEvT1_
		.amdhsa_group_segment_fixed_size 0
		.amdhsa_private_segment_fixed_size 0
		.amdhsa_kernarg_size 64
		.amdhsa_user_sgpr_count 6
		.amdhsa_user_sgpr_private_segment_buffer 1
		.amdhsa_user_sgpr_dispatch_ptr 0
		.amdhsa_user_sgpr_queue_ptr 0
		.amdhsa_user_sgpr_kernarg_segment_ptr 1
		.amdhsa_user_sgpr_dispatch_id 0
		.amdhsa_user_sgpr_flat_scratch_init 0
		.amdhsa_user_sgpr_kernarg_preload_length 0
		.amdhsa_user_sgpr_kernarg_preload_offset 0
		.amdhsa_user_sgpr_private_segment_size 0
		.amdhsa_uses_dynamic_stack 0
		.amdhsa_system_sgpr_private_segment_wavefront_offset 0
		.amdhsa_system_sgpr_workgroup_id_x 1
		.amdhsa_system_sgpr_workgroup_id_y 0
		.amdhsa_system_sgpr_workgroup_id_z 0
		.amdhsa_system_sgpr_workgroup_info 0
		.amdhsa_system_vgpr_workitem_id 0
		.amdhsa_next_free_vgpr 1
		.amdhsa_next_free_sgpr 0
		.amdhsa_accum_offset 4
		.amdhsa_reserve_vcc 0
		.amdhsa_reserve_flat_scratch 0
		.amdhsa_float_round_mode_32 0
		.amdhsa_float_round_mode_16_64 0
		.amdhsa_float_denorm_mode_32 3
		.amdhsa_float_denorm_mode_16_64 3
		.amdhsa_dx10_clamp 1
		.amdhsa_ieee_mode 1
		.amdhsa_fp16_overflow 0
		.amdhsa_tg_split 0
		.amdhsa_exception_fp_ieee_invalid_op 0
		.amdhsa_exception_fp_denorm_src 0
		.amdhsa_exception_fp_ieee_div_zero 0
		.amdhsa_exception_fp_ieee_overflow 0
		.amdhsa_exception_fp_ieee_underflow 0
		.amdhsa_exception_fp_ieee_inexact 0
		.amdhsa_exception_int_div_zero 0
	.end_amdhsa_kernel
	.section	.text._ZN7rocprim17ROCPRIM_400000_NS6detail17trampoline_kernelINS0_14default_configENS1_35adjacent_difference_config_selectorILb1EhEEZNS1_24adjacent_difference_implIS3_Lb1ELb0EPhN6thrust23THRUST_200600_302600_NS16discard_iteratorINS9_11use_defaultEEENS9_5minusIhEEEE10hipError_tPvRmT2_T3_mT4_P12ihipStream_tbEUlT_E_NS1_11comp_targetILNS1_3genE8ELNS1_11target_archE1030ELNS1_3gpuE2ELNS1_3repE0EEENS1_30default_config_static_selectorELNS0_4arch9wavefront6targetE1EEEvT1_,"axG",@progbits,_ZN7rocprim17ROCPRIM_400000_NS6detail17trampoline_kernelINS0_14default_configENS1_35adjacent_difference_config_selectorILb1EhEEZNS1_24adjacent_difference_implIS3_Lb1ELb0EPhN6thrust23THRUST_200600_302600_NS16discard_iteratorINS9_11use_defaultEEENS9_5minusIhEEEE10hipError_tPvRmT2_T3_mT4_P12ihipStream_tbEUlT_E_NS1_11comp_targetILNS1_3genE8ELNS1_11target_archE1030ELNS1_3gpuE2ELNS1_3repE0EEENS1_30default_config_static_selectorELNS0_4arch9wavefront6targetE1EEEvT1_,comdat
.Lfunc_end699:
	.size	_ZN7rocprim17ROCPRIM_400000_NS6detail17trampoline_kernelINS0_14default_configENS1_35adjacent_difference_config_selectorILb1EhEEZNS1_24adjacent_difference_implIS3_Lb1ELb0EPhN6thrust23THRUST_200600_302600_NS16discard_iteratorINS9_11use_defaultEEENS9_5minusIhEEEE10hipError_tPvRmT2_T3_mT4_P12ihipStream_tbEUlT_E_NS1_11comp_targetILNS1_3genE8ELNS1_11target_archE1030ELNS1_3gpuE2ELNS1_3repE0EEENS1_30default_config_static_selectorELNS0_4arch9wavefront6targetE1EEEvT1_, .Lfunc_end699-_ZN7rocprim17ROCPRIM_400000_NS6detail17trampoline_kernelINS0_14default_configENS1_35adjacent_difference_config_selectorILb1EhEEZNS1_24adjacent_difference_implIS3_Lb1ELb0EPhN6thrust23THRUST_200600_302600_NS16discard_iteratorINS9_11use_defaultEEENS9_5minusIhEEEE10hipError_tPvRmT2_T3_mT4_P12ihipStream_tbEUlT_E_NS1_11comp_targetILNS1_3genE8ELNS1_11target_archE1030ELNS1_3gpuE2ELNS1_3repE0EEENS1_30default_config_static_selectorELNS0_4arch9wavefront6targetE1EEEvT1_
                                        ; -- End function
	.section	.AMDGPU.csdata,"",@progbits
; Kernel info:
; codeLenInByte = 0
; NumSgprs: 4
; NumVgprs: 0
; NumAgprs: 0
; TotalNumVgprs: 0
; ScratchSize: 0
; MemoryBound: 0
; FloatMode: 240
; IeeeMode: 1
; LDSByteSize: 0 bytes/workgroup (compile time only)
; SGPRBlocks: 0
; VGPRBlocks: 0
; NumSGPRsForWavesPerEU: 4
; NumVGPRsForWavesPerEU: 1
; AccumOffset: 4
; Occupancy: 8
; WaveLimiterHint : 0
; COMPUTE_PGM_RSRC2:SCRATCH_EN: 0
; COMPUTE_PGM_RSRC2:USER_SGPR: 6
; COMPUTE_PGM_RSRC2:TRAP_HANDLER: 0
; COMPUTE_PGM_RSRC2:TGID_X_EN: 1
; COMPUTE_PGM_RSRC2:TGID_Y_EN: 0
; COMPUTE_PGM_RSRC2:TGID_Z_EN: 0
; COMPUTE_PGM_RSRC2:TIDIG_COMP_CNT: 0
; COMPUTE_PGM_RSRC3_GFX90A:ACCUM_OFFSET: 0
; COMPUTE_PGM_RSRC3_GFX90A:TG_SPLIT: 0
	.section	.text._ZN7rocprim17ROCPRIM_400000_NS6detail17trampoline_kernelINS0_14default_configENS1_25transform_config_selectorIsLb0EEEZNS1_14transform_implILb0ES3_S5_NS0_18transform_iteratorINS0_17counting_iteratorImlEEZNS1_24adjacent_difference_implIS3_Lb1ELb0EPsN6thrust23THRUST_200600_302600_NS16discard_iteratorINSD_11use_defaultEEENSD_5minusIsEEEE10hipError_tPvRmT2_T3_mT4_P12ihipStream_tbEUlmE_sEESB_NS0_8identityIvEEEESJ_SM_SN_mSO_SQ_bEUlT_E_NS1_11comp_targetILNS1_3genE0ELNS1_11target_archE4294967295ELNS1_3gpuE0ELNS1_3repE0EEENS1_30default_config_static_selectorELNS0_4arch9wavefront6targetE1EEEvT1_,"axG",@progbits,_ZN7rocprim17ROCPRIM_400000_NS6detail17trampoline_kernelINS0_14default_configENS1_25transform_config_selectorIsLb0EEEZNS1_14transform_implILb0ES3_S5_NS0_18transform_iteratorINS0_17counting_iteratorImlEEZNS1_24adjacent_difference_implIS3_Lb1ELb0EPsN6thrust23THRUST_200600_302600_NS16discard_iteratorINSD_11use_defaultEEENSD_5minusIsEEEE10hipError_tPvRmT2_T3_mT4_P12ihipStream_tbEUlmE_sEESB_NS0_8identityIvEEEESJ_SM_SN_mSO_SQ_bEUlT_E_NS1_11comp_targetILNS1_3genE0ELNS1_11target_archE4294967295ELNS1_3gpuE0ELNS1_3repE0EEENS1_30default_config_static_selectorELNS0_4arch9wavefront6targetE1EEEvT1_,comdat
	.protected	_ZN7rocprim17ROCPRIM_400000_NS6detail17trampoline_kernelINS0_14default_configENS1_25transform_config_selectorIsLb0EEEZNS1_14transform_implILb0ES3_S5_NS0_18transform_iteratorINS0_17counting_iteratorImlEEZNS1_24adjacent_difference_implIS3_Lb1ELb0EPsN6thrust23THRUST_200600_302600_NS16discard_iteratorINSD_11use_defaultEEENSD_5minusIsEEEE10hipError_tPvRmT2_T3_mT4_P12ihipStream_tbEUlmE_sEESB_NS0_8identityIvEEEESJ_SM_SN_mSO_SQ_bEUlT_E_NS1_11comp_targetILNS1_3genE0ELNS1_11target_archE4294967295ELNS1_3gpuE0ELNS1_3repE0EEENS1_30default_config_static_selectorELNS0_4arch9wavefront6targetE1EEEvT1_ ; -- Begin function _ZN7rocprim17ROCPRIM_400000_NS6detail17trampoline_kernelINS0_14default_configENS1_25transform_config_selectorIsLb0EEEZNS1_14transform_implILb0ES3_S5_NS0_18transform_iteratorINS0_17counting_iteratorImlEEZNS1_24adjacent_difference_implIS3_Lb1ELb0EPsN6thrust23THRUST_200600_302600_NS16discard_iteratorINSD_11use_defaultEEENSD_5minusIsEEEE10hipError_tPvRmT2_T3_mT4_P12ihipStream_tbEUlmE_sEESB_NS0_8identityIvEEEESJ_SM_SN_mSO_SQ_bEUlT_E_NS1_11comp_targetILNS1_3genE0ELNS1_11target_archE4294967295ELNS1_3gpuE0ELNS1_3repE0EEENS1_30default_config_static_selectorELNS0_4arch9wavefront6targetE1EEEvT1_
	.globl	_ZN7rocprim17ROCPRIM_400000_NS6detail17trampoline_kernelINS0_14default_configENS1_25transform_config_selectorIsLb0EEEZNS1_14transform_implILb0ES3_S5_NS0_18transform_iteratorINS0_17counting_iteratorImlEEZNS1_24adjacent_difference_implIS3_Lb1ELb0EPsN6thrust23THRUST_200600_302600_NS16discard_iteratorINSD_11use_defaultEEENSD_5minusIsEEEE10hipError_tPvRmT2_T3_mT4_P12ihipStream_tbEUlmE_sEESB_NS0_8identityIvEEEESJ_SM_SN_mSO_SQ_bEUlT_E_NS1_11comp_targetILNS1_3genE0ELNS1_11target_archE4294967295ELNS1_3gpuE0ELNS1_3repE0EEENS1_30default_config_static_selectorELNS0_4arch9wavefront6targetE1EEEvT1_
	.p2align	8
	.type	_ZN7rocprim17ROCPRIM_400000_NS6detail17trampoline_kernelINS0_14default_configENS1_25transform_config_selectorIsLb0EEEZNS1_14transform_implILb0ES3_S5_NS0_18transform_iteratorINS0_17counting_iteratorImlEEZNS1_24adjacent_difference_implIS3_Lb1ELb0EPsN6thrust23THRUST_200600_302600_NS16discard_iteratorINSD_11use_defaultEEENSD_5minusIsEEEE10hipError_tPvRmT2_T3_mT4_P12ihipStream_tbEUlmE_sEESB_NS0_8identityIvEEEESJ_SM_SN_mSO_SQ_bEUlT_E_NS1_11comp_targetILNS1_3genE0ELNS1_11target_archE4294967295ELNS1_3gpuE0ELNS1_3repE0EEENS1_30default_config_static_selectorELNS0_4arch9wavefront6targetE1EEEvT1_,@function
_ZN7rocprim17ROCPRIM_400000_NS6detail17trampoline_kernelINS0_14default_configENS1_25transform_config_selectorIsLb0EEEZNS1_14transform_implILb0ES3_S5_NS0_18transform_iteratorINS0_17counting_iteratorImlEEZNS1_24adjacent_difference_implIS3_Lb1ELb0EPsN6thrust23THRUST_200600_302600_NS16discard_iteratorINSD_11use_defaultEEENSD_5minusIsEEEE10hipError_tPvRmT2_T3_mT4_P12ihipStream_tbEUlmE_sEESB_NS0_8identityIvEEEESJ_SM_SN_mSO_SQ_bEUlT_E_NS1_11comp_targetILNS1_3genE0ELNS1_11target_archE4294967295ELNS1_3gpuE0ELNS1_3repE0EEENS1_30default_config_static_selectorELNS0_4arch9wavefront6targetE1EEEvT1_: ; @_ZN7rocprim17ROCPRIM_400000_NS6detail17trampoline_kernelINS0_14default_configENS1_25transform_config_selectorIsLb0EEEZNS1_14transform_implILb0ES3_S5_NS0_18transform_iteratorINS0_17counting_iteratorImlEEZNS1_24adjacent_difference_implIS3_Lb1ELb0EPsN6thrust23THRUST_200600_302600_NS16discard_iteratorINSD_11use_defaultEEENSD_5minusIsEEEE10hipError_tPvRmT2_T3_mT4_P12ihipStream_tbEUlmE_sEESB_NS0_8identityIvEEEESJ_SM_SN_mSO_SQ_bEUlT_E_NS1_11comp_targetILNS1_3genE0ELNS1_11target_archE4294967295ELNS1_3gpuE0ELNS1_3repE0EEENS1_30default_config_static_selectorELNS0_4arch9wavefront6targetE1EEEvT1_
; %bb.0:
	.section	.rodata,"a",@progbits
	.p2align	6, 0x0
	.amdhsa_kernel _ZN7rocprim17ROCPRIM_400000_NS6detail17trampoline_kernelINS0_14default_configENS1_25transform_config_selectorIsLb0EEEZNS1_14transform_implILb0ES3_S5_NS0_18transform_iteratorINS0_17counting_iteratorImlEEZNS1_24adjacent_difference_implIS3_Lb1ELb0EPsN6thrust23THRUST_200600_302600_NS16discard_iteratorINSD_11use_defaultEEENSD_5minusIsEEEE10hipError_tPvRmT2_T3_mT4_P12ihipStream_tbEUlmE_sEESB_NS0_8identityIvEEEESJ_SM_SN_mSO_SQ_bEUlT_E_NS1_11comp_targetILNS1_3genE0ELNS1_11target_archE4294967295ELNS1_3gpuE0ELNS1_3repE0EEENS1_30default_config_static_selectorELNS0_4arch9wavefront6targetE1EEEvT1_
		.amdhsa_group_segment_fixed_size 0
		.amdhsa_private_segment_fixed_size 0
		.amdhsa_kernarg_size 56
		.amdhsa_user_sgpr_count 6
		.amdhsa_user_sgpr_private_segment_buffer 1
		.amdhsa_user_sgpr_dispatch_ptr 0
		.amdhsa_user_sgpr_queue_ptr 0
		.amdhsa_user_sgpr_kernarg_segment_ptr 1
		.amdhsa_user_sgpr_dispatch_id 0
		.amdhsa_user_sgpr_flat_scratch_init 0
		.amdhsa_user_sgpr_kernarg_preload_length 0
		.amdhsa_user_sgpr_kernarg_preload_offset 0
		.amdhsa_user_sgpr_private_segment_size 0
		.amdhsa_uses_dynamic_stack 0
		.amdhsa_system_sgpr_private_segment_wavefront_offset 0
		.amdhsa_system_sgpr_workgroup_id_x 1
		.amdhsa_system_sgpr_workgroup_id_y 0
		.amdhsa_system_sgpr_workgroup_id_z 0
		.amdhsa_system_sgpr_workgroup_info 0
		.amdhsa_system_vgpr_workitem_id 0
		.amdhsa_next_free_vgpr 1
		.amdhsa_next_free_sgpr 0
		.amdhsa_accum_offset 4
		.amdhsa_reserve_vcc 0
		.amdhsa_reserve_flat_scratch 0
		.amdhsa_float_round_mode_32 0
		.amdhsa_float_round_mode_16_64 0
		.amdhsa_float_denorm_mode_32 3
		.amdhsa_float_denorm_mode_16_64 3
		.amdhsa_dx10_clamp 1
		.amdhsa_ieee_mode 1
		.amdhsa_fp16_overflow 0
		.amdhsa_tg_split 0
		.amdhsa_exception_fp_ieee_invalid_op 0
		.amdhsa_exception_fp_denorm_src 0
		.amdhsa_exception_fp_ieee_div_zero 0
		.amdhsa_exception_fp_ieee_overflow 0
		.amdhsa_exception_fp_ieee_underflow 0
		.amdhsa_exception_fp_ieee_inexact 0
		.amdhsa_exception_int_div_zero 0
	.end_amdhsa_kernel
	.section	.text._ZN7rocprim17ROCPRIM_400000_NS6detail17trampoline_kernelINS0_14default_configENS1_25transform_config_selectorIsLb0EEEZNS1_14transform_implILb0ES3_S5_NS0_18transform_iteratorINS0_17counting_iteratorImlEEZNS1_24adjacent_difference_implIS3_Lb1ELb0EPsN6thrust23THRUST_200600_302600_NS16discard_iteratorINSD_11use_defaultEEENSD_5minusIsEEEE10hipError_tPvRmT2_T3_mT4_P12ihipStream_tbEUlmE_sEESB_NS0_8identityIvEEEESJ_SM_SN_mSO_SQ_bEUlT_E_NS1_11comp_targetILNS1_3genE0ELNS1_11target_archE4294967295ELNS1_3gpuE0ELNS1_3repE0EEENS1_30default_config_static_selectorELNS0_4arch9wavefront6targetE1EEEvT1_,"axG",@progbits,_ZN7rocprim17ROCPRIM_400000_NS6detail17trampoline_kernelINS0_14default_configENS1_25transform_config_selectorIsLb0EEEZNS1_14transform_implILb0ES3_S5_NS0_18transform_iteratorINS0_17counting_iteratorImlEEZNS1_24adjacent_difference_implIS3_Lb1ELb0EPsN6thrust23THRUST_200600_302600_NS16discard_iteratorINSD_11use_defaultEEENSD_5minusIsEEEE10hipError_tPvRmT2_T3_mT4_P12ihipStream_tbEUlmE_sEESB_NS0_8identityIvEEEESJ_SM_SN_mSO_SQ_bEUlT_E_NS1_11comp_targetILNS1_3genE0ELNS1_11target_archE4294967295ELNS1_3gpuE0ELNS1_3repE0EEENS1_30default_config_static_selectorELNS0_4arch9wavefront6targetE1EEEvT1_,comdat
.Lfunc_end700:
	.size	_ZN7rocprim17ROCPRIM_400000_NS6detail17trampoline_kernelINS0_14default_configENS1_25transform_config_selectorIsLb0EEEZNS1_14transform_implILb0ES3_S5_NS0_18transform_iteratorINS0_17counting_iteratorImlEEZNS1_24adjacent_difference_implIS3_Lb1ELb0EPsN6thrust23THRUST_200600_302600_NS16discard_iteratorINSD_11use_defaultEEENSD_5minusIsEEEE10hipError_tPvRmT2_T3_mT4_P12ihipStream_tbEUlmE_sEESB_NS0_8identityIvEEEESJ_SM_SN_mSO_SQ_bEUlT_E_NS1_11comp_targetILNS1_3genE0ELNS1_11target_archE4294967295ELNS1_3gpuE0ELNS1_3repE0EEENS1_30default_config_static_selectorELNS0_4arch9wavefront6targetE1EEEvT1_, .Lfunc_end700-_ZN7rocprim17ROCPRIM_400000_NS6detail17trampoline_kernelINS0_14default_configENS1_25transform_config_selectorIsLb0EEEZNS1_14transform_implILb0ES3_S5_NS0_18transform_iteratorINS0_17counting_iteratorImlEEZNS1_24adjacent_difference_implIS3_Lb1ELb0EPsN6thrust23THRUST_200600_302600_NS16discard_iteratorINSD_11use_defaultEEENSD_5minusIsEEEE10hipError_tPvRmT2_T3_mT4_P12ihipStream_tbEUlmE_sEESB_NS0_8identityIvEEEESJ_SM_SN_mSO_SQ_bEUlT_E_NS1_11comp_targetILNS1_3genE0ELNS1_11target_archE4294967295ELNS1_3gpuE0ELNS1_3repE0EEENS1_30default_config_static_selectorELNS0_4arch9wavefront6targetE1EEEvT1_
                                        ; -- End function
	.section	.AMDGPU.csdata,"",@progbits
; Kernel info:
; codeLenInByte = 0
; NumSgprs: 4
; NumVgprs: 0
; NumAgprs: 0
; TotalNumVgprs: 0
; ScratchSize: 0
; MemoryBound: 0
; FloatMode: 240
; IeeeMode: 1
; LDSByteSize: 0 bytes/workgroup (compile time only)
; SGPRBlocks: 0
; VGPRBlocks: 0
; NumSGPRsForWavesPerEU: 4
; NumVGPRsForWavesPerEU: 1
; AccumOffset: 4
; Occupancy: 8
; WaveLimiterHint : 0
; COMPUTE_PGM_RSRC2:SCRATCH_EN: 0
; COMPUTE_PGM_RSRC2:USER_SGPR: 6
; COMPUTE_PGM_RSRC2:TRAP_HANDLER: 0
; COMPUTE_PGM_RSRC2:TGID_X_EN: 1
; COMPUTE_PGM_RSRC2:TGID_Y_EN: 0
; COMPUTE_PGM_RSRC2:TGID_Z_EN: 0
; COMPUTE_PGM_RSRC2:TIDIG_COMP_CNT: 0
; COMPUTE_PGM_RSRC3_GFX90A:ACCUM_OFFSET: 0
; COMPUTE_PGM_RSRC3_GFX90A:TG_SPLIT: 0
	.section	.text._ZN7rocprim17ROCPRIM_400000_NS6detail17trampoline_kernelINS0_14default_configENS1_25transform_config_selectorIsLb0EEEZNS1_14transform_implILb0ES3_S5_NS0_18transform_iteratorINS0_17counting_iteratorImlEEZNS1_24adjacent_difference_implIS3_Lb1ELb0EPsN6thrust23THRUST_200600_302600_NS16discard_iteratorINSD_11use_defaultEEENSD_5minusIsEEEE10hipError_tPvRmT2_T3_mT4_P12ihipStream_tbEUlmE_sEESB_NS0_8identityIvEEEESJ_SM_SN_mSO_SQ_bEUlT_E_NS1_11comp_targetILNS1_3genE5ELNS1_11target_archE942ELNS1_3gpuE9ELNS1_3repE0EEENS1_30default_config_static_selectorELNS0_4arch9wavefront6targetE1EEEvT1_,"axG",@progbits,_ZN7rocprim17ROCPRIM_400000_NS6detail17trampoline_kernelINS0_14default_configENS1_25transform_config_selectorIsLb0EEEZNS1_14transform_implILb0ES3_S5_NS0_18transform_iteratorINS0_17counting_iteratorImlEEZNS1_24adjacent_difference_implIS3_Lb1ELb0EPsN6thrust23THRUST_200600_302600_NS16discard_iteratorINSD_11use_defaultEEENSD_5minusIsEEEE10hipError_tPvRmT2_T3_mT4_P12ihipStream_tbEUlmE_sEESB_NS0_8identityIvEEEESJ_SM_SN_mSO_SQ_bEUlT_E_NS1_11comp_targetILNS1_3genE5ELNS1_11target_archE942ELNS1_3gpuE9ELNS1_3repE0EEENS1_30default_config_static_selectorELNS0_4arch9wavefront6targetE1EEEvT1_,comdat
	.protected	_ZN7rocprim17ROCPRIM_400000_NS6detail17trampoline_kernelINS0_14default_configENS1_25transform_config_selectorIsLb0EEEZNS1_14transform_implILb0ES3_S5_NS0_18transform_iteratorINS0_17counting_iteratorImlEEZNS1_24adjacent_difference_implIS3_Lb1ELb0EPsN6thrust23THRUST_200600_302600_NS16discard_iteratorINSD_11use_defaultEEENSD_5minusIsEEEE10hipError_tPvRmT2_T3_mT4_P12ihipStream_tbEUlmE_sEESB_NS0_8identityIvEEEESJ_SM_SN_mSO_SQ_bEUlT_E_NS1_11comp_targetILNS1_3genE5ELNS1_11target_archE942ELNS1_3gpuE9ELNS1_3repE0EEENS1_30default_config_static_selectorELNS0_4arch9wavefront6targetE1EEEvT1_ ; -- Begin function _ZN7rocprim17ROCPRIM_400000_NS6detail17trampoline_kernelINS0_14default_configENS1_25transform_config_selectorIsLb0EEEZNS1_14transform_implILb0ES3_S5_NS0_18transform_iteratorINS0_17counting_iteratorImlEEZNS1_24adjacent_difference_implIS3_Lb1ELb0EPsN6thrust23THRUST_200600_302600_NS16discard_iteratorINSD_11use_defaultEEENSD_5minusIsEEEE10hipError_tPvRmT2_T3_mT4_P12ihipStream_tbEUlmE_sEESB_NS0_8identityIvEEEESJ_SM_SN_mSO_SQ_bEUlT_E_NS1_11comp_targetILNS1_3genE5ELNS1_11target_archE942ELNS1_3gpuE9ELNS1_3repE0EEENS1_30default_config_static_selectorELNS0_4arch9wavefront6targetE1EEEvT1_
	.globl	_ZN7rocprim17ROCPRIM_400000_NS6detail17trampoline_kernelINS0_14default_configENS1_25transform_config_selectorIsLb0EEEZNS1_14transform_implILb0ES3_S5_NS0_18transform_iteratorINS0_17counting_iteratorImlEEZNS1_24adjacent_difference_implIS3_Lb1ELb0EPsN6thrust23THRUST_200600_302600_NS16discard_iteratorINSD_11use_defaultEEENSD_5minusIsEEEE10hipError_tPvRmT2_T3_mT4_P12ihipStream_tbEUlmE_sEESB_NS0_8identityIvEEEESJ_SM_SN_mSO_SQ_bEUlT_E_NS1_11comp_targetILNS1_3genE5ELNS1_11target_archE942ELNS1_3gpuE9ELNS1_3repE0EEENS1_30default_config_static_selectorELNS0_4arch9wavefront6targetE1EEEvT1_
	.p2align	8
	.type	_ZN7rocprim17ROCPRIM_400000_NS6detail17trampoline_kernelINS0_14default_configENS1_25transform_config_selectorIsLb0EEEZNS1_14transform_implILb0ES3_S5_NS0_18transform_iteratorINS0_17counting_iteratorImlEEZNS1_24adjacent_difference_implIS3_Lb1ELb0EPsN6thrust23THRUST_200600_302600_NS16discard_iteratorINSD_11use_defaultEEENSD_5minusIsEEEE10hipError_tPvRmT2_T3_mT4_P12ihipStream_tbEUlmE_sEESB_NS0_8identityIvEEEESJ_SM_SN_mSO_SQ_bEUlT_E_NS1_11comp_targetILNS1_3genE5ELNS1_11target_archE942ELNS1_3gpuE9ELNS1_3repE0EEENS1_30default_config_static_selectorELNS0_4arch9wavefront6targetE1EEEvT1_,@function
_ZN7rocprim17ROCPRIM_400000_NS6detail17trampoline_kernelINS0_14default_configENS1_25transform_config_selectorIsLb0EEEZNS1_14transform_implILb0ES3_S5_NS0_18transform_iteratorINS0_17counting_iteratorImlEEZNS1_24adjacent_difference_implIS3_Lb1ELb0EPsN6thrust23THRUST_200600_302600_NS16discard_iteratorINSD_11use_defaultEEENSD_5minusIsEEEE10hipError_tPvRmT2_T3_mT4_P12ihipStream_tbEUlmE_sEESB_NS0_8identityIvEEEESJ_SM_SN_mSO_SQ_bEUlT_E_NS1_11comp_targetILNS1_3genE5ELNS1_11target_archE942ELNS1_3gpuE9ELNS1_3repE0EEENS1_30default_config_static_selectorELNS0_4arch9wavefront6targetE1EEEvT1_: ; @_ZN7rocprim17ROCPRIM_400000_NS6detail17trampoline_kernelINS0_14default_configENS1_25transform_config_selectorIsLb0EEEZNS1_14transform_implILb0ES3_S5_NS0_18transform_iteratorINS0_17counting_iteratorImlEEZNS1_24adjacent_difference_implIS3_Lb1ELb0EPsN6thrust23THRUST_200600_302600_NS16discard_iteratorINSD_11use_defaultEEENSD_5minusIsEEEE10hipError_tPvRmT2_T3_mT4_P12ihipStream_tbEUlmE_sEESB_NS0_8identityIvEEEESJ_SM_SN_mSO_SQ_bEUlT_E_NS1_11comp_targetILNS1_3genE5ELNS1_11target_archE942ELNS1_3gpuE9ELNS1_3repE0EEENS1_30default_config_static_selectorELNS0_4arch9wavefront6targetE1EEEvT1_
; %bb.0:
	.section	.rodata,"a",@progbits
	.p2align	6, 0x0
	.amdhsa_kernel _ZN7rocprim17ROCPRIM_400000_NS6detail17trampoline_kernelINS0_14default_configENS1_25transform_config_selectorIsLb0EEEZNS1_14transform_implILb0ES3_S5_NS0_18transform_iteratorINS0_17counting_iteratorImlEEZNS1_24adjacent_difference_implIS3_Lb1ELb0EPsN6thrust23THRUST_200600_302600_NS16discard_iteratorINSD_11use_defaultEEENSD_5minusIsEEEE10hipError_tPvRmT2_T3_mT4_P12ihipStream_tbEUlmE_sEESB_NS0_8identityIvEEEESJ_SM_SN_mSO_SQ_bEUlT_E_NS1_11comp_targetILNS1_3genE5ELNS1_11target_archE942ELNS1_3gpuE9ELNS1_3repE0EEENS1_30default_config_static_selectorELNS0_4arch9wavefront6targetE1EEEvT1_
		.amdhsa_group_segment_fixed_size 0
		.amdhsa_private_segment_fixed_size 0
		.amdhsa_kernarg_size 56
		.amdhsa_user_sgpr_count 6
		.amdhsa_user_sgpr_private_segment_buffer 1
		.amdhsa_user_sgpr_dispatch_ptr 0
		.amdhsa_user_sgpr_queue_ptr 0
		.amdhsa_user_sgpr_kernarg_segment_ptr 1
		.amdhsa_user_sgpr_dispatch_id 0
		.amdhsa_user_sgpr_flat_scratch_init 0
		.amdhsa_user_sgpr_kernarg_preload_length 0
		.amdhsa_user_sgpr_kernarg_preload_offset 0
		.amdhsa_user_sgpr_private_segment_size 0
		.amdhsa_uses_dynamic_stack 0
		.amdhsa_system_sgpr_private_segment_wavefront_offset 0
		.amdhsa_system_sgpr_workgroup_id_x 1
		.amdhsa_system_sgpr_workgroup_id_y 0
		.amdhsa_system_sgpr_workgroup_id_z 0
		.amdhsa_system_sgpr_workgroup_info 0
		.amdhsa_system_vgpr_workitem_id 0
		.amdhsa_next_free_vgpr 1
		.amdhsa_next_free_sgpr 0
		.amdhsa_accum_offset 4
		.amdhsa_reserve_vcc 0
		.amdhsa_reserve_flat_scratch 0
		.amdhsa_float_round_mode_32 0
		.amdhsa_float_round_mode_16_64 0
		.amdhsa_float_denorm_mode_32 3
		.amdhsa_float_denorm_mode_16_64 3
		.amdhsa_dx10_clamp 1
		.amdhsa_ieee_mode 1
		.amdhsa_fp16_overflow 0
		.amdhsa_tg_split 0
		.amdhsa_exception_fp_ieee_invalid_op 0
		.amdhsa_exception_fp_denorm_src 0
		.amdhsa_exception_fp_ieee_div_zero 0
		.amdhsa_exception_fp_ieee_overflow 0
		.amdhsa_exception_fp_ieee_underflow 0
		.amdhsa_exception_fp_ieee_inexact 0
		.amdhsa_exception_int_div_zero 0
	.end_amdhsa_kernel
	.section	.text._ZN7rocprim17ROCPRIM_400000_NS6detail17trampoline_kernelINS0_14default_configENS1_25transform_config_selectorIsLb0EEEZNS1_14transform_implILb0ES3_S5_NS0_18transform_iteratorINS0_17counting_iteratorImlEEZNS1_24adjacent_difference_implIS3_Lb1ELb0EPsN6thrust23THRUST_200600_302600_NS16discard_iteratorINSD_11use_defaultEEENSD_5minusIsEEEE10hipError_tPvRmT2_T3_mT4_P12ihipStream_tbEUlmE_sEESB_NS0_8identityIvEEEESJ_SM_SN_mSO_SQ_bEUlT_E_NS1_11comp_targetILNS1_3genE5ELNS1_11target_archE942ELNS1_3gpuE9ELNS1_3repE0EEENS1_30default_config_static_selectorELNS0_4arch9wavefront6targetE1EEEvT1_,"axG",@progbits,_ZN7rocprim17ROCPRIM_400000_NS6detail17trampoline_kernelINS0_14default_configENS1_25transform_config_selectorIsLb0EEEZNS1_14transform_implILb0ES3_S5_NS0_18transform_iteratorINS0_17counting_iteratorImlEEZNS1_24adjacent_difference_implIS3_Lb1ELb0EPsN6thrust23THRUST_200600_302600_NS16discard_iteratorINSD_11use_defaultEEENSD_5minusIsEEEE10hipError_tPvRmT2_T3_mT4_P12ihipStream_tbEUlmE_sEESB_NS0_8identityIvEEEESJ_SM_SN_mSO_SQ_bEUlT_E_NS1_11comp_targetILNS1_3genE5ELNS1_11target_archE942ELNS1_3gpuE9ELNS1_3repE0EEENS1_30default_config_static_selectorELNS0_4arch9wavefront6targetE1EEEvT1_,comdat
.Lfunc_end701:
	.size	_ZN7rocprim17ROCPRIM_400000_NS6detail17trampoline_kernelINS0_14default_configENS1_25transform_config_selectorIsLb0EEEZNS1_14transform_implILb0ES3_S5_NS0_18transform_iteratorINS0_17counting_iteratorImlEEZNS1_24adjacent_difference_implIS3_Lb1ELb0EPsN6thrust23THRUST_200600_302600_NS16discard_iteratorINSD_11use_defaultEEENSD_5minusIsEEEE10hipError_tPvRmT2_T3_mT4_P12ihipStream_tbEUlmE_sEESB_NS0_8identityIvEEEESJ_SM_SN_mSO_SQ_bEUlT_E_NS1_11comp_targetILNS1_3genE5ELNS1_11target_archE942ELNS1_3gpuE9ELNS1_3repE0EEENS1_30default_config_static_selectorELNS0_4arch9wavefront6targetE1EEEvT1_, .Lfunc_end701-_ZN7rocprim17ROCPRIM_400000_NS6detail17trampoline_kernelINS0_14default_configENS1_25transform_config_selectorIsLb0EEEZNS1_14transform_implILb0ES3_S5_NS0_18transform_iteratorINS0_17counting_iteratorImlEEZNS1_24adjacent_difference_implIS3_Lb1ELb0EPsN6thrust23THRUST_200600_302600_NS16discard_iteratorINSD_11use_defaultEEENSD_5minusIsEEEE10hipError_tPvRmT2_T3_mT4_P12ihipStream_tbEUlmE_sEESB_NS0_8identityIvEEEESJ_SM_SN_mSO_SQ_bEUlT_E_NS1_11comp_targetILNS1_3genE5ELNS1_11target_archE942ELNS1_3gpuE9ELNS1_3repE0EEENS1_30default_config_static_selectorELNS0_4arch9wavefront6targetE1EEEvT1_
                                        ; -- End function
	.section	.AMDGPU.csdata,"",@progbits
; Kernel info:
; codeLenInByte = 0
; NumSgprs: 4
; NumVgprs: 0
; NumAgprs: 0
; TotalNumVgprs: 0
; ScratchSize: 0
; MemoryBound: 0
; FloatMode: 240
; IeeeMode: 1
; LDSByteSize: 0 bytes/workgroup (compile time only)
; SGPRBlocks: 0
; VGPRBlocks: 0
; NumSGPRsForWavesPerEU: 4
; NumVGPRsForWavesPerEU: 1
; AccumOffset: 4
; Occupancy: 8
; WaveLimiterHint : 0
; COMPUTE_PGM_RSRC2:SCRATCH_EN: 0
; COMPUTE_PGM_RSRC2:USER_SGPR: 6
; COMPUTE_PGM_RSRC2:TRAP_HANDLER: 0
; COMPUTE_PGM_RSRC2:TGID_X_EN: 1
; COMPUTE_PGM_RSRC2:TGID_Y_EN: 0
; COMPUTE_PGM_RSRC2:TGID_Z_EN: 0
; COMPUTE_PGM_RSRC2:TIDIG_COMP_CNT: 0
; COMPUTE_PGM_RSRC3_GFX90A:ACCUM_OFFSET: 0
; COMPUTE_PGM_RSRC3_GFX90A:TG_SPLIT: 0
	.section	.text._ZN7rocprim17ROCPRIM_400000_NS6detail17trampoline_kernelINS0_14default_configENS1_25transform_config_selectorIsLb0EEEZNS1_14transform_implILb0ES3_S5_NS0_18transform_iteratorINS0_17counting_iteratorImlEEZNS1_24adjacent_difference_implIS3_Lb1ELb0EPsN6thrust23THRUST_200600_302600_NS16discard_iteratorINSD_11use_defaultEEENSD_5minusIsEEEE10hipError_tPvRmT2_T3_mT4_P12ihipStream_tbEUlmE_sEESB_NS0_8identityIvEEEESJ_SM_SN_mSO_SQ_bEUlT_E_NS1_11comp_targetILNS1_3genE4ELNS1_11target_archE910ELNS1_3gpuE8ELNS1_3repE0EEENS1_30default_config_static_selectorELNS0_4arch9wavefront6targetE1EEEvT1_,"axG",@progbits,_ZN7rocprim17ROCPRIM_400000_NS6detail17trampoline_kernelINS0_14default_configENS1_25transform_config_selectorIsLb0EEEZNS1_14transform_implILb0ES3_S5_NS0_18transform_iteratorINS0_17counting_iteratorImlEEZNS1_24adjacent_difference_implIS3_Lb1ELb0EPsN6thrust23THRUST_200600_302600_NS16discard_iteratorINSD_11use_defaultEEENSD_5minusIsEEEE10hipError_tPvRmT2_T3_mT4_P12ihipStream_tbEUlmE_sEESB_NS0_8identityIvEEEESJ_SM_SN_mSO_SQ_bEUlT_E_NS1_11comp_targetILNS1_3genE4ELNS1_11target_archE910ELNS1_3gpuE8ELNS1_3repE0EEENS1_30default_config_static_selectorELNS0_4arch9wavefront6targetE1EEEvT1_,comdat
	.protected	_ZN7rocprim17ROCPRIM_400000_NS6detail17trampoline_kernelINS0_14default_configENS1_25transform_config_selectorIsLb0EEEZNS1_14transform_implILb0ES3_S5_NS0_18transform_iteratorINS0_17counting_iteratorImlEEZNS1_24adjacent_difference_implIS3_Lb1ELb0EPsN6thrust23THRUST_200600_302600_NS16discard_iteratorINSD_11use_defaultEEENSD_5minusIsEEEE10hipError_tPvRmT2_T3_mT4_P12ihipStream_tbEUlmE_sEESB_NS0_8identityIvEEEESJ_SM_SN_mSO_SQ_bEUlT_E_NS1_11comp_targetILNS1_3genE4ELNS1_11target_archE910ELNS1_3gpuE8ELNS1_3repE0EEENS1_30default_config_static_selectorELNS0_4arch9wavefront6targetE1EEEvT1_ ; -- Begin function _ZN7rocprim17ROCPRIM_400000_NS6detail17trampoline_kernelINS0_14default_configENS1_25transform_config_selectorIsLb0EEEZNS1_14transform_implILb0ES3_S5_NS0_18transform_iteratorINS0_17counting_iteratorImlEEZNS1_24adjacent_difference_implIS3_Lb1ELb0EPsN6thrust23THRUST_200600_302600_NS16discard_iteratorINSD_11use_defaultEEENSD_5minusIsEEEE10hipError_tPvRmT2_T3_mT4_P12ihipStream_tbEUlmE_sEESB_NS0_8identityIvEEEESJ_SM_SN_mSO_SQ_bEUlT_E_NS1_11comp_targetILNS1_3genE4ELNS1_11target_archE910ELNS1_3gpuE8ELNS1_3repE0EEENS1_30default_config_static_selectorELNS0_4arch9wavefront6targetE1EEEvT1_
	.globl	_ZN7rocprim17ROCPRIM_400000_NS6detail17trampoline_kernelINS0_14default_configENS1_25transform_config_selectorIsLb0EEEZNS1_14transform_implILb0ES3_S5_NS0_18transform_iteratorINS0_17counting_iteratorImlEEZNS1_24adjacent_difference_implIS3_Lb1ELb0EPsN6thrust23THRUST_200600_302600_NS16discard_iteratorINSD_11use_defaultEEENSD_5minusIsEEEE10hipError_tPvRmT2_T3_mT4_P12ihipStream_tbEUlmE_sEESB_NS0_8identityIvEEEESJ_SM_SN_mSO_SQ_bEUlT_E_NS1_11comp_targetILNS1_3genE4ELNS1_11target_archE910ELNS1_3gpuE8ELNS1_3repE0EEENS1_30default_config_static_selectorELNS0_4arch9wavefront6targetE1EEEvT1_
	.p2align	8
	.type	_ZN7rocprim17ROCPRIM_400000_NS6detail17trampoline_kernelINS0_14default_configENS1_25transform_config_selectorIsLb0EEEZNS1_14transform_implILb0ES3_S5_NS0_18transform_iteratorINS0_17counting_iteratorImlEEZNS1_24adjacent_difference_implIS3_Lb1ELb0EPsN6thrust23THRUST_200600_302600_NS16discard_iteratorINSD_11use_defaultEEENSD_5minusIsEEEE10hipError_tPvRmT2_T3_mT4_P12ihipStream_tbEUlmE_sEESB_NS0_8identityIvEEEESJ_SM_SN_mSO_SQ_bEUlT_E_NS1_11comp_targetILNS1_3genE4ELNS1_11target_archE910ELNS1_3gpuE8ELNS1_3repE0EEENS1_30default_config_static_selectorELNS0_4arch9wavefront6targetE1EEEvT1_,@function
_ZN7rocprim17ROCPRIM_400000_NS6detail17trampoline_kernelINS0_14default_configENS1_25transform_config_selectorIsLb0EEEZNS1_14transform_implILb0ES3_S5_NS0_18transform_iteratorINS0_17counting_iteratorImlEEZNS1_24adjacent_difference_implIS3_Lb1ELb0EPsN6thrust23THRUST_200600_302600_NS16discard_iteratorINSD_11use_defaultEEENSD_5minusIsEEEE10hipError_tPvRmT2_T3_mT4_P12ihipStream_tbEUlmE_sEESB_NS0_8identityIvEEEESJ_SM_SN_mSO_SQ_bEUlT_E_NS1_11comp_targetILNS1_3genE4ELNS1_11target_archE910ELNS1_3gpuE8ELNS1_3repE0EEENS1_30default_config_static_selectorELNS0_4arch9wavefront6targetE1EEEvT1_: ; @_ZN7rocprim17ROCPRIM_400000_NS6detail17trampoline_kernelINS0_14default_configENS1_25transform_config_selectorIsLb0EEEZNS1_14transform_implILb0ES3_S5_NS0_18transform_iteratorINS0_17counting_iteratorImlEEZNS1_24adjacent_difference_implIS3_Lb1ELb0EPsN6thrust23THRUST_200600_302600_NS16discard_iteratorINSD_11use_defaultEEENSD_5minusIsEEEE10hipError_tPvRmT2_T3_mT4_P12ihipStream_tbEUlmE_sEESB_NS0_8identityIvEEEESJ_SM_SN_mSO_SQ_bEUlT_E_NS1_11comp_targetILNS1_3genE4ELNS1_11target_archE910ELNS1_3gpuE8ELNS1_3repE0EEENS1_30default_config_static_selectorELNS0_4arch9wavefront6targetE1EEEvT1_
; %bb.0:
	s_load_dwordx4 s[0:3], s[4:5], 0x18
	s_load_dwordx2 s[8:9], s[4:5], 0x28
	s_load_dwordx4 s[16:19], s[4:5], 0x0
	s_load_dword s22, s[4:5], 0x10
	s_waitcnt lgkmcnt(0)
	s_load_dword s3, s[4:5], 0x38
                                        ; kill: killed $sgpr4_sgpr5
	s_lshl_b64 s[4:5], s[0:1], 1
	s_add_u32 s26, s8, s4
	s_addc_u32 s27, s9, s5
	s_lshl_b32 s20, s6, 9
	s_waitcnt lgkmcnt(0)
	s_add_i32 s3, s3, -1
	s_add_u32 s4, s16, s20
	s_addc_u32 s5, s17, 0
	s_add_u32 s28, s4, s0
	s_addc_u32 s29, s5, s1
	s_mov_b32 s21, 0
	s_cmp_lg_u32 s6, s3
	v_lshlrev_b32_e32 v1, 1, v0
	s_cbranch_scc0 .LBB702_2
; %bb.1:
	v_mov_b32_e32 v2, s29
	v_add_co_u32_e32 v3, vcc, s28, v0
	v_addc_co_u32_e32 v5, vcc, 0, v2, vcc
	v_mad_u64_u32 v[2:3], s[0:1], v3, s22, 0
	v_mov_b32_e32 v4, v3
	v_mad_u64_u32 v[4:5], s[0:1], v5, s22, v[4:5]
	v_mov_b32_e32 v3, v4
	v_lshlrev_b64 v[2:3], 1, v[2:3]
	s_mov_b32 s23, s21
	v_mov_b32_e32 v4, s19
	v_add_co_u32_e32 v2, vcc, s18, v2
	v_addc_co_u32_e32 v3, vcc, v4, v3, vcc
	s_lshl_b64 s[0:1], s[22:23], 7
	v_mov_b32_e32 v12, s1
	v_add_co_u32_e32 v4, vcc, s0, v2
	v_addc_co_u32_e32 v5, vcc, v3, v12, vcc
	v_add_co_u32_e32 v6, vcc, s0, v4
	v_addc_co_u32_e32 v7, vcc, v5, v12, vcc
	;; [unrolled: 2-line block ×4, first 2 shown]
	global_load_ushort v13, v[2:3], off
	global_load_ushort v14, v[4:5], off
	;; [unrolled: 1-line block ×5, first 2 shown]
	v_add_co_u32_e32 v2, vcc, s0, v10
	v_addc_co_u32_e32 v3, vcc, v11, v12, vcc
	global_load_ushort v4, v[2:3], off
	v_add_co_u32_e32 v2, vcc, s0, v2
	v_addc_co_u32_e32 v3, vcc, v3, v12, vcc
	global_load_ushort v5, v[2:3], off
	;; [unrolled: 3-line block ×3, first 2 shown]
	s_lshl_b64 s[4:5], s[20:21], 1
	s_add_u32 s4, s26, s4
	s_addc_u32 s5, s27, s5
	v_mov_b32_e32 v3, s5
	v_add_co_u32_e32 v6, vcc, s4, v1
	v_addc_co_u32_e32 v7, vcc, 0, v3, vcc
	s_mov_b64 s[16:17], -1
	s_waitcnt vmcnt(7)
	global_store_short v1, v13, s[4:5]
	s_waitcnt vmcnt(7)
	global_store_short v1, v14, s[4:5] offset:128
	s_waitcnt vmcnt(7)
	global_store_short v1, v15, s[4:5] offset:256
	;; [unrolled: 2-line block ×6, first 2 shown]
	s_cbranch_execz .LBB702_3
	s_branch .LBB702_32
.LBB702_2:
	s_mov_b64 s[16:17], 0
                                        ; implicit-def: $vgpr2
                                        ; implicit-def: $vgpr6_vgpr7
.LBB702_3:
	s_sub_i32 s23, s2, s20
	v_cmp_gt_u32_e32 vcc, s23, v0
                                        ; implicit-def: $vgpr2_vgpr3_vgpr4_vgpr5
	s_and_saveexec_b64 s[2:3], vcc
	s_cbranch_execz .LBB702_5
; %bb.4:
	s_waitcnt vmcnt(7)
	v_mov_b32_e32 v2, s29
	v_add_co_u32_e64 v3, s[0:1], s28, v0
	v_addc_co_u32_e64 v5, s[0:1], 0, v2, s[0:1]
	v_mad_u64_u32 v[2:3], s[0:1], v3, s22, 0
	v_mov_b32_e32 v4, v3
	v_mad_u64_u32 v[4:5], s[0:1], v5, s22, v[4:5]
	v_mov_b32_e32 v3, v4
	v_lshlrev_b64 v[2:3], 1, v[2:3]
	v_mov_b32_e32 v4, s19
	v_add_co_u32_e64 v2, s[0:1], s18, v2
	v_addc_co_u32_e64 v3, s[0:1], v4, v3, s[0:1]
	global_load_ushort v2, v[2:3], off
.LBB702_5:
	s_or_b64 exec, exec, s[2:3]
	v_or_b32_e32 v6, 64, v0
	v_cmp_gt_u32_e64 s[0:1], s23, v6
	s_and_saveexec_b64 s[4:5], s[0:1]
	s_cbranch_execz .LBB702_7
; %bb.6:
	v_mov_b32_e32 v7, s29
	v_add_co_u32_e64 v6, s[2:3], s28, v6
	v_addc_co_u32_e64 v9, s[2:3], 0, v7, s[2:3]
	v_mad_u64_u32 v[6:7], s[2:3], v6, s22, 0
	v_mov_b32_e32 v8, v7
	v_mad_u64_u32 v[8:9], s[2:3], v9, s22, v[8:9]
	v_mov_b32_e32 v7, v8
	v_lshlrev_b64 v[6:7], 1, v[6:7]
	v_mov_b32_e32 v8, s19
	v_add_co_u32_e64 v6, s[2:3], s18, v6
	v_addc_co_u32_e64 v7, s[2:3], v8, v7, s[2:3]
	global_load_ushort v6, v[6:7], off
	s_mov_b32 s2, 0x5040100
	s_waitcnt vmcnt(0)
	v_perm_b32 v2, v6, v2, s2
.LBB702_7:
	s_or_b64 exec, exec, s[4:5]
	v_or_b32_e32 v6, 0x80, v0
	v_cmp_gt_u32_e64 s[2:3], s23, v6
	s_and_saveexec_b64 s[6:7], s[2:3]
	s_cbranch_execz .LBB702_9
; %bb.8:
	v_mov_b32_e32 v7, s29
	v_add_co_u32_e64 v6, s[4:5], s28, v6
	v_addc_co_u32_e64 v9, s[4:5], 0, v7, s[4:5]
	v_mad_u64_u32 v[6:7], s[4:5], v6, s22, 0
	v_mov_b32_e32 v8, v7
	v_mad_u64_u32 v[8:9], s[4:5], v9, s22, v[8:9]
	v_mov_b32_e32 v7, v8
	v_lshlrev_b64 v[6:7], 1, v[6:7]
	v_mov_b32_e32 v8, s19
	v_add_co_u32_e64 v6, s[4:5], s18, v6
	v_addc_co_u32_e64 v7, s[4:5], v8, v7, s[4:5]
	global_load_ushort v6, v[6:7], off
	s_mov_b32 s4, 0xffff
	s_waitcnt vmcnt(0)
	v_bfi_b32 v3, s4, v6, v3
.LBB702_9:
	s_or_b64 exec, exec, s[6:7]
	v_or_b32_e32 v6, 0xc0, v0
	v_cmp_gt_u32_e64 s[4:5], s23, v6
	s_and_saveexec_b64 s[8:9], s[4:5]
	s_cbranch_execz .LBB702_11
; %bb.10:
	v_mov_b32_e32 v7, s29
	v_add_co_u32_e64 v6, s[6:7], s28, v6
	v_addc_co_u32_e64 v9, s[6:7], 0, v7, s[6:7]
	v_mad_u64_u32 v[6:7], s[6:7], v6, s22, 0
	v_mov_b32_e32 v8, v7
	v_mad_u64_u32 v[8:9], s[6:7], v9, s22, v[8:9]
	v_mov_b32_e32 v7, v8
	v_lshlrev_b64 v[6:7], 1, v[6:7]
	v_mov_b32_e32 v8, s19
	v_add_co_u32_e64 v6, s[6:7], s18, v6
	v_addc_co_u32_e64 v7, s[6:7], v8, v7, s[6:7]
	global_load_ushort v6, v[6:7], off
	s_mov_b32 s6, 0x5040100
	s_waitcnt vmcnt(0)
	v_perm_b32 v3, v6, v3, s6
.LBB702_11:
	s_or_b64 exec, exec, s[8:9]
	v_or_b32_e32 v6, 0x100, v0
	v_cmp_gt_u32_e64 s[6:7], s23, v6
	s_and_saveexec_b64 s[10:11], s[6:7]
	s_cbranch_execz .LBB702_13
; %bb.12:
	v_mov_b32_e32 v7, s29
	v_add_co_u32_e64 v6, s[8:9], s28, v6
	v_addc_co_u32_e64 v9, s[8:9], 0, v7, s[8:9]
	v_mad_u64_u32 v[6:7], s[8:9], v6, s22, 0
	v_mov_b32_e32 v8, v7
	v_mad_u64_u32 v[8:9], s[8:9], v9, s22, v[8:9]
	v_mov_b32_e32 v7, v8
	v_lshlrev_b64 v[6:7], 1, v[6:7]
	v_mov_b32_e32 v8, s19
	v_add_co_u32_e64 v6, s[8:9], s18, v6
	v_addc_co_u32_e64 v7, s[8:9], v8, v7, s[8:9]
	global_load_ushort v6, v[6:7], off
	s_mov_b32 s8, 0xffff
	s_waitcnt vmcnt(0)
	v_bfi_b32 v4, s8, v6, v4
.LBB702_13:
	;; [unrolled: 44-line block ×3, first 2 shown]
	s_or_b64 exec, exec, s[14:15]
	v_or_b32_e32 v0, 0x1c0, v0
	v_cmp_gt_u32_e64 s[12:13], s23, v0
	s_and_saveexec_b64 s[24:25], s[12:13]
	s_cbranch_execz .LBB702_19
; %bb.18:
	v_mov_b32_e32 v6, s29
	v_add_co_u32_e64 v0, s[14:15], s28, v0
	v_addc_co_u32_e64 v8, s[14:15], 0, v6, s[14:15]
	v_mad_u64_u32 v[6:7], s[14:15], v0, s22, 0
	v_mov_b32_e32 v0, v7
	v_mad_u64_u32 v[8:9], s[14:15], v8, s22, v[0:1]
	v_mov_b32_e32 v7, v8
	v_lshlrev_b64 v[6:7], 1, v[6:7]
	v_mov_b32_e32 v0, s19
	v_add_co_u32_e64 v6, s[14:15], s18, v6
	v_addc_co_u32_e64 v7, s[14:15], v0, v7, s[14:15]
	global_load_ushort v0, v[6:7], off
	s_mov_b32 s14, 0x5040100
	s_waitcnt vmcnt(0)
	v_perm_b32 v5, v0, v5, s14
.LBB702_19:
	s_or_b64 exec, exec, s[24:25]
	s_lshl_b64 s[14:15], s[20:21], 1
	s_add_u32 s14, s26, s14
	s_addc_u32 s15, s27, s15
	v_mov_b32_e32 v0, s15
	v_add_co_u32_e64 v6, s[14:15], s14, v1
	v_addc_co_u32_e64 v7, s[14:15], 0, v0, s[14:15]
	s_and_saveexec_b64 s[14:15], vcc
	s_cbranch_execnz .LBB702_35
; %bb.20:
	s_or_b64 exec, exec, s[14:15]
	s_and_saveexec_b64 s[14:15], s[0:1]
	s_cbranch_execnz .LBB702_36
.LBB702_21:
	s_or_b64 exec, exec, s[14:15]
	s_mov_b32 s14, 0xffff
	s_and_saveexec_b64 s[0:1], s[2:3]
	s_cbranch_execz .LBB702_23
.LBB702_22:
	global_store_short v[6:7], v3, off offset:256
.LBB702_23:
	s_or_b64 exec, exec, s[0:1]
	v_bfi_b32 v0, s14, v3, v3
	v_cndmask_b32_e64 v0, v0, v3, s[4:5]
	s_and_saveexec_b64 s[0:1], s[4:5]
	s_cbranch_execz .LBB702_25
; %bb.24:
	global_store_short_d16_hi v[6:7], v0, off offset:384
.LBB702_25:
	s_or_b64 exec, exec, s[0:1]
	s_mov_b32 s2, 0xffff
	v_cndmask_b32_e64 v0, v4, v4, s[6:7]
	s_and_saveexec_b64 s[0:1], s[6:7]
	s_cbranch_execz .LBB702_27
; %bb.26:
	global_store_short v[6:7], v0, off offset:512
.LBB702_27:
	s_or_b64 exec, exec, s[0:1]
	v_bfi_b32 v0, s2, v0, v4
	v_cndmask_b32_e64 v0, v0, v4, s[8:9]
	s_and_saveexec_b64 s[0:1], s[8:9]
	s_cbranch_execnz .LBB702_37
; %bb.28:
	s_or_b64 exec, exec, s[0:1]
	s_and_saveexec_b64 s[0:1], s[10:11]
	s_cbranch_execnz .LBB702_38
.LBB702_29:
	s_or_b64 exec, exec, s[0:1]
                                        ; implicit-def: $vgpr2
	s_and_saveexec_b64 s[0:1], s[12:13]
	s_cbranch_execz .LBB702_31
.LBB702_30:
	v_cndmask_b32_e64 v0, v5, v5, s[12:13]
	s_waitcnt vmcnt(0)
	v_lshrrev_b32_e32 v2, 16, v0
	s_or_b64 s[16:17], s[16:17], exec
.LBB702_31:
	s_or_b64 exec, exec, s[0:1]
.LBB702_32:
	s_and_saveexec_b64 s[0:1], s[16:17]
	s_cbranch_execnz .LBB702_34
; %bb.33:
	s_endpgm
.LBB702_34:
	s_waitcnt vmcnt(0)
	global_store_short v[6:7], v2, off offset:896
	s_endpgm
.LBB702_35:
	s_waitcnt vmcnt(0)
	global_store_short v[6:7], v2, off
	s_or_b64 exec, exec, s[14:15]
	s_and_saveexec_b64 s[14:15], s[0:1]
	s_cbranch_execz .LBB702_21
.LBB702_36:
	s_waitcnt vmcnt(0)
	global_store_short_d16_hi v[6:7], v2, off offset:128
	s_or_b64 exec, exec, s[14:15]
	s_mov_b32 s14, 0xffff
	s_and_saveexec_b64 s[0:1], s[2:3]
	s_cbranch_execnz .LBB702_22
	s_branch .LBB702_23
.LBB702_37:
	global_store_short_d16_hi v[6:7], v0, off offset:640
	s_or_b64 exec, exec, s[0:1]
	s_and_saveexec_b64 s[0:1], s[10:11]
	s_cbranch_execz .LBB702_29
.LBB702_38:
	v_cndmask_b32_e64 v0, v5, v5, s[10:11]
	global_store_short v[6:7], v0, off offset:768
	s_or_b64 exec, exec, s[0:1]
                                        ; implicit-def: $vgpr2
	s_and_saveexec_b64 s[0:1], s[12:13]
	s_cbranch_execnz .LBB702_30
	s_branch .LBB702_31
	.section	.rodata,"a",@progbits
	.p2align	6, 0x0
	.amdhsa_kernel _ZN7rocprim17ROCPRIM_400000_NS6detail17trampoline_kernelINS0_14default_configENS1_25transform_config_selectorIsLb0EEEZNS1_14transform_implILb0ES3_S5_NS0_18transform_iteratorINS0_17counting_iteratorImlEEZNS1_24adjacent_difference_implIS3_Lb1ELb0EPsN6thrust23THRUST_200600_302600_NS16discard_iteratorINSD_11use_defaultEEENSD_5minusIsEEEE10hipError_tPvRmT2_T3_mT4_P12ihipStream_tbEUlmE_sEESB_NS0_8identityIvEEEESJ_SM_SN_mSO_SQ_bEUlT_E_NS1_11comp_targetILNS1_3genE4ELNS1_11target_archE910ELNS1_3gpuE8ELNS1_3repE0EEENS1_30default_config_static_selectorELNS0_4arch9wavefront6targetE1EEEvT1_
		.amdhsa_group_segment_fixed_size 0
		.amdhsa_private_segment_fixed_size 0
		.amdhsa_kernarg_size 312
		.amdhsa_user_sgpr_count 6
		.amdhsa_user_sgpr_private_segment_buffer 1
		.amdhsa_user_sgpr_dispatch_ptr 0
		.amdhsa_user_sgpr_queue_ptr 0
		.amdhsa_user_sgpr_kernarg_segment_ptr 1
		.amdhsa_user_sgpr_dispatch_id 0
		.amdhsa_user_sgpr_flat_scratch_init 0
		.amdhsa_user_sgpr_kernarg_preload_length 0
		.amdhsa_user_sgpr_kernarg_preload_offset 0
		.amdhsa_user_sgpr_private_segment_size 0
		.amdhsa_uses_dynamic_stack 0
		.amdhsa_system_sgpr_private_segment_wavefront_offset 0
		.amdhsa_system_sgpr_workgroup_id_x 1
		.amdhsa_system_sgpr_workgroup_id_y 0
		.amdhsa_system_sgpr_workgroup_id_z 0
		.amdhsa_system_sgpr_workgroup_info 0
		.amdhsa_system_vgpr_workitem_id 0
		.amdhsa_next_free_vgpr 18
		.amdhsa_next_free_sgpr 30
		.amdhsa_accum_offset 20
		.amdhsa_reserve_vcc 1
		.amdhsa_reserve_flat_scratch 0
		.amdhsa_float_round_mode_32 0
		.amdhsa_float_round_mode_16_64 0
		.amdhsa_float_denorm_mode_32 3
		.amdhsa_float_denorm_mode_16_64 3
		.amdhsa_dx10_clamp 1
		.amdhsa_ieee_mode 1
		.amdhsa_fp16_overflow 0
		.amdhsa_tg_split 0
		.amdhsa_exception_fp_ieee_invalid_op 0
		.amdhsa_exception_fp_denorm_src 0
		.amdhsa_exception_fp_ieee_div_zero 0
		.amdhsa_exception_fp_ieee_overflow 0
		.amdhsa_exception_fp_ieee_underflow 0
		.amdhsa_exception_fp_ieee_inexact 0
		.amdhsa_exception_int_div_zero 0
	.end_amdhsa_kernel
	.section	.text._ZN7rocprim17ROCPRIM_400000_NS6detail17trampoline_kernelINS0_14default_configENS1_25transform_config_selectorIsLb0EEEZNS1_14transform_implILb0ES3_S5_NS0_18transform_iteratorINS0_17counting_iteratorImlEEZNS1_24adjacent_difference_implIS3_Lb1ELb0EPsN6thrust23THRUST_200600_302600_NS16discard_iteratorINSD_11use_defaultEEENSD_5minusIsEEEE10hipError_tPvRmT2_T3_mT4_P12ihipStream_tbEUlmE_sEESB_NS0_8identityIvEEEESJ_SM_SN_mSO_SQ_bEUlT_E_NS1_11comp_targetILNS1_3genE4ELNS1_11target_archE910ELNS1_3gpuE8ELNS1_3repE0EEENS1_30default_config_static_selectorELNS0_4arch9wavefront6targetE1EEEvT1_,"axG",@progbits,_ZN7rocprim17ROCPRIM_400000_NS6detail17trampoline_kernelINS0_14default_configENS1_25transform_config_selectorIsLb0EEEZNS1_14transform_implILb0ES3_S5_NS0_18transform_iteratorINS0_17counting_iteratorImlEEZNS1_24adjacent_difference_implIS3_Lb1ELb0EPsN6thrust23THRUST_200600_302600_NS16discard_iteratorINSD_11use_defaultEEENSD_5minusIsEEEE10hipError_tPvRmT2_T3_mT4_P12ihipStream_tbEUlmE_sEESB_NS0_8identityIvEEEESJ_SM_SN_mSO_SQ_bEUlT_E_NS1_11comp_targetILNS1_3genE4ELNS1_11target_archE910ELNS1_3gpuE8ELNS1_3repE0EEENS1_30default_config_static_selectorELNS0_4arch9wavefront6targetE1EEEvT1_,comdat
.Lfunc_end702:
	.size	_ZN7rocprim17ROCPRIM_400000_NS6detail17trampoline_kernelINS0_14default_configENS1_25transform_config_selectorIsLb0EEEZNS1_14transform_implILb0ES3_S5_NS0_18transform_iteratorINS0_17counting_iteratorImlEEZNS1_24adjacent_difference_implIS3_Lb1ELb0EPsN6thrust23THRUST_200600_302600_NS16discard_iteratorINSD_11use_defaultEEENSD_5minusIsEEEE10hipError_tPvRmT2_T3_mT4_P12ihipStream_tbEUlmE_sEESB_NS0_8identityIvEEEESJ_SM_SN_mSO_SQ_bEUlT_E_NS1_11comp_targetILNS1_3genE4ELNS1_11target_archE910ELNS1_3gpuE8ELNS1_3repE0EEENS1_30default_config_static_selectorELNS0_4arch9wavefront6targetE1EEEvT1_, .Lfunc_end702-_ZN7rocprim17ROCPRIM_400000_NS6detail17trampoline_kernelINS0_14default_configENS1_25transform_config_selectorIsLb0EEEZNS1_14transform_implILb0ES3_S5_NS0_18transform_iteratorINS0_17counting_iteratorImlEEZNS1_24adjacent_difference_implIS3_Lb1ELb0EPsN6thrust23THRUST_200600_302600_NS16discard_iteratorINSD_11use_defaultEEENSD_5minusIsEEEE10hipError_tPvRmT2_T3_mT4_P12ihipStream_tbEUlmE_sEESB_NS0_8identityIvEEEESJ_SM_SN_mSO_SQ_bEUlT_E_NS1_11comp_targetILNS1_3genE4ELNS1_11target_archE910ELNS1_3gpuE8ELNS1_3repE0EEENS1_30default_config_static_selectorELNS0_4arch9wavefront6targetE1EEEvT1_
                                        ; -- End function
	.section	.AMDGPU.csdata,"",@progbits
; Kernel info:
; codeLenInByte = 1776
; NumSgprs: 34
; NumVgprs: 18
; NumAgprs: 0
; TotalNumVgprs: 18
; ScratchSize: 0
; MemoryBound: 0
; FloatMode: 240
; IeeeMode: 1
; LDSByteSize: 0 bytes/workgroup (compile time only)
; SGPRBlocks: 4
; VGPRBlocks: 2
; NumSGPRsForWavesPerEU: 34
; NumVGPRsForWavesPerEU: 18
; AccumOffset: 20
; Occupancy: 8
; WaveLimiterHint : 1
; COMPUTE_PGM_RSRC2:SCRATCH_EN: 0
; COMPUTE_PGM_RSRC2:USER_SGPR: 6
; COMPUTE_PGM_RSRC2:TRAP_HANDLER: 0
; COMPUTE_PGM_RSRC2:TGID_X_EN: 1
; COMPUTE_PGM_RSRC2:TGID_Y_EN: 0
; COMPUTE_PGM_RSRC2:TGID_Z_EN: 0
; COMPUTE_PGM_RSRC2:TIDIG_COMP_CNT: 0
; COMPUTE_PGM_RSRC3_GFX90A:ACCUM_OFFSET: 4
; COMPUTE_PGM_RSRC3_GFX90A:TG_SPLIT: 0
	.section	.text._ZN7rocprim17ROCPRIM_400000_NS6detail17trampoline_kernelINS0_14default_configENS1_25transform_config_selectorIsLb0EEEZNS1_14transform_implILb0ES3_S5_NS0_18transform_iteratorINS0_17counting_iteratorImlEEZNS1_24adjacent_difference_implIS3_Lb1ELb0EPsN6thrust23THRUST_200600_302600_NS16discard_iteratorINSD_11use_defaultEEENSD_5minusIsEEEE10hipError_tPvRmT2_T3_mT4_P12ihipStream_tbEUlmE_sEESB_NS0_8identityIvEEEESJ_SM_SN_mSO_SQ_bEUlT_E_NS1_11comp_targetILNS1_3genE3ELNS1_11target_archE908ELNS1_3gpuE7ELNS1_3repE0EEENS1_30default_config_static_selectorELNS0_4arch9wavefront6targetE1EEEvT1_,"axG",@progbits,_ZN7rocprim17ROCPRIM_400000_NS6detail17trampoline_kernelINS0_14default_configENS1_25transform_config_selectorIsLb0EEEZNS1_14transform_implILb0ES3_S5_NS0_18transform_iteratorINS0_17counting_iteratorImlEEZNS1_24adjacent_difference_implIS3_Lb1ELb0EPsN6thrust23THRUST_200600_302600_NS16discard_iteratorINSD_11use_defaultEEENSD_5minusIsEEEE10hipError_tPvRmT2_T3_mT4_P12ihipStream_tbEUlmE_sEESB_NS0_8identityIvEEEESJ_SM_SN_mSO_SQ_bEUlT_E_NS1_11comp_targetILNS1_3genE3ELNS1_11target_archE908ELNS1_3gpuE7ELNS1_3repE0EEENS1_30default_config_static_selectorELNS0_4arch9wavefront6targetE1EEEvT1_,comdat
	.protected	_ZN7rocprim17ROCPRIM_400000_NS6detail17trampoline_kernelINS0_14default_configENS1_25transform_config_selectorIsLb0EEEZNS1_14transform_implILb0ES3_S5_NS0_18transform_iteratorINS0_17counting_iteratorImlEEZNS1_24adjacent_difference_implIS3_Lb1ELb0EPsN6thrust23THRUST_200600_302600_NS16discard_iteratorINSD_11use_defaultEEENSD_5minusIsEEEE10hipError_tPvRmT2_T3_mT4_P12ihipStream_tbEUlmE_sEESB_NS0_8identityIvEEEESJ_SM_SN_mSO_SQ_bEUlT_E_NS1_11comp_targetILNS1_3genE3ELNS1_11target_archE908ELNS1_3gpuE7ELNS1_3repE0EEENS1_30default_config_static_selectorELNS0_4arch9wavefront6targetE1EEEvT1_ ; -- Begin function _ZN7rocprim17ROCPRIM_400000_NS6detail17trampoline_kernelINS0_14default_configENS1_25transform_config_selectorIsLb0EEEZNS1_14transform_implILb0ES3_S5_NS0_18transform_iteratorINS0_17counting_iteratorImlEEZNS1_24adjacent_difference_implIS3_Lb1ELb0EPsN6thrust23THRUST_200600_302600_NS16discard_iteratorINSD_11use_defaultEEENSD_5minusIsEEEE10hipError_tPvRmT2_T3_mT4_P12ihipStream_tbEUlmE_sEESB_NS0_8identityIvEEEESJ_SM_SN_mSO_SQ_bEUlT_E_NS1_11comp_targetILNS1_3genE3ELNS1_11target_archE908ELNS1_3gpuE7ELNS1_3repE0EEENS1_30default_config_static_selectorELNS0_4arch9wavefront6targetE1EEEvT1_
	.globl	_ZN7rocprim17ROCPRIM_400000_NS6detail17trampoline_kernelINS0_14default_configENS1_25transform_config_selectorIsLb0EEEZNS1_14transform_implILb0ES3_S5_NS0_18transform_iteratorINS0_17counting_iteratorImlEEZNS1_24adjacent_difference_implIS3_Lb1ELb0EPsN6thrust23THRUST_200600_302600_NS16discard_iteratorINSD_11use_defaultEEENSD_5minusIsEEEE10hipError_tPvRmT2_T3_mT4_P12ihipStream_tbEUlmE_sEESB_NS0_8identityIvEEEESJ_SM_SN_mSO_SQ_bEUlT_E_NS1_11comp_targetILNS1_3genE3ELNS1_11target_archE908ELNS1_3gpuE7ELNS1_3repE0EEENS1_30default_config_static_selectorELNS0_4arch9wavefront6targetE1EEEvT1_
	.p2align	8
	.type	_ZN7rocprim17ROCPRIM_400000_NS6detail17trampoline_kernelINS0_14default_configENS1_25transform_config_selectorIsLb0EEEZNS1_14transform_implILb0ES3_S5_NS0_18transform_iteratorINS0_17counting_iteratorImlEEZNS1_24adjacent_difference_implIS3_Lb1ELb0EPsN6thrust23THRUST_200600_302600_NS16discard_iteratorINSD_11use_defaultEEENSD_5minusIsEEEE10hipError_tPvRmT2_T3_mT4_P12ihipStream_tbEUlmE_sEESB_NS0_8identityIvEEEESJ_SM_SN_mSO_SQ_bEUlT_E_NS1_11comp_targetILNS1_3genE3ELNS1_11target_archE908ELNS1_3gpuE7ELNS1_3repE0EEENS1_30default_config_static_selectorELNS0_4arch9wavefront6targetE1EEEvT1_,@function
_ZN7rocprim17ROCPRIM_400000_NS6detail17trampoline_kernelINS0_14default_configENS1_25transform_config_selectorIsLb0EEEZNS1_14transform_implILb0ES3_S5_NS0_18transform_iteratorINS0_17counting_iteratorImlEEZNS1_24adjacent_difference_implIS3_Lb1ELb0EPsN6thrust23THRUST_200600_302600_NS16discard_iteratorINSD_11use_defaultEEENSD_5minusIsEEEE10hipError_tPvRmT2_T3_mT4_P12ihipStream_tbEUlmE_sEESB_NS0_8identityIvEEEESJ_SM_SN_mSO_SQ_bEUlT_E_NS1_11comp_targetILNS1_3genE3ELNS1_11target_archE908ELNS1_3gpuE7ELNS1_3repE0EEENS1_30default_config_static_selectorELNS0_4arch9wavefront6targetE1EEEvT1_: ; @_ZN7rocprim17ROCPRIM_400000_NS6detail17trampoline_kernelINS0_14default_configENS1_25transform_config_selectorIsLb0EEEZNS1_14transform_implILb0ES3_S5_NS0_18transform_iteratorINS0_17counting_iteratorImlEEZNS1_24adjacent_difference_implIS3_Lb1ELb0EPsN6thrust23THRUST_200600_302600_NS16discard_iteratorINSD_11use_defaultEEENSD_5minusIsEEEE10hipError_tPvRmT2_T3_mT4_P12ihipStream_tbEUlmE_sEESB_NS0_8identityIvEEEESJ_SM_SN_mSO_SQ_bEUlT_E_NS1_11comp_targetILNS1_3genE3ELNS1_11target_archE908ELNS1_3gpuE7ELNS1_3repE0EEENS1_30default_config_static_selectorELNS0_4arch9wavefront6targetE1EEEvT1_
; %bb.0:
	.section	.rodata,"a",@progbits
	.p2align	6, 0x0
	.amdhsa_kernel _ZN7rocprim17ROCPRIM_400000_NS6detail17trampoline_kernelINS0_14default_configENS1_25transform_config_selectorIsLb0EEEZNS1_14transform_implILb0ES3_S5_NS0_18transform_iteratorINS0_17counting_iteratorImlEEZNS1_24adjacent_difference_implIS3_Lb1ELb0EPsN6thrust23THRUST_200600_302600_NS16discard_iteratorINSD_11use_defaultEEENSD_5minusIsEEEE10hipError_tPvRmT2_T3_mT4_P12ihipStream_tbEUlmE_sEESB_NS0_8identityIvEEEESJ_SM_SN_mSO_SQ_bEUlT_E_NS1_11comp_targetILNS1_3genE3ELNS1_11target_archE908ELNS1_3gpuE7ELNS1_3repE0EEENS1_30default_config_static_selectorELNS0_4arch9wavefront6targetE1EEEvT1_
		.amdhsa_group_segment_fixed_size 0
		.amdhsa_private_segment_fixed_size 0
		.amdhsa_kernarg_size 56
		.amdhsa_user_sgpr_count 6
		.amdhsa_user_sgpr_private_segment_buffer 1
		.amdhsa_user_sgpr_dispatch_ptr 0
		.amdhsa_user_sgpr_queue_ptr 0
		.amdhsa_user_sgpr_kernarg_segment_ptr 1
		.amdhsa_user_sgpr_dispatch_id 0
		.amdhsa_user_sgpr_flat_scratch_init 0
		.amdhsa_user_sgpr_kernarg_preload_length 0
		.amdhsa_user_sgpr_kernarg_preload_offset 0
		.amdhsa_user_sgpr_private_segment_size 0
		.amdhsa_uses_dynamic_stack 0
		.amdhsa_system_sgpr_private_segment_wavefront_offset 0
		.amdhsa_system_sgpr_workgroup_id_x 1
		.amdhsa_system_sgpr_workgroup_id_y 0
		.amdhsa_system_sgpr_workgroup_id_z 0
		.amdhsa_system_sgpr_workgroup_info 0
		.amdhsa_system_vgpr_workitem_id 0
		.amdhsa_next_free_vgpr 1
		.amdhsa_next_free_sgpr 0
		.amdhsa_accum_offset 4
		.amdhsa_reserve_vcc 0
		.amdhsa_reserve_flat_scratch 0
		.amdhsa_float_round_mode_32 0
		.amdhsa_float_round_mode_16_64 0
		.amdhsa_float_denorm_mode_32 3
		.amdhsa_float_denorm_mode_16_64 3
		.amdhsa_dx10_clamp 1
		.amdhsa_ieee_mode 1
		.amdhsa_fp16_overflow 0
		.amdhsa_tg_split 0
		.amdhsa_exception_fp_ieee_invalid_op 0
		.amdhsa_exception_fp_denorm_src 0
		.amdhsa_exception_fp_ieee_div_zero 0
		.amdhsa_exception_fp_ieee_overflow 0
		.amdhsa_exception_fp_ieee_underflow 0
		.amdhsa_exception_fp_ieee_inexact 0
		.amdhsa_exception_int_div_zero 0
	.end_amdhsa_kernel
	.section	.text._ZN7rocprim17ROCPRIM_400000_NS6detail17trampoline_kernelINS0_14default_configENS1_25transform_config_selectorIsLb0EEEZNS1_14transform_implILb0ES3_S5_NS0_18transform_iteratorINS0_17counting_iteratorImlEEZNS1_24adjacent_difference_implIS3_Lb1ELb0EPsN6thrust23THRUST_200600_302600_NS16discard_iteratorINSD_11use_defaultEEENSD_5minusIsEEEE10hipError_tPvRmT2_T3_mT4_P12ihipStream_tbEUlmE_sEESB_NS0_8identityIvEEEESJ_SM_SN_mSO_SQ_bEUlT_E_NS1_11comp_targetILNS1_3genE3ELNS1_11target_archE908ELNS1_3gpuE7ELNS1_3repE0EEENS1_30default_config_static_selectorELNS0_4arch9wavefront6targetE1EEEvT1_,"axG",@progbits,_ZN7rocprim17ROCPRIM_400000_NS6detail17trampoline_kernelINS0_14default_configENS1_25transform_config_selectorIsLb0EEEZNS1_14transform_implILb0ES3_S5_NS0_18transform_iteratorINS0_17counting_iteratorImlEEZNS1_24adjacent_difference_implIS3_Lb1ELb0EPsN6thrust23THRUST_200600_302600_NS16discard_iteratorINSD_11use_defaultEEENSD_5minusIsEEEE10hipError_tPvRmT2_T3_mT4_P12ihipStream_tbEUlmE_sEESB_NS0_8identityIvEEEESJ_SM_SN_mSO_SQ_bEUlT_E_NS1_11comp_targetILNS1_3genE3ELNS1_11target_archE908ELNS1_3gpuE7ELNS1_3repE0EEENS1_30default_config_static_selectorELNS0_4arch9wavefront6targetE1EEEvT1_,comdat
.Lfunc_end703:
	.size	_ZN7rocprim17ROCPRIM_400000_NS6detail17trampoline_kernelINS0_14default_configENS1_25transform_config_selectorIsLb0EEEZNS1_14transform_implILb0ES3_S5_NS0_18transform_iteratorINS0_17counting_iteratorImlEEZNS1_24adjacent_difference_implIS3_Lb1ELb0EPsN6thrust23THRUST_200600_302600_NS16discard_iteratorINSD_11use_defaultEEENSD_5minusIsEEEE10hipError_tPvRmT2_T3_mT4_P12ihipStream_tbEUlmE_sEESB_NS0_8identityIvEEEESJ_SM_SN_mSO_SQ_bEUlT_E_NS1_11comp_targetILNS1_3genE3ELNS1_11target_archE908ELNS1_3gpuE7ELNS1_3repE0EEENS1_30default_config_static_selectorELNS0_4arch9wavefront6targetE1EEEvT1_, .Lfunc_end703-_ZN7rocprim17ROCPRIM_400000_NS6detail17trampoline_kernelINS0_14default_configENS1_25transform_config_selectorIsLb0EEEZNS1_14transform_implILb0ES3_S5_NS0_18transform_iteratorINS0_17counting_iteratorImlEEZNS1_24adjacent_difference_implIS3_Lb1ELb0EPsN6thrust23THRUST_200600_302600_NS16discard_iteratorINSD_11use_defaultEEENSD_5minusIsEEEE10hipError_tPvRmT2_T3_mT4_P12ihipStream_tbEUlmE_sEESB_NS0_8identityIvEEEESJ_SM_SN_mSO_SQ_bEUlT_E_NS1_11comp_targetILNS1_3genE3ELNS1_11target_archE908ELNS1_3gpuE7ELNS1_3repE0EEENS1_30default_config_static_selectorELNS0_4arch9wavefront6targetE1EEEvT1_
                                        ; -- End function
	.section	.AMDGPU.csdata,"",@progbits
; Kernel info:
; codeLenInByte = 0
; NumSgprs: 4
; NumVgprs: 0
; NumAgprs: 0
; TotalNumVgprs: 0
; ScratchSize: 0
; MemoryBound: 0
; FloatMode: 240
; IeeeMode: 1
; LDSByteSize: 0 bytes/workgroup (compile time only)
; SGPRBlocks: 0
; VGPRBlocks: 0
; NumSGPRsForWavesPerEU: 4
; NumVGPRsForWavesPerEU: 1
; AccumOffset: 4
; Occupancy: 8
; WaveLimiterHint : 0
; COMPUTE_PGM_RSRC2:SCRATCH_EN: 0
; COMPUTE_PGM_RSRC2:USER_SGPR: 6
; COMPUTE_PGM_RSRC2:TRAP_HANDLER: 0
; COMPUTE_PGM_RSRC2:TGID_X_EN: 1
; COMPUTE_PGM_RSRC2:TGID_Y_EN: 0
; COMPUTE_PGM_RSRC2:TGID_Z_EN: 0
; COMPUTE_PGM_RSRC2:TIDIG_COMP_CNT: 0
; COMPUTE_PGM_RSRC3_GFX90A:ACCUM_OFFSET: 0
; COMPUTE_PGM_RSRC3_GFX90A:TG_SPLIT: 0
	.section	.text._ZN7rocprim17ROCPRIM_400000_NS6detail17trampoline_kernelINS0_14default_configENS1_25transform_config_selectorIsLb0EEEZNS1_14transform_implILb0ES3_S5_NS0_18transform_iteratorINS0_17counting_iteratorImlEEZNS1_24adjacent_difference_implIS3_Lb1ELb0EPsN6thrust23THRUST_200600_302600_NS16discard_iteratorINSD_11use_defaultEEENSD_5minusIsEEEE10hipError_tPvRmT2_T3_mT4_P12ihipStream_tbEUlmE_sEESB_NS0_8identityIvEEEESJ_SM_SN_mSO_SQ_bEUlT_E_NS1_11comp_targetILNS1_3genE2ELNS1_11target_archE906ELNS1_3gpuE6ELNS1_3repE0EEENS1_30default_config_static_selectorELNS0_4arch9wavefront6targetE1EEEvT1_,"axG",@progbits,_ZN7rocprim17ROCPRIM_400000_NS6detail17trampoline_kernelINS0_14default_configENS1_25transform_config_selectorIsLb0EEEZNS1_14transform_implILb0ES3_S5_NS0_18transform_iteratorINS0_17counting_iteratorImlEEZNS1_24adjacent_difference_implIS3_Lb1ELb0EPsN6thrust23THRUST_200600_302600_NS16discard_iteratorINSD_11use_defaultEEENSD_5minusIsEEEE10hipError_tPvRmT2_T3_mT4_P12ihipStream_tbEUlmE_sEESB_NS0_8identityIvEEEESJ_SM_SN_mSO_SQ_bEUlT_E_NS1_11comp_targetILNS1_3genE2ELNS1_11target_archE906ELNS1_3gpuE6ELNS1_3repE0EEENS1_30default_config_static_selectorELNS0_4arch9wavefront6targetE1EEEvT1_,comdat
	.protected	_ZN7rocprim17ROCPRIM_400000_NS6detail17trampoline_kernelINS0_14default_configENS1_25transform_config_selectorIsLb0EEEZNS1_14transform_implILb0ES3_S5_NS0_18transform_iteratorINS0_17counting_iteratorImlEEZNS1_24adjacent_difference_implIS3_Lb1ELb0EPsN6thrust23THRUST_200600_302600_NS16discard_iteratorINSD_11use_defaultEEENSD_5minusIsEEEE10hipError_tPvRmT2_T3_mT4_P12ihipStream_tbEUlmE_sEESB_NS0_8identityIvEEEESJ_SM_SN_mSO_SQ_bEUlT_E_NS1_11comp_targetILNS1_3genE2ELNS1_11target_archE906ELNS1_3gpuE6ELNS1_3repE0EEENS1_30default_config_static_selectorELNS0_4arch9wavefront6targetE1EEEvT1_ ; -- Begin function _ZN7rocprim17ROCPRIM_400000_NS6detail17trampoline_kernelINS0_14default_configENS1_25transform_config_selectorIsLb0EEEZNS1_14transform_implILb0ES3_S5_NS0_18transform_iteratorINS0_17counting_iteratorImlEEZNS1_24adjacent_difference_implIS3_Lb1ELb0EPsN6thrust23THRUST_200600_302600_NS16discard_iteratorINSD_11use_defaultEEENSD_5minusIsEEEE10hipError_tPvRmT2_T3_mT4_P12ihipStream_tbEUlmE_sEESB_NS0_8identityIvEEEESJ_SM_SN_mSO_SQ_bEUlT_E_NS1_11comp_targetILNS1_3genE2ELNS1_11target_archE906ELNS1_3gpuE6ELNS1_3repE0EEENS1_30default_config_static_selectorELNS0_4arch9wavefront6targetE1EEEvT1_
	.globl	_ZN7rocprim17ROCPRIM_400000_NS6detail17trampoline_kernelINS0_14default_configENS1_25transform_config_selectorIsLb0EEEZNS1_14transform_implILb0ES3_S5_NS0_18transform_iteratorINS0_17counting_iteratorImlEEZNS1_24adjacent_difference_implIS3_Lb1ELb0EPsN6thrust23THRUST_200600_302600_NS16discard_iteratorINSD_11use_defaultEEENSD_5minusIsEEEE10hipError_tPvRmT2_T3_mT4_P12ihipStream_tbEUlmE_sEESB_NS0_8identityIvEEEESJ_SM_SN_mSO_SQ_bEUlT_E_NS1_11comp_targetILNS1_3genE2ELNS1_11target_archE906ELNS1_3gpuE6ELNS1_3repE0EEENS1_30default_config_static_selectorELNS0_4arch9wavefront6targetE1EEEvT1_
	.p2align	8
	.type	_ZN7rocprim17ROCPRIM_400000_NS6detail17trampoline_kernelINS0_14default_configENS1_25transform_config_selectorIsLb0EEEZNS1_14transform_implILb0ES3_S5_NS0_18transform_iteratorINS0_17counting_iteratorImlEEZNS1_24adjacent_difference_implIS3_Lb1ELb0EPsN6thrust23THRUST_200600_302600_NS16discard_iteratorINSD_11use_defaultEEENSD_5minusIsEEEE10hipError_tPvRmT2_T3_mT4_P12ihipStream_tbEUlmE_sEESB_NS0_8identityIvEEEESJ_SM_SN_mSO_SQ_bEUlT_E_NS1_11comp_targetILNS1_3genE2ELNS1_11target_archE906ELNS1_3gpuE6ELNS1_3repE0EEENS1_30default_config_static_selectorELNS0_4arch9wavefront6targetE1EEEvT1_,@function
_ZN7rocprim17ROCPRIM_400000_NS6detail17trampoline_kernelINS0_14default_configENS1_25transform_config_selectorIsLb0EEEZNS1_14transform_implILb0ES3_S5_NS0_18transform_iteratorINS0_17counting_iteratorImlEEZNS1_24adjacent_difference_implIS3_Lb1ELb0EPsN6thrust23THRUST_200600_302600_NS16discard_iteratorINSD_11use_defaultEEENSD_5minusIsEEEE10hipError_tPvRmT2_T3_mT4_P12ihipStream_tbEUlmE_sEESB_NS0_8identityIvEEEESJ_SM_SN_mSO_SQ_bEUlT_E_NS1_11comp_targetILNS1_3genE2ELNS1_11target_archE906ELNS1_3gpuE6ELNS1_3repE0EEENS1_30default_config_static_selectorELNS0_4arch9wavefront6targetE1EEEvT1_: ; @_ZN7rocprim17ROCPRIM_400000_NS6detail17trampoline_kernelINS0_14default_configENS1_25transform_config_selectorIsLb0EEEZNS1_14transform_implILb0ES3_S5_NS0_18transform_iteratorINS0_17counting_iteratorImlEEZNS1_24adjacent_difference_implIS3_Lb1ELb0EPsN6thrust23THRUST_200600_302600_NS16discard_iteratorINSD_11use_defaultEEENSD_5minusIsEEEE10hipError_tPvRmT2_T3_mT4_P12ihipStream_tbEUlmE_sEESB_NS0_8identityIvEEEESJ_SM_SN_mSO_SQ_bEUlT_E_NS1_11comp_targetILNS1_3genE2ELNS1_11target_archE906ELNS1_3gpuE6ELNS1_3repE0EEENS1_30default_config_static_selectorELNS0_4arch9wavefront6targetE1EEEvT1_
; %bb.0:
	.section	.rodata,"a",@progbits
	.p2align	6, 0x0
	.amdhsa_kernel _ZN7rocprim17ROCPRIM_400000_NS6detail17trampoline_kernelINS0_14default_configENS1_25transform_config_selectorIsLb0EEEZNS1_14transform_implILb0ES3_S5_NS0_18transform_iteratorINS0_17counting_iteratorImlEEZNS1_24adjacent_difference_implIS3_Lb1ELb0EPsN6thrust23THRUST_200600_302600_NS16discard_iteratorINSD_11use_defaultEEENSD_5minusIsEEEE10hipError_tPvRmT2_T3_mT4_P12ihipStream_tbEUlmE_sEESB_NS0_8identityIvEEEESJ_SM_SN_mSO_SQ_bEUlT_E_NS1_11comp_targetILNS1_3genE2ELNS1_11target_archE906ELNS1_3gpuE6ELNS1_3repE0EEENS1_30default_config_static_selectorELNS0_4arch9wavefront6targetE1EEEvT1_
		.amdhsa_group_segment_fixed_size 0
		.amdhsa_private_segment_fixed_size 0
		.amdhsa_kernarg_size 56
		.amdhsa_user_sgpr_count 6
		.amdhsa_user_sgpr_private_segment_buffer 1
		.amdhsa_user_sgpr_dispatch_ptr 0
		.amdhsa_user_sgpr_queue_ptr 0
		.amdhsa_user_sgpr_kernarg_segment_ptr 1
		.amdhsa_user_sgpr_dispatch_id 0
		.amdhsa_user_sgpr_flat_scratch_init 0
		.amdhsa_user_sgpr_kernarg_preload_length 0
		.amdhsa_user_sgpr_kernarg_preload_offset 0
		.amdhsa_user_sgpr_private_segment_size 0
		.amdhsa_uses_dynamic_stack 0
		.amdhsa_system_sgpr_private_segment_wavefront_offset 0
		.amdhsa_system_sgpr_workgroup_id_x 1
		.amdhsa_system_sgpr_workgroup_id_y 0
		.amdhsa_system_sgpr_workgroup_id_z 0
		.amdhsa_system_sgpr_workgroup_info 0
		.amdhsa_system_vgpr_workitem_id 0
		.amdhsa_next_free_vgpr 1
		.amdhsa_next_free_sgpr 0
		.amdhsa_accum_offset 4
		.amdhsa_reserve_vcc 0
		.amdhsa_reserve_flat_scratch 0
		.amdhsa_float_round_mode_32 0
		.amdhsa_float_round_mode_16_64 0
		.amdhsa_float_denorm_mode_32 3
		.amdhsa_float_denorm_mode_16_64 3
		.amdhsa_dx10_clamp 1
		.amdhsa_ieee_mode 1
		.amdhsa_fp16_overflow 0
		.amdhsa_tg_split 0
		.amdhsa_exception_fp_ieee_invalid_op 0
		.amdhsa_exception_fp_denorm_src 0
		.amdhsa_exception_fp_ieee_div_zero 0
		.amdhsa_exception_fp_ieee_overflow 0
		.amdhsa_exception_fp_ieee_underflow 0
		.amdhsa_exception_fp_ieee_inexact 0
		.amdhsa_exception_int_div_zero 0
	.end_amdhsa_kernel
	.section	.text._ZN7rocprim17ROCPRIM_400000_NS6detail17trampoline_kernelINS0_14default_configENS1_25transform_config_selectorIsLb0EEEZNS1_14transform_implILb0ES3_S5_NS0_18transform_iteratorINS0_17counting_iteratorImlEEZNS1_24adjacent_difference_implIS3_Lb1ELb0EPsN6thrust23THRUST_200600_302600_NS16discard_iteratorINSD_11use_defaultEEENSD_5minusIsEEEE10hipError_tPvRmT2_T3_mT4_P12ihipStream_tbEUlmE_sEESB_NS0_8identityIvEEEESJ_SM_SN_mSO_SQ_bEUlT_E_NS1_11comp_targetILNS1_3genE2ELNS1_11target_archE906ELNS1_3gpuE6ELNS1_3repE0EEENS1_30default_config_static_selectorELNS0_4arch9wavefront6targetE1EEEvT1_,"axG",@progbits,_ZN7rocprim17ROCPRIM_400000_NS6detail17trampoline_kernelINS0_14default_configENS1_25transform_config_selectorIsLb0EEEZNS1_14transform_implILb0ES3_S5_NS0_18transform_iteratorINS0_17counting_iteratorImlEEZNS1_24adjacent_difference_implIS3_Lb1ELb0EPsN6thrust23THRUST_200600_302600_NS16discard_iteratorINSD_11use_defaultEEENSD_5minusIsEEEE10hipError_tPvRmT2_T3_mT4_P12ihipStream_tbEUlmE_sEESB_NS0_8identityIvEEEESJ_SM_SN_mSO_SQ_bEUlT_E_NS1_11comp_targetILNS1_3genE2ELNS1_11target_archE906ELNS1_3gpuE6ELNS1_3repE0EEENS1_30default_config_static_selectorELNS0_4arch9wavefront6targetE1EEEvT1_,comdat
.Lfunc_end704:
	.size	_ZN7rocprim17ROCPRIM_400000_NS6detail17trampoline_kernelINS0_14default_configENS1_25transform_config_selectorIsLb0EEEZNS1_14transform_implILb0ES3_S5_NS0_18transform_iteratorINS0_17counting_iteratorImlEEZNS1_24adjacent_difference_implIS3_Lb1ELb0EPsN6thrust23THRUST_200600_302600_NS16discard_iteratorINSD_11use_defaultEEENSD_5minusIsEEEE10hipError_tPvRmT2_T3_mT4_P12ihipStream_tbEUlmE_sEESB_NS0_8identityIvEEEESJ_SM_SN_mSO_SQ_bEUlT_E_NS1_11comp_targetILNS1_3genE2ELNS1_11target_archE906ELNS1_3gpuE6ELNS1_3repE0EEENS1_30default_config_static_selectorELNS0_4arch9wavefront6targetE1EEEvT1_, .Lfunc_end704-_ZN7rocprim17ROCPRIM_400000_NS6detail17trampoline_kernelINS0_14default_configENS1_25transform_config_selectorIsLb0EEEZNS1_14transform_implILb0ES3_S5_NS0_18transform_iteratorINS0_17counting_iteratorImlEEZNS1_24adjacent_difference_implIS3_Lb1ELb0EPsN6thrust23THRUST_200600_302600_NS16discard_iteratorINSD_11use_defaultEEENSD_5minusIsEEEE10hipError_tPvRmT2_T3_mT4_P12ihipStream_tbEUlmE_sEESB_NS0_8identityIvEEEESJ_SM_SN_mSO_SQ_bEUlT_E_NS1_11comp_targetILNS1_3genE2ELNS1_11target_archE906ELNS1_3gpuE6ELNS1_3repE0EEENS1_30default_config_static_selectorELNS0_4arch9wavefront6targetE1EEEvT1_
                                        ; -- End function
	.section	.AMDGPU.csdata,"",@progbits
; Kernel info:
; codeLenInByte = 0
; NumSgprs: 4
; NumVgprs: 0
; NumAgprs: 0
; TotalNumVgprs: 0
; ScratchSize: 0
; MemoryBound: 0
; FloatMode: 240
; IeeeMode: 1
; LDSByteSize: 0 bytes/workgroup (compile time only)
; SGPRBlocks: 0
; VGPRBlocks: 0
; NumSGPRsForWavesPerEU: 4
; NumVGPRsForWavesPerEU: 1
; AccumOffset: 4
; Occupancy: 8
; WaveLimiterHint : 0
; COMPUTE_PGM_RSRC2:SCRATCH_EN: 0
; COMPUTE_PGM_RSRC2:USER_SGPR: 6
; COMPUTE_PGM_RSRC2:TRAP_HANDLER: 0
; COMPUTE_PGM_RSRC2:TGID_X_EN: 1
; COMPUTE_PGM_RSRC2:TGID_Y_EN: 0
; COMPUTE_PGM_RSRC2:TGID_Z_EN: 0
; COMPUTE_PGM_RSRC2:TIDIG_COMP_CNT: 0
; COMPUTE_PGM_RSRC3_GFX90A:ACCUM_OFFSET: 0
; COMPUTE_PGM_RSRC3_GFX90A:TG_SPLIT: 0
	.section	.text._ZN7rocprim17ROCPRIM_400000_NS6detail17trampoline_kernelINS0_14default_configENS1_25transform_config_selectorIsLb0EEEZNS1_14transform_implILb0ES3_S5_NS0_18transform_iteratorINS0_17counting_iteratorImlEEZNS1_24adjacent_difference_implIS3_Lb1ELb0EPsN6thrust23THRUST_200600_302600_NS16discard_iteratorINSD_11use_defaultEEENSD_5minusIsEEEE10hipError_tPvRmT2_T3_mT4_P12ihipStream_tbEUlmE_sEESB_NS0_8identityIvEEEESJ_SM_SN_mSO_SQ_bEUlT_E_NS1_11comp_targetILNS1_3genE10ELNS1_11target_archE1201ELNS1_3gpuE5ELNS1_3repE0EEENS1_30default_config_static_selectorELNS0_4arch9wavefront6targetE1EEEvT1_,"axG",@progbits,_ZN7rocprim17ROCPRIM_400000_NS6detail17trampoline_kernelINS0_14default_configENS1_25transform_config_selectorIsLb0EEEZNS1_14transform_implILb0ES3_S5_NS0_18transform_iteratorINS0_17counting_iteratorImlEEZNS1_24adjacent_difference_implIS3_Lb1ELb0EPsN6thrust23THRUST_200600_302600_NS16discard_iteratorINSD_11use_defaultEEENSD_5minusIsEEEE10hipError_tPvRmT2_T3_mT4_P12ihipStream_tbEUlmE_sEESB_NS0_8identityIvEEEESJ_SM_SN_mSO_SQ_bEUlT_E_NS1_11comp_targetILNS1_3genE10ELNS1_11target_archE1201ELNS1_3gpuE5ELNS1_3repE0EEENS1_30default_config_static_selectorELNS0_4arch9wavefront6targetE1EEEvT1_,comdat
	.protected	_ZN7rocprim17ROCPRIM_400000_NS6detail17trampoline_kernelINS0_14default_configENS1_25transform_config_selectorIsLb0EEEZNS1_14transform_implILb0ES3_S5_NS0_18transform_iteratorINS0_17counting_iteratorImlEEZNS1_24adjacent_difference_implIS3_Lb1ELb0EPsN6thrust23THRUST_200600_302600_NS16discard_iteratorINSD_11use_defaultEEENSD_5minusIsEEEE10hipError_tPvRmT2_T3_mT4_P12ihipStream_tbEUlmE_sEESB_NS0_8identityIvEEEESJ_SM_SN_mSO_SQ_bEUlT_E_NS1_11comp_targetILNS1_3genE10ELNS1_11target_archE1201ELNS1_3gpuE5ELNS1_3repE0EEENS1_30default_config_static_selectorELNS0_4arch9wavefront6targetE1EEEvT1_ ; -- Begin function _ZN7rocprim17ROCPRIM_400000_NS6detail17trampoline_kernelINS0_14default_configENS1_25transform_config_selectorIsLb0EEEZNS1_14transform_implILb0ES3_S5_NS0_18transform_iteratorINS0_17counting_iteratorImlEEZNS1_24adjacent_difference_implIS3_Lb1ELb0EPsN6thrust23THRUST_200600_302600_NS16discard_iteratorINSD_11use_defaultEEENSD_5minusIsEEEE10hipError_tPvRmT2_T3_mT4_P12ihipStream_tbEUlmE_sEESB_NS0_8identityIvEEEESJ_SM_SN_mSO_SQ_bEUlT_E_NS1_11comp_targetILNS1_3genE10ELNS1_11target_archE1201ELNS1_3gpuE5ELNS1_3repE0EEENS1_30default_config_static_selectorELNS0_4arch9wavefront6targetE1EEEvT1_
	.globl	_ZN7rocprim17ROCPRIM_400000_NS6detail17trampoline_kernelINS0_14default_configENS1_25transform_config_selectorIsLb0EEEZNS1_14transform_implILb0ES3_S5_NS0_18transform_iteratorINS0_17counting_iteratorImlEEZNS1_24adjacent_difference_implIS3_Lb1ELb0EPsN6thrust23THRUST_200600_302600_NS16discard_iteratorINSD_11use_defaultEEENSD_5minusIsEEEE10hipError_tPvRmT2_T3_mT4_P12ihipStream_tbEUlmE_sEESB_NS0_8identityIvEEEESJ_SM_SN_mSO_SQ_bEUlT_E_NS1_11comp_targetILNS1_3genE10ELNS1_11target_archE1201ELNS1_3gpuE5ELNS1_3repE0EEENS1_30default_config_static_selectorELNS0_4arch9wavefront6targetE1EEEvT1_
	.p2align	8
	.type	_ZN7rocprim17ROCPRIM_400000_NS6detail17trampoline_kernelINS0_14default_configENS1_25transform_config_selectorIsLb0EEEZNS1_14transform_implILb0ES3_S5_NS0_18transform_iteratorINS0_17counting_iteratorImlEEZNS1_24adjacent_difference_implIS3_Lb1ELb0EPsN6thrust23THRUST_200600_302600_NS16discard_iteratorINSD_11use_defaultEEENSD_5minusIsEEEE10hipError_tPvRmT2_T3_mT4_P12ihipStream_tbEUlmE_sEESB_NS0_8identityIvEEEESJ_SM_SN_mSO_SQ_bEUlT_E_NS1_11comp_targetILNS1_3genE10ELNS1_11target_archE1201ELNS1_3gpuE5ELNS1_3repE0EEENS1_30default_config_static_selectorELNS0_4arch9wavefront6targetE1EEEvT1_,@function
_ZN7rocprim17ROCPRIM_400000_NS6detail17trampoline_kernelINS0_14default_configENS1_25transform_config_selectorIsLb0EEEZNS1_14transform_implILb0ES3_S5_NS0_18transform_iteratorINS0_17counting_iteratorImlEEZNS1_24adjacent_difference_implIS3_Lb1ELb0EPsN6thrust23THRUST_200600_302600_NS16discard_iteratorINSD_11use_defaultEEENSD_5minusIsEEEE10hipError_tPvRmT2_T3_mT4_P12ihipStream_tbEUlmE_sEESB_NS0_8identityIvEEEESJ_SM_SN_mSO_SQ_bEUlT_E_NS1_11comp_targetILNS1_3genE10ELNS1_11target_archE1201ELNS1_3gpuE5ELNS1_3repE0EEENS1_30default_config_static_selectorELNS0_4arch9wavefront6targetE1EEEvT1_: ; @_ZN7rocprim17ROCPRIM_400000_NS6detail17trampoline_kernelINS0_14default_configENS1_25transform_config_selectorIsLb0EEEZNS1_14transform_implILb0ES3_S5_NS0_18transform_iteratorINS0_17counting_iteratorImlEEZNS1_24adjacent_difference_implIS3_Lb1ELb0EPsN6thrust23THRUST_200600_302600_NS16discard_iteratorINSD_11use_defaultEEENSD_5minusIsEEEE10hipError_tPvRmT2_T3_mT4_P12ihipStream_tbEUlmE_sEESB_NS0_8identityIvEEEESJ_SM_SN_mSO_SQ_bEUlT_E_NS1_11comp_targetILNS1_3genE10ELNS1_11target_archE1201ELNS1_3gpuE5ELNS1_3repE0EEENS1_30default_config_static_selectorELNS0_4arch9wavefront6targetE1EEEvT1_
; %bb.0:
	.section	.rodata,"a",@progbits
	.p2align	6, 0x0
	.amdhsa_kernel _ZN7rocprim17ROCPRIM_400000_NS6detail17trampoline_kernelINS0_14default_configENS1_25transform_config_selectorIsLb0EEEZNS1_14transform_implILb0ES3_S5_NS0_18transform_iteratorINS0_17counting_iteratorImlEEZNS1_24adjacent_difference_implIS3_Lb1ELb0EPsN6thrust23THRUST_200600_302600_NS16discard_iteratorINSD_11use_defaultEEENSD_5minusIsEEEE10hipError_tPvRmT2_T3_mT4_P12ihipStream_tbEUlmE_sEESB_NS0_8identityIvEEEESJ_SM_SN_mSO_SQ_bEUlT_E_NS1_11comp_targetILNS1_3genE10ELNS1_11target_archE1201ELNS1_3gpuE5ELNS1_3repE0EEENS1_30default_config_static_selectorELNS0_4arch9wavefront6targetE1EEEvT1_
		.amdhsa_group_segment_fixed_size 0
		.amdhsa_private_segment_fixed_size 0
		.amdhsa_kernarg_size 56
		.amdhsa_user_sgpr_count 6
		.amdhsa_user_sgpr_private_segment_buffer 1
		.amdhsa_user_sgpr_dispatch_ptr 0
		.amdhsa_user_sgpr_queue_ptr 0
		.amdhsa_user_sgpr_kernarg_segment_ptr 1
		.amdhsa_user_sgpr_dispatch_id 0
		.amdhsa_user_sgpr_flat_scratch_init 0
		.amdhsa_user_sgpr_kernarg_preload_length 0
		.amdhsa_user_sgpr_kernarg_preload_offset 0
		.amdhsa_user_sgpr_private_segment_size 0
		.amdhsa_uses_dynamic_stack 0
		.amdhsa_system_sgpr_private_segment_wavefront_offset 0
		.amdhsa_system_sgpr_workgroup_id_x 1
		.amdhsa_system_sgpr_workgroup_id_y 0
		.amdhsa_system_sgpr_workgroup_id_z 0
		.amdhsa_system_sgpr_workgroup_info 0
		.amdhsa_system_vgpr_workitem_id 0
		.amdhsa_next_free_vgpr 1
		.amdhsa_next_free_sgpr 0
		.amdhsa_accum_offset 4
		.amdhsa_reserve_vcc 0
		.amdhsa_reserve_flat_scratch 0
		.amdhsa_float_round_mode_32 0
		.amdhsa_float_round_mode_16_64 0
		.amdhsa_float_denorm_mode_32 3
		.amdhsa_float_denorm_mode_16_64 3
		.amdhsa_dx10_clamp 1
		.amdhsa_ieee_mode 1
		.amdhsa_fp16_overflow 0
		.amdhsa_tg_split 0
		.amdhsa_exception_fp_ieee_invalid_op 0
		.amdhsa_exception_fp_denorm_src 0
		.amdhsa_exception_fp_ieee_div_zero 0
		.amdhsa_exception_fp_ieee_overflow 0
		.amdhsa_exception_fp_ieee_underflow 0
		.amdhsa_exception_fp_ieee_inexact 0
		.amdhsa_exception_int_div_zero 0
	.end_amdhsa_kernel
	.section	.text._ZN7rocprim17ROCPRIM_400000_NS6detail17trampoline_kernelINS0_14default_configENS1_25transform_config_selectorIsLb0EEEZNS1_14transform_implILb0ES3_S5_NS0_18transform_iteratorINS0_17counting_iteratorImlEEZNS1_24adjacent_difference_implIS3_Lb1ELb0EPsN6thrust23THRUST_200600_302600_NS16discard_iteratorINSD_11use_defaultEEENSD_5minusIsEEEE10hipError_tPvRmT2_T3_mT4_P12ihipStream_tbEUlmE_sEESB_NS0_8identityIvEEEESJ_SM_SN_mSO_SQ_bEUlT_E_NS1_11comp_targetILNS1_3genE10ELNS1_11target_archE1201ELNS1_3gpuE5ELNS1_3repE0EEENS1_30default_config_static_selectorELNS0_4arch9wavefront6targetE1EEEvT1_,"axG",@progbits,_ZN7rocprim17ROCPRIM_400000_NS6detail17trampoline_kernelINS0_14default_configENS1_25transform_config_selectorIsLb0EEEZNS1_14transform_implILb0ES3_S5_NS0_18transform_iteratorINS0_17counting_iteratorImlEEZNS1_24adjacent_difference_implIS3_Lb1ELb0EPsN6thrust23THRUST_200600_302600_NS16discard_iteratorINSD_11use_defaultEEENSD_5minusIsEEEE10hipError_tPvRmT2_T3_mT4_P12ihipStream_tbEUlmE_sEESB_NS0_8identityIvEEEESJ_SM_SN_mSO_SQ_bEUlT_E_NS1_11comp_targetILNS1_3genE10ELNS1_11target_archE1201ELNS1_3gpuE5ELNS1_3repE0EEENS1_30default_config_static_selectorELNS0_4arch9wavefront6targetE1EEEvT1_,comdat
.Lfunc_end705:
	.size	_ZN7rocprim17ROCPRIM_400000_NS6detail17trampoline_kernelINS0_14default_configENS1_25transform_config_selectorIsLb0EEEZNS1_14transform_implILb0ES3_S5_NS0_18transform_iteratorINS0_17counting_iteratorImlEEZNS1_24adjacent_difference_implIS3_Lb1ELb0EPsN6thrust23THRUST_200600_302600_NS16discard_iteratorINSD_11use_defaultEEENSD_5minusIsEEEE10hipError_tPvRmT2_T3_mT4_P12ihipStream_tbEUlmE_sEESB_NS0_8identityIvEEEESJ_SM_SN_mSO_SQ_bEUlT_E_NS1_11comp_targetILNS1_3genE10ELNS1_11target_archE1201ELNS1_3gpuE5ELNS1_3repE0EEENS1_30default_config_static_selectorELNS0_4arch9wavefront6targetE1EEEvT1_, .Lfunc_end705-_ZN7rocprim17ROCPRIM_400000_NS6detail17trampoline_kernelINS0_14default_configENS1_25transform_config_selectorIsLb0EEEZNS1_14transform_implILb0ES3_S5_NS0_18transform_iteratorINS0_17counting_iteratorImlEEZNS1_24adjacent_difference_implIS3_Lb1ELb0EPsN6thrust23THRUST_200600_302600_NS16discard_iteratorINSD_11use_defaultEEENSD_5minusIsEEEE10hipError_tPvRmT2_T3_mT4_P12ihipStream_tbEUlmE_sEESB_NS0_8identityIvEEEESJ_SM_SN_mSO_SQ_bEUlT_E_NS1_11comp_targetILNS1_3genE10ELNS1_11target_archE1201ELNS1_3gpuE5ELNS1_3repE0EEENS1_30default_config_static_selectorELNS0_4arch9wavefront6targetE1EEEvT1_
                                        ; -- End function
	.section	.AMDGPU.csdata,"",@progbits
; Kernel info:
; codeLenInByte = 0
; NumSgprs: 4
; NumVgprs: 0
; NumAgprs: 0
; TotalNumVgprs: 0
; ScratchSize: 0
; MemoryBound: 0
; FloatMode: 240
; IeeeMode: 1
; LDSByteSize: 0 bytes/workgroup (compile time only)
; SGPRBlocks: 0
; VGPRBlocks: 0
; NumSGPRsForWavesPerEU: 4
; NumVGPRsForWavesPerEU: 1
; AccumOffset: 4
; Occupancy: 8
; WaveLimiterHint : 0
; COMPUTE_PGM_RSRC2:SCRATCH_EN: 0
; COMPUTE_PGM_RSRC2:USER_SGPR: 6
; COMPUTE_PGM_RSRC2:TRAP_HANDLER: 0
; COMPUTE_PGM_RSRC2:TGID_X_EN: 1
; COMPUTE_PGM_RSRC2:TGID_Y_EN: 0
; COMPUTE_PGM_RSRC2:TGID_Z_EN: 0
; COMPUTE_PGM_RSRC2:TIDIG_COMP_CNT: 0
; COMPUTE_PGM_RSRC3_GFX90A:ACCUM_OFFSET: 0
; COMPUTE_PGM_RSRC3_GFX90A:TG_SPLIT: 0
	.section	.text._ZN7rocprim17ROCPRIM_400000_NS6detail17trampoline_kernelINS0_14default_configENS1_25transform_config_selectorIsLb0EEEZNS1_14transform_implILb0ES3_S5_NS0_18transform_iteratorINS0_17counting_iteratorImlEEZNS1_24adjacent_difference_implIS3_Lb1ELb0EPsN6thrust23THRUST_200600_302600_NS16discard_iteratorINSD_11use_defaultEEENSD_5minusIsEEEE10hipError_tPvRmT2_T3_mT4_P12ihipStream_tbEUlmE_sEESB_NS0_8identityIvEEEESJ_SM_SN_mSO_SQ_bEUlT_E_NS1_11comp_targetILNS1_3genE10ELNS1_11target_archE1200ELNS1_3gpuE4ELNS1_3repE0EEENS1_30default_config_static_selectorELNS0_4arch9wavefront6targetE1EEEvT1_,"axG",@progbits,_ZN7rocprim17ROCPRIM_400000_NS6detail17trampoline_kernelINS0_14default_configENS1_25transform_config_selectorIsLb0EEEZNS1_14transform_implILb0ES3_S5_NS0_18transform_iteratorINS0_17counting_iteratorImlEEZNS1_24adjacent_difference_implIS3_Lb1ELb0EPsN6thrust23THRUST_200600_302600_NS16discard_iteratorINSD_11use_defaultEEENSD_5minusIsEEEE10hipError_tPvRmT2_T3_mT4_P12ihipStream_tbEUlmE_sEESB_NS0_8identityIvEEEESJ_SM_SN_mSO_SQ_bEUlT_E_NS1_11comp_targetILNS1_3genE10ELNS1_11target_archE1200ELNS1_3gpuE4ELNS1_3repE0EEENS1_30default_config_static_selectorELNS0_4arch9wavefront6targetE1EEEvT1_,comdat
	.protected	_ZN7rocprim17ROCPRIM_400000_NS6detail17trampoline_kernelINS0_14default_configENS1_25transform_config_selectorIsLb0EEEZNS1_14transform_implILb0ES3_S5_NS0_18transform_iteratorINS0_17counting_iteratorImlEEZNS1_24adjacent_difference_implIS3_Lb1ELb0EPsN6thrust23THRUST_200600_302600_NS16discard_iteratorINSD_11use_defaultEEENSD_5minusIsEEEE10hipError_tPvRmT2_T3_mT4_P12ihipStream_tbEUlmE_sEESB_NS0_8identityIvEEEESJ_SM_SN_mSO_SQ_bEUlT_E_NS1_11comp_targetILNS1_3genE10ELNS1_11target_archE1200ELNS1_3gpuE4ELNS1_3repE0EEENS1_30default_config_static_selectorELNS0_4arch9wavefront6targetE1EEEvT1_ ; -- Begin function _ZN7rocprim17ROCPRIM_400000_NS6detail17trampoline_kernelINS0_14default_configENS1_25transform_config_selectorIsLb0EEEZNS1_14transform_implILb0ES3_S5_NS0_18transform_iteratorINS0_17counting_iteratorImlEEZNS1_24adjacent_difference_implIS3_Lb1ELb0EPsN6thrust23THRUST_200600_302600_NS16discard_iteratorINSD_11use_defaultEEENSD_5minusIsEEEE10hipError_tPvRmT2_T3_mT4_P12ihipStream_tbEUlmE_sEESB_NS0_8identityIvEEEESJ_SM_SN_mSO_SQ_bEUlT_E_NS1_11comp_targetILNS1_3genE10ELNS1_11target_archE1200ELNS1_3gpuE4ELNS1_3repE0EEENS1_30default_config_static_selectorELNS0_4arch9wavefront6targetE1EEEvT1_
	.globl	_ZN7rocprim17ROCPRIM_400000_NS6detail17trampoline_kernelINS0_14default_configENS1_25transform_config_selectorIsLb0EEEZNS1_14transform_implILb0ES3_S5_NS0_18transform_iteratorINS0_17counting_iteratorImlEEZNS1_24adjacent_difference_implIS3_Lb1ELb0EPsN6thrust23THRUST_200600_302600_NS16discard_iteratorINSD_11use_defaultEEENSD_5minusIsEEEE10hipError_tPvRmT2_T3_mT4_P12ihipStream_tbEUlmE_sEESB_NS0_8identityIvEEEESJ_SM_SN_mSO_SQ_bEUlT_E_NS1_11comp_targetILNS1_3genE10ELNS1_11target_archE1200ELNS1_3gpuE4ELNS1_3repE0EEENS1_30default_config_static_selectorELNS0_4arch9wavefront6targetE1EEEvT1_
	.p2align	8
	.type	_ZN7rocprim17ROCPRIM_400000_NS6detail17trampoline_kernelINS0_14default_configENS1_25transform_config_selectorIsLb0EEEZNS1_14transform_implILb0ES3_S5_NS0_18transform_iteratorINS0_17counting_iteratorImlEEZNS1_24adjacent_difference_implIS3_Lb1ELb0EPsN6thrust23THRUST_200600_302600_NS16discard_iteratorINSD_11use_defaultEEENSD_5minusIsEEEE10hipError_tPvRmT2_T3_mT4_P12ihipStream_tbEUlmE_sEESB_NS0_8identityIvEEEESJ_SM_SN_mSO_SQ_bEUlT_E_NS1_11comp_targetILNS1_3genE10ELNS1_11target_archE1200ELNS1_3gpuE4ELNS1_3repE0EEENS1_30default_config_static_selectorELNS0_4arch9wavefront6targetE1EEEvT1_,@function
_ZN7rocprim17ROCPRIM_400000_NS6detail17trampoline_kernelINS0_14default_configENS1_25transform_config_selectorIsLb0EEEZNS1_14transform_implILb0ES3_S5_NS0_18transform_iteratorINS0_17counting_iteratorImlEEZNS1_24adjacent_difference_implIS3_Lb1ELb0EPsN6thrust23THRUST_200600_302600_NS16discard_iteratorINSD_11use_defaultEEENSD_5minusIsEEEE10hipError_tPvRmT2_T3_mT4_P12ihipStream_tbEUlmE_sEESB_NS0_8identityIvEEEESJ_SM_SN_mSO_SQ_bEUlT_E_NS1_11comp_targetILNS1_3genE10ELNS1_11target_archE1200ELNS1_3gpuE4ELNS1_3repE0EEENS1_30default_config_static_selectorELNS0_4arch9wavefront6targetE1EEEvT1_: ; @_ZN7rocprim17ROCPRIM_400000_NS6detail17trampoline_kernelINS0_14default_configENS1_25transform_config_selectorIsLb0EEEZNS1_14transform_implILb0ES3_S5_NS0_18transform_iteratorINS0_17counting_iteratorImlEEZNS1_24adjacent_difference_implIS3_Lb1ELb0EPsN6thrust23THRUST_200600_302600_NS16discard_iteratorINSD_11use_defaultEEENSD_5minusIsEEEE10hipError_tPvRmT2_T3_mT4_P12ihipStream_tbEUlmE_sEESB_NS0_8identityIvEEEESJ_SM_SN_mSO_SQ_bEUlT_E_NS1_11comp_targetILNS1_3genE10ELNS1_11target_archE1200ELNS1_3gpuE4ELNS1_3repE0EEENS1_30default_config_static_selectorELNS0_4arch9wavefront6targetE1EEEvT1_
; %bb.0:
	.section	.rodata,"a",@progbits
	.p2align	6, 0x0
	.amdhsa_kernel _ZN7rocprim17ROCPRIM_400000_NS6detail17trampoline_kernelINS0_14default_configENS1_25transform_config_selectorIsLb0EEEZNS1_14transform_implILb0ES3_S5_NS0_18transform_iteratorINS0_17counting_iteratorImlEEZNS1_24adjacent_difference_implIS3_Lb1ELb0EPsN6thrust23THRUST_200600_302600_NS16discard_iteratorINSD_11use_defaultEEENSD_5minusIsEEEE10hipError_tPvRmT2_T3_mT4_P12ihipStream_tbEUlmE_sEESB_NS0_8identityIvEEEESJ_SM_SN_mSO_SQ_bEUlT_E_NS1_11comp_targetILNS1_3genE10ELNS1_11target_archE1200ELNS1_3gpuE4ELNS1_3repE0EEENS1_30default_config_static_selectorELNS0_4arch9wavefront6targetE1EEEvT1_
		.amdhsa_group_segment_fixed_size 0
		.amdhsa_private_segment_fixed_size 0
		.amdhsa_kernarg_size 56
		.amdhsa_user_sgpr_count 6
		.amdhsa_user_sgpr_private_segment_buffer 1
		.amdhsa_user_sgpr_dispatch_ptr 0
		.amdhsa_user_sgpr_queue_ptr 0
		.amdhsa_user_sgpr_kernarg_segment_ptr 1
		.amdhsa_user_sgpr_dispatch_id 0
		.amdhsa_user_sgpr_flat_scratch_init 0
		.amdhsa_user_sgpr_kernarg_preload_length 0
		.amdhsa_user_sgpr_kernarg_preload_offset 0
		.amdhsa_user_sgpr_private_segment_size 0
		.amdhsa_uses_dynamic_stack 0
		.amdhsa_system_sgpr_private_segment_wavefront_offset 0
		.amdhsa_system_sgpr_workgroup_id_x 1
		.amdhsa_system_sgpr_workgroup_id_y 0
		.amdhsa_system_sgpr_workgroup_id_z 0
		.amdhsa_system_sgpr_workgroup_info 0
		.amdhsa_system_vgpr_workitem_id 0
		.amdhsa_next_free_vgpr 1
		.amdhsa_next_free_sgpr 0
		.amdhsa_accum_offset 4
		.amdhsa_reserve_vcc 0
		.amdhsa_reserve_flat_scratch 0
		.amdhsa_float_round_mode_32 0
		.amdhsa_float_round_mode_16_64 0
		.amdhsa_float_denorm_mode_32 3
		.amdhsa_float_denorm_mode_16_64 3
		.amdhsa_dx10_clamp 1
		.amdhsa_ieee_mode 1
		.amdhsa_fp16_overflow 0
		.amdhsa_tg_split 0
		.amdhsa_exception_fp_ieee_invalid_op 0
		.amdhsa_exception_fp_denorm_src 0
		.amdhsa_exception_fp_ieee_div_zero 0
		.amdhsa_exception_fp_ieee_overflow 0
		.amdhsa_exception_fp_ieee_underflow 0
		.amdhsa_exception_fp_ieee_inexact 0
		.amdhsa_exception_int_div_zero 0
	.end_amdhsa_kernel
	.section	.text._ZN7rocprim17ROCPRIM_400000_NS6detail17trampoline_kernelINS0_14default_configENS1_25transform_config_selectorIsLb0EEEZNS1_14transform_implILb0ES3_S5_NS0_18transform_iteratorINS0_17counting_iteratorImlEEZNS1_24adjacent_difference_implIS3_Lb1ELb0EPsN6thrust23THRUST_200600_302600_NS16discard_iteratorINSD_11use_defaultEEENSD_5minusIsEEEE10hipError_tPvRmT2_T3_mT4_P12ihipStream_tbEUlmE_sEESB_NS0_8identityIvEEEESJ_SM_SN_mSO_SQ_bEUlT_E_NS1_11comp_targetILNS1_3genE10ELNS1_11target_archE1200ELNS1_3gpuE4ELNS1_3repE0EEENS1_30default_config_static_selectorELNS0_4arch9wavefront6targetE1EEEvT1_,"axG",@progbits,_ZN7rocprim17ROCPRIM_400000_NS6detail17trampoline_kernelINS0_14default_configENS1_25transform_config_selectorIsLb0EEEZNS1_14transform_implILb0ES3_S5_NS0_18transform_iteratorINS0_17counting_iteratorImlEEZNS1_24adjacent_difference_implIS3_Lb1ELb0EPsN6thrust23THRUST_200600_302600_NS16discard_iteratorINSD_11use_defaultEEENSD_5minusIsEEEE10hipError_tPvRmT2_T3_mT4_P12ihipStream_tbEUlmE_sEESB_NS0_8identityIvEEEESJ_SM_SN_mSO_SQ_bEUlT_E_NS1_11comp_targetILNS1_3genE10ELNS1_11target_archE1200ELNS1_3gpuE4ELNS1_3repE0EEENS1_30default_config_static_selectorELNS0_4arch9wavefront6targetE1EEEvT1_,comdat
.Lfunc_end706:
	.size	_ZN7rocprim17ROCPRIM_400000_NS6detail17trampoline_kernelINS0_14default_configENS1_25transform_config_selectorIsLb0EEEZNS1_14transform_implILb0ES3_S5_NS0_18transform_iteratorINS0_17counting_iteratorImlEEZNS1_24adjacent_difference_implIS3_Lb1ELb0EPsN6thrust23THRUST_200600_302600_NS16discard_iteratorINSD_11use_defaultEEENSD_5minusIsEEEE10hipError_tPvRmT2_T3_mT4_P12ihipStream_tbEUlmE_sEESB_NS0_8identityIvEEEESJ_SM_SN_mSO_SQ_bEUlT_E_NS1_11comp_targetILNS1_3genE10ELNS1_11target_archE1200ELNS1_3gpuE4ELNS1_3repE0EEENS1_30default_config_static_selectorELNS0_4arch9wavefront6targetE1EEEvT1_, .Lfunc_end706-_ZN7rocprim17ROCPRIM_400000_NS6detail17trampoline_kernelINS0_14default_configENS1_25transform_config_selectorIsLb0EEEZNS1_14transform_implILb0ES3_S5_NS0_18transform_iteratorINS0_17counting_iteratorImlEEZNS1_24adjacent_difference_implIS3_Lb1ELb0EPsN6thrust23THRUST_200600_302600_NS16discard_iteratorINSD_11use_defaultEEENSD_5minusIsEEEE10hipError_tPvRmT2_T3_mT4_P12ihipStream_tbEUlmE_sEESB_NS0_8identityIvEEEESJ_SM_SN_mSO_SQ_bEUlT_E_NS1_11comp_targetILNS1_3genE10ELNS1_11target_archE1200ELNS1_3gpuE4ELNS1_3repE0EEENS1_30default_config_static_selectorELNS0_4arch9wavefront6targetE1EEEvT1_
                                        ; -- End function
	.section	.AMDGPU.csdata,"",@progbits
; Kernel info:
; codeLenInByte = 0
; NumSgprs: 4
; NumVgprs: 0
; NumAgprs: 0
; TotalNumVgprs: 0
; ScratchSize: 0
; MemoryBound: 0
; FloatMode: 240
; IeeeMode: 1
; LDSByteSize: 0 bytes/workgroup (compile time only)
; SGPRBlocks: 0
; VGPRBlocks: 0
; NumSGPRsForWavesPerEU: 4
; NumVGPRsForWavesPerEU: 1
; AccumOffset: 4
; Occupancy: 8
; WaveLimiterHint : 0
; COMPUTE_PGM_RSRC2:SCRATCH_EN: 0
; COMPUTE_PGM_RSRC2:USER_SGPR: 6
; COMPUTE_PGM_RSRC2:TRAP_HANDLER: 0
; COMPUTE_PGM_RSRC2:TGID_X_EN: 1
; COMPUTE_PGM_RSRC2:TGID_Y_EN: 0
; COMPUTE_PGM_RSRC2:TGID_Z_EN: 0
; COMPUTE_PGM_RSRC2:TIDIG_COMP_CNT: 0
; COMPUTE_PGM_RSRC3_GFX90A:ACCUM_OFFSET: 0
; COMPUTE_PGM_RSRC3_GFX90A:TG_SPLIT: 0
	.section	.text._ZN7rocprim17ROCPRIM_400000_NS6detail17trampoline_kernelINS0_14default_configENS1_25transform_config_selectorIsLb0EEEZNS1_14transform_implILb0ES3_S5_NS0_18transform_iteratorINS0_17counting_iteratorImlEEZNS1_24adjacent_difference_implIS3_Lb1ELb0EPsN6thrust23THRUST_200600_302600_NS16discard_iteratorINSD_11use_defaultEEENSD_5minusIsEEEE10hipError_tPvRmT2_T3_mT4_P12ihipStream_tbEUlmE_sEESB_NS0_8identityIvEEEESJ_SM_SN_mSO_SQ_bEUlT_E_NS1_11comp_targetILNS1_3genE9ELNS1_11target_archE1100ELNS1_3gpuE3ELNS1_3repE0EEENS1_30default_config_static_selectorELNS0_4arch9wavefront6targetE1EEEvT1_,"axG",@progbits,_ZN7rocprim17ROCPRIM_400000_NS6detail17trampoline_kernelINS0_14default_configENS1_25transform_config_selectorIsLb0EEEZNS1_14transform_implILb0ES3_S5_NS0_18transform_iteratorINS0_17counting_iteratorImlEEZNS1_24adjacent_difference_implIS3_Lb1ELb0EPsN6thrust23THRUST_200600_302600_NS16discard_iteratorINSD_11use_defaultEEENSD_5minusIsEEEE10hipError_tPvRmT2_T3_mT4_P12ihipStream_tbEUlmE_sEESB_NS0_8identityIvEEEESJ_SM_SN_mSO_SQ_bEUlT_E_NS1_11comp_targetILNS1_3genE9ELNS1_11target_archE1100ELNS1_3gpuE3ELNS1_3repE0EEENS1_30default_config_static_selectorELNS0_4arch9wavefront6targetE1EEEvT1_,comdat
	.protected	_ZN7rocprim17ROCPRIM_400000_NS6detail17trampoline_kernelINS0_14default_configENS1_25transform_config_selectorIsLb0EEEZNS1_14transform_implILb0ES3_S5_NS0_18transform_iteratorINS0_17counting_iteratorImlEEZNS1_24adjacent_difference_implIS3_Lb1ELb0EPsN6thrust23THRUST_200600_302600_NS16discard_iteratorINSD_11use_defaultEEENSD_5minusIsEEEE10hipError_tPvRmT2_T3_mT4_P12ihipStream_tbEUlmE_sEESB_NS0_8identityIvEEEESJ_SM_SN_mSO_SQ_bEUlT_E_NS1_11comp_targetILNS1_3genE9ELNS1_11target_archE1100ELNS1_3gpuE3ELNS1_3repE0EEENS1_30default_config_static_selectorELNS0_4arch9wavefront6targetE1EEEvT1_ ; -- Begin function _ZN7rocprim17ROCPRIM_400000_NS6detail17trampoline_kernelINS0_14default_configENS1_25transform_config_selectorIsLb0EEEZNS1_14transform_implILb0ES3_S5_NS0_18transform_iteratorINS0_17counting_iteratorImlEEZNS1_24adjacent_difference_implIS3_Lb1ELb0EPsN6thrust23THRUST_200600_302600_NS16discard_iteratorINSD_11use_defaultEEENSD_5minusIsEEEE10hipError_tPvRmT2_T3_mT4_P12ihipStream_tbEUlmE_sEESB_NS0_8identityIvEEEESJ_SM_SN_mSO_SQ_bEUlT_E_NS1_11comp_targetILNS1_3genE9ELNS1_11target_archE1100ELNS1_3gpuE3ELNS1_3repE0EEENS1_30default_config_static_selectorELNS0_4arch9wavefront6targetE1EEEvT1_
	.globl	_ZN7rocprim17ROCPRIM_400000_NS6detail17trampoline_kernelINS0_14default_configENS1_25transform_config_selectorIsLb0EEEZNS1_14transform_implILb0ES3_S5_NS0_18transform_iteratorINS0_17counting_iteratorImlEEZNS1_24adjacent_difference_implIS3_Lb1ELb0EPsN6thrust23THRUST_200600_302600_NS16discard_iteratorINSD_11use_defaultEEENSD_5minusIsEEEE10hipError_tPvRmT2_T3_mT4_P12ihipStream_tbEUlmE_sEESB_NS0_8identityIvEEEESJ_SM_SN_mSO_SQ_bEUlT_E_NS1_11comp_targetILNS1_3genE9ELNS1_11target_archE1100ELNS1_3gpuE3ELNS1_3repE0EEENS1_30default_config_static_selectorELNS0_4arch9wavefront6targetE1EEEvT1_
	.p2align	8
	.type	_ZN7rocprim17ROCPRIM_400000_NS6detail17trampoline_kernelINS0_14default_configENS1_25transform_config_selectorIsLb0EEEZNS1_14transform_implILb0ES3_S5_NS0_18transform_iteratorINS0_17counting_iteratorImlEEZNS1_24adjacent_difference_implIS3_Lb1ELb0EPsN6thrust23THRUST_200600_302600_NS16discard_iteratorINSD_11use_defaultEEENSD_5minusIsEEEE10hipError_tPvRmT2_T3_mT4_P12ihipStream_tbEUlmE_sEESB_NS0_8identityIvEEEESJ_SM_SN_mSO_SQ_bEUlT_E_NS1_11comp_targetILNS1_3genE9ELNS1_11target_archE1100ELNS1_3gpuE3ELNS1_3repE0EEENS1_30default_config_static_selectorELNS0_4arch9wavefront6targetE1EEEvT1_,@function
_ZN7rocprim17ROCPRIM_400000_NS6detail17trampoline_kernelINS0_14default_configENS1_25transform_config_selectorIsLb0EEEZNS1_14transform_implILb0ES3_S5_NS0_18transform_iteratorINS0_17counting_iteratorImlEEZNS1_24adjacent_difference_implIS3_Lb1ELb0EPsN6thrust23THRUST_200600_302600_NS16discard_iteratorINSD_11use_defaultEEENSD_5minusIsEEEE10hipError_tPvRmT2_T3_mT4_P12ihipStream_tbEUlmE_sEESB_NS0_8identityIvEEEESJ_SM_SN_mSO_SQ_bEUlT_E_NS1_11comp_targetILNS1_3genE9ELNS1_11target_archE1100ELNS1_3gpuE3ELNS1_3repE0EEENS1_30default_config_static_selectorELNS0_4arch9wavefront6targetE1EEEvT1_: ; @_ZN7rocprim17ROCPRIM_400000_NS6detail17trampoline_kernelINS0_14default_configENS1_25transform_config_selectorIsLb0EEEZNS1_14transform_implILb0ES3_S5_NS0_18transform_iteratorINS0_17counting_iteratorImlEEZNS1_24adjacent_difference_implIS3_Lb1ELb0EPsN6thrust23THRUST_200600_302600_NS16discard_iteratorINSD_11use_defaultEEENSD_5minusIsEEEE10hipError_tPvRmT2_T3_mT4_P12ihipStream_tbEUlmE_sEESB_NS0_8identityIvEEEESJ_SM_SN_mSO_SQ_bEUlT_E_NS1_11comp_targetILNS1_3genE9ELNS1_11target_archE1100ELNS1_3gpuE3ELNS1_3repE0EEENS1_30default_config_static_selectorELNS0_4arch9wavefront6targetE1EEEvT1_
; %bb.0:
	.section	.rodata,"a",@progbits
	.p2align	6, 0x0
	.amdhsa_kernel _ZN7rocprim17ROCPRIM_400000_NS6detail17trampoline_kernelINS0_14default_configENS1_25transform_config_selectorIsLb0EEEZNS1_14transform_implILb0ES3_S5_NS0_18transform_iteratorINS0_17counting_iteratorImlEEZNS1_24adjacent_difference_implIS3_Lb1ELb0EPsN6thrust23THRUST_200600_302600_NS16discard_iteratorINSD_11use_defaultEEENSD_5minusIsEEEE10hipError_tPvRmT2_T3_mT4_P12ihipStream_tbEUlmE_sEESB_NS0_8identityIvEEEESJ_SM_SN_mSO_SQ_bEUlT_E_NS1_11comp_targetILNS1_3genE9ELNS1_11target_archE1100ELNS1_3gpuE3ELNS1_3repE0EEENS1_30default_config_static_selectorELNS0_4arch9wavefront6targetE1EEEvT1_
		.amdhsa_group_segment_fixed_size 0
		.amdhsa_private_segment_fixed_size 0
		.amdhsa_kernarg_size 56
		.amdhsa_user_sgpr_count 6
		.amdhsa_user_sgpr_private_segment_buffer 1
		.amdhsa_user_sgpr_dispatch_ptr 0
		.amdhsa_user_sgpr_queue_ptr 0
		.amdhsa_user_sgpr_kernarg_segment_ptr 1
		.amdhsa_user_sgpr_dispatch_id 0
		.amdhsa_user_sgpr_flat_scratch_init 0
		.amdhsa_user_sgpr_kernarg_preload_length 0
		.amdhsa_user_sgpr_kernarg_preload_offset 0
		.amdhsa_user_sgpr_private_segment_size 0
		.amdhsa_uses_dynamic_stack 0
		.amdhsa_system_sgpr_private_segment_wavefront_offset 0
		.amdhsa_system_sgpr_workgroup_id_x 1
		.amdhsa_system_sgpr_workgroup_id_y 0
		.amdhsa_system_sgpr_workgroup_id_z 0
		.amdhsa_system_sgpr_workgroup_info 0
		.amdhsa_system_vgpr_workitem_id 0
		.amdhsa_next_free_vgpr 1
		.amdhsa_next_free_sgpr 0
		.amdhsa_accum_offset 4
		.amdhsa_reserve_vcc 0
		.amdhsa_reserve_flat_scratch 0
		.amdhsa_float_round_mode_32 0
		.amdhsa_float_round_mode_16_64 0
		.amdhsa_float_denorm_mode_32 3
		.amdhsa_float_denorm_mode_16_64 3
		.amdhsa_dx10_clamp 1
		.amdhsa_ieee_mode 1
		.amdhsa_fp16_overflow 0
		.amdhsa_tg_split 0
		.amdhsa_exception_fp_ieee_invalid_op 0
		.amdhsa_exception_fp_denorm_src 0
		.amdhsa_exception_fp_ieee_div_zero 0
		.amdhsa_exception_fp_ieee_overflow 0
		.amdhsa_exception_fp_ieee_underflow 0
		.amdhsa_exception_fp_ieee_inexact 0
		.amdhsa_exception_int_div_zero 0
	.end_amdhsa_kernel
	.section	.text._ZN7rocprim17ROCPRIM_400000_NS6detail17trampoline_kernelINS0_14default_configENS1_25transform_config_selectorIsLb0EEEZNS1_14transform_implILb0ES3_S5_NS0_18transform_iteratorINS0_17counting_iteratorImlEEZNS1_24adjacent_difference_implIS3_Lb1ELb0EPsN6thrust23THRUST_200600_302600_NS16discard_iteratorINSD_11use_defaultEEENSD_5minusIsEEEE10hipError_tPvRmT2_T3_mT4_P12ihipStream_tbEUlmE_sEESB_NS0_8identityIvEEEESJ_SM_SN_mSO_SQ_bEUlT_E_NS1_11comp_targetILNS1_3genE9ELNS1_11target_archE1100ELNS1_3gpuE3ELNS1_3repE0EEENS1_30default_config_static_selectorELNS0_4arch9wavefront6targetE1EEEvT1_,"axG",@progbits,_ZN7rocprim17ROCPRIM_400000_NS6detail17trampoline_kernelINS0_14default_configENS1_25transform_config_selectorIsLb0EEEZNS1_14transform_implILb0ES3_S5_NS0_18transform_iteratorINS0_17counting_iteratorImlEEZNS1_24adjacent_difference_implIS3_Lb1ELb0EPsN6thrust23THRUST_200600_302600_NS16discard_iteratorINSD_11use_defaultEEENSD_5minusIsEEEE10hipError_tPvRmT2_T3_mT4_P12ihipStream_tbEUlmE_sEESB_NS0_8identityIvEEEESJ_SM_SN_mSO_SQ_bEUlT_E_NS1_11comp_targetILNS1_3genE9ELNS1_11target_archE1100ELNS1_3gpuE3ELNS1_3repE0EEENS1_30default_config_static_selectorELNS0_4arch9wavefront6targetE1EEEvT1_,comdat
.Lfunc_end707:
	.size	_ZN7rocprim17ROCPRIM_400000_NS6detail17trampoline_kernelINS0_14default_configENS1_25transform_config_selectorIsLb0EEEZNS1_14transform_implILb0ES3_S5_NS0_18transform_iteratorINS0_17counting_iteratorImlEEZNS1_24adjacent_difference_implIS3_Lb1ELb0EPsN6thrust23THRUST_200600_302600_NS16discard_iteratorINSD_11use_defaultEEENSD_5minusIsEEEE10hipError_tPvRmT2_T3_mT4_P12ihipStream_tbEUlmE_sEESB_NS0_8identityIvEEEESJ_SM_SN_mSO_SQ_bEUlT_E_NS1_11comp_targetILNS1_3genE9ELNS1_11target_archE1100ELNS1_3gpuE3ELNS1_3repE0EEENS1_30default_config_static_selectorELNS0_4arch9wavefront6targetE1EEEvT1_, .Lfunc_end707-_ZN7rocprim17ROCPRIM_400000_NS6detail17trampoline_kernelINS0_14default_configENS1_25transform_config_selectorIsLb0EEEZNS1_14transform_implILb0ES3_S5_NS0_18transform_iteratorINS0_17counting_iteratorImlEEZNS1_24adjacent_difference_implIS3_Lb1ELb0EPsN6thrust23THRUST_200600_302600_NS16discard_iteratorINSD_11use_defaultEEENSD_5minusIsEEEE10hipError_tPvRmT2_T3_mT4_P12ihipStream_tbEUlmE_sEESB_NS0_8identityIvEEEESJ_SM_SN_mSO_SQ_bEUlT_E_NS1_11comp_targetILNS1_3genE9ELNS1_11target_archE1100ELNS1_3gpuE3ELNS1_3repE0EEENS1_30default_config_static_selectorELNS0_4arch9wavefront6targetE1EEEvT1_
                                        ; -- End function
	.section	.AMDGPU.csdata,"",@progbits
; Kernel info:
; codeLenInByte = 0
; NumSgprs: 4
; NumVgprs: 0
; NumAgprs: 0
; TotalNumVgprs: 0
; ScratchSize: 0
; MemoryBound: 0
; FloatMode: 240
; IeeeMode: 1
; LDSByteSize: 0 bytes/workgroup (compile time only)
; SGPRBlocks: 0
; VGPRBlocks: 0
; NumSGPRsForWavesPerEU: 4
; NumVGPRsForWavesPerEU: 1
; AccumOffset: 4
; Occupancy: 8
; WaveLimiterHint : 0
; COMPUTE_PGM_RSRC2:SCRATCH_EN: 0
; COMPUTE_PGM_RSRC2:USER_SGPR: 6
; COMPUTE_PGM_RSRC2:TRAP_HANDLER: 0
; COMPUTE_PGM_RSRC2:TGID_X_EN: 1
; COMPUTE_PGM_RSRC2:TGID_Y_EN: 0
; COMPUTE_PGM_RSRC2:TGID_Z_EN: 0
; COMPUTE_PGM_RSRC2:TIDIG_COMP_CNT: 0
; COMPUTE_PGM_RSRC3_GFX90A:ACCUM_OFFSET: 0
; COMPUTE_PGM_RSRC3_GFX90A:TG_SPLIT: 0
	.section	.text._ZN7rocprim17ROCPRIM_400000_NS6detail17trampoline_kernelINS0_14default_configENS1_25transform_config_selectorIsLb0EEEZNS1_14transform_implILb0ES3_S5_NS0_18transform_iteratorINS0_17counting_iteratorImlEEZNS1_24adjacent_difference_implIS3_Lb1ELb0EPsN6thrust23THRUST_200600_302600_NS16discard_iteratorINSD_11use_defaultEEENSD_5minusIsEEEE10hipError_tPvRmT2_T3_mT4_P12ihipStream_tbEUlmE_sEESB_NS0_8identityIvEEEESJ_SM_SN_mSO_SQ_bEUlT_E_NS1_11comp_targetILNS1_3genE8ELNS1_11target_archE1030ELNS1_3gpuE2ELNS1_3repE0EEENS1_30default_config_static_selectorELNS0_4arch9wavefront6targetE1EEEvT1_,"axG",@progbits,_ZN7rocprim17ROCPRIM_400000_NS6detail17trampoline_kernelINS0_14default_configENS1_25transform_config_selectorIsLb0EEEZNS1_14transform_implILb0ES3_S5_NS0_18transform_iteratorINS0_17counting_iteratorImlEEZNS1_24adjacent_difference_implIS3_Lb1ELb0EPsN6thrust23THRUST_200600_302600_NS16discard_iteratorINSD_11use_defaultEEENSD_5minusIsEEEE10hipError_tPvRmT2_T3_mT4_P12ihipStream_tbEUlmE_sEESB_NS0_8identityIvEEEESJ_SM_SN_mSO_SQ_bEUlT_E_NS1_11comp_targetILNS1_3genE8ELNS1_11target_archE1030ELNS1_3gpuE2ELNS1_3repE0EEENS1_30default_config_static_selectorELNS0_4arch9wavefront6targetE1EEEvT1_,comdat
	.protected	_ZN7rocprim17ROCPRIM_400000_NS6detail17trampoline_kernelINS0_14default_configENS1_25transform_config_selectorIsLb0EEEZNS1_14transform_implILb0ES3_S5_NS0_18transform_iteratorINS0_17counting_iteratorImlEEZNS1_24adjacent_difference_implIS3_Lb1ELb0EPsN6thrust23THRUST_200600_302600_NS16discard_iteratorINSD_11use_defaultEEENSD_5minusIsEEEE10hipError_tPvRmT2_T3_mT4_P12ihipStream_tbEUlmE_sEESB_NS0_8identityIvEEEESJ_SM_SN_mSO_SQ_bEUlT_E_NS1_11comp_targetILNS1_3genE8ELNS1_11target_archE1030ELNS1_3gpuE2ELNS1_3repE0EEENS1_30default_config_static_selectorELNS0_4arch9wavefront6targetE1EEEvT1_ ; -- Begin function _ZN7rocprim17ROCPRIM_400000_NS6detail17trampoline_kernelINS0_14default_configENS1_25transform_config_selectorIsLb0EEEZNS1_14transform_implILb0ES3_S5_NS0_18transform_iteratorINS0_17counting_iteratorImlEEZNS1_24adjacent_difference_implIS3_Lb1ELb0EPsN6thrust23THRUST_200600_302600_NS16discard_iteratorINSD_11use_defaultEEENSD_5minusIsEEEE10hipError_tPvRmT2_T3_mT4_P12ihipStream_tbEUlmE_sEESB_NS0_8identityIvEEEESJ_SM_SN_mSO_SQ_bEUlT_E_NS1_11comp_targetILNS1_3genE8ELNS1_11target_archE1030ELNS1_3gpuE2ELNS1_3repE0EEENS1_30default_config_static_selectorELNS0_4arch9wavefront6targetE1EEEvT1_
	.globl	_ZN7rocprim17ROCPRIM_400000_NS6detail17trampoline_kernelINS0_14default_configENS1_25transform_config_selectorIsLb0EEEZNS1_14transform_implILb0ES3_S5_NS0_18transform_iteratorINS0_17counting_iteratorImlEEZNS1_24adjacent_difference_implIS3_Lb1ELb0EPsN6thrust23THRUST_200600_302600_NS16discard_iteratorINSD_11use_defaultEEENSD_5minusIsEEEE10hipError_tPvRmT2_T3_mT4_P12ihipStream_tbEUlmE_sEESB_NS0_8identityIvEEEESJ_SM_SN_mSO_SQ_bEUlT_E_NS1_11comp_targetILNS1_3genE8ELNS1_11target_archE1030ELNS1_3gpuE2ELNS1_3repE0EEENS1_30default_config_static_selectorELNS0_4arch9wavefront6targetE1EEEvT1_
	.p2align	8
	.type	_ZN7rocprim17ROCPRIM_400000_NS6detail17trampoline_kernelINS0_14default_configENS1_25transform_config_selectorIsLb0EEEZNS1_14transform_implILb0ES3_S5_NS0_18transform_iteratorINS0_17counting_iteratorImlEEZNS1_24adjacent_difference_implIS3_Lb1ELb0EPsN6thrust23THRUST_200600_302600_NS16discard_iteratorINSD_11use_defaultEEENSD_5minusIsEEEE10hipError_tPvRmT2_T3_mT4_P12ihipStream_tbEUlmE_sEESB_NS0_8identityIvEEEESJ_SM_SN_mSO_SQ_bEUlT_E_NS1_11comp_targetILNS1_3genE8ELNS1_11target_archE1030ELNS1_3gpuE2ELNS1_3repE0EEENS1_30default_config_static_selectorELNS0_4arch9wavefront6targetE1EEEvT1_,@function
_ZN7rocprim17ROCPRIM_400000_NS6detail17trampoline_kernelINS0_14default_configENS1_25transform_config_selectorIsLb0EEEZNS1_14transform_implILb0ES3_S5_NS0_18transform_iteratorINS0_17counting_iteratorImlEEZNS1_24adjacent_difference_implIS3_Lb1ELb0EPsN6thrust23THRUST_200600_302600_NS16discard_iteratorINSD_11use_defaultEEENSD_5minusIsEEEE10hipError_tPvRmT2_T3_mT4_P12ihipStream_tbEUlmE_sEESB_NS0_8identityIvEEEESJ_SM_SN_mSO_SQ_bEUlT_E_NS1_11comp_targetILNS1_3genE8ELNS1_11target_archE1030ELNS1_3gpuE2ELNS1_3repE0EEENS1_30default_config_static_selectorELNS0_4arch9wavefront6targetE1EEEvT1_: ; @_ZN7rocprim17ROCPRIM_400000_NS6detail17trampoline_kernelINS0_14default_configENS1_25transform_config_selectorIsLb0EEEZNS1_14transform_implILb0ES3_S5_NS0_18transform_iteratorINS0_17counting_iteratorImlEEZNS1_24adjacent_difference_implIS3_Lb1ELb0EPsN6thrust23THRUST_200600_302600_NS16discard_iteratorINSD_11use_defaultEEENSD_5minusIsEEEE10hipError_tPvRmT2_T3_mT4_P12ihipStream_tbEUlmE_sEESB_NS0_8identityIvEEEESJ_SM_SN_mSO_SQ_bEUlT_E_NS1_11comp_targetILNS1_3genE8ELNS1_11target_archE1030ELNS1_3gpuE2ELNS1_3repE0EEENS1_30default_config_static_selectorELNS0_4arch9wavefront6targetE1EEEvT1_
; %bb.0:
	.section	.rodata,"a",@progbits
	.p2align	6, 0x0
	.amdhsa_kernel _ZN7rocprim17ROCPRIM_400000_NS6detail17trampoline_kernelINS0_14default_configENS1_25transform_config_selectorIsLb0EEEZNS1_14transform_implILb0ES3_S5_NS0_18transform_iteratorINS0_17counting_iteratorImlEEZNS1_24adjacent_difference_implIS3_Lb1ELb0EPsN6thrust23THRUST_200600_302600_NS16discard_iteratorINSD_11use_defaultEEENSD_5minusIsEEEE10hipError_tPvRmT2_T3_mT4_P12ihipStream_tbEUlmE_sEESB_NS0_8identityIvEEEESJ_SM_SN_mSO_SQ_bEUlT_E_NS1_11comp_targetILNS1_3genE8ELNS1_11target_archE1030ELNS1_3gpuE2ELNS1_3repE0EEENS1_30default_config_static_selectorELNS0_4arch9wavefront6targetE1EEEvT1_
		.amdhsa_group_segment_fixed_size 0
		.amdhsa_private_segment_fixed_size 0
		.amdhsa_kernarg_size 56
		.amdhsa_user_sgpr_count 6
		.amdhsa_user_sgpr_private_segment_buffer 1
		.amdhsa_user_sgpr_dispatch_ptr 0
		.amdhsa_user_sgpr_queue_ptr 0
		.amdhsa_user_sgpr_kernarg_segment_ptr 1
		.amdhsa_user_sgpr_dispatch_id 0
		.amdhsa_user_sgpr_flat_scratch_init 0
		.amdhsa_user_sgpr_kernarg_preload_length 0
		.amdhsa_user_sgpr_kernarg_preload_offset 0
		.amdhsa_user_sgpr_private_segment_size 0
		.amdhsa_uses_dynamic_stack 0
		.amdhsa_system_sgpr_private_segment_wavefront_offset 0
		.amdhsa_system_sgpr_workgroup_id_x 1
		.amdhsa_system_sgpr_workgroup_id_y 0
		.amdhsa_system_sgpr_workgroup_id_z 0
		.amdhsa_system_sgpr_workgroup_info 0
		.amdhsa_system_vgpr_workitem_id 0
		.amdhsa_next_free_vgpr 1
		.amdhsa_next_free_sgpr 0
		.amdhsa_accum_offset 4
		.amdhsa_reserve_vcc 0
		.amdhsa_reserve_flat_scratch 0
		.amdhsa_float_round_mode_32 0
		.amdhsa_float_round_mode_16_64 0
		.amdhsa_float_denorm_mode_32 3
		.amdhsa_float_denorm_mode_16_64 3
		.amdhsa_dx10_clamp 1
		.amdhsa_ieee_mode 1
		.amdhsa_fp16_overflow 0
		.amdhsa_tg_split 0
		.amdhsa_exception_fp_ieee_invalid_op 0
		.amdhsa_exception_fp_denorm_src 0
		.amdhsa_exception_fp_ieee_div_zero 0
		.amdhsa_exception_fp_ieee_overflow 0
		.amdhsa_exception_fp_ieee_underflow 0
		.amdhsa_exception_fp_ieee_inexact 0
		.amdhsa_exception_int_div_zero 0
	.end_amdhsa_kernel
	.section	.text._ZN7rocprim17ROCPRIM_400000_NS6detail17trampoline_kernelINS0_14default_configENS1_25transform_config_selectorIsLb0EEEZNS1_14transform_implILb0ES3_S5_NS0_18transform_iteratorINS0_17counting_iteratorImlEEZNS1_24adjacent_difference_implIS3_Lb1ELb0EPsN6thrust23THRUST_200600_302600_NS16discard_iteratorINSD_11use_defaultEEENSD_5minusIsEEEE10hipError_tPvRmT2_T3_mT4_P12ihipStream_tbEUlmE_sEESB_NS0_8identityIvEEEESJ_SM_SN_mSO_SQ_bEUlT_E_NS1_11comp_targetILNS1_3genE8ELNS1_11target_archE1030ELNS1_3gpuE2ELNS1_3repE0EEENS1_30default_config_static_selectorELNS0_4arch9wavefront6targetE1EEEvT1_,"axG",@progbits,_ZN7rocprim17ROCPRIM_400000_NS6detail17trampoline_kernelINS0_14default_configENS1_25transform_config_selectorIsLb0EEEZNS1_14transform_implILb0ES3_S5_NS0_18transform_iteratorINS0_17counting_iteratorImlEEZNS1_24adjacent_difference_implIS3_Lb1ELb0EPsN6thrust23THRUST_200600_302600_NS16discard_iteratorINSD_11use_defaultEEENSD_5minusIsEEEE10hipError_tPvRmT2_T3_mT4_P12ihipStream_tbEUlmE_sEESB_NS0_8identityIvEEEESJ_SM_SN_mSO_SQ_bEUlT_E_NS1_11comp_targetILNS1_3genE8ELNS1_11target_archE1030ELNS1_3gpuE2ELNS1_3repE0EEENS1_30default_config_static_selectorELNS0_4arch9wavefront6targetE1EEEvT1_,comdat
.Lfunc_end708:
	.size	_ZN7rocprim17ROCPRIM_400000_NS6detail17trampoline_kernelINS0_14default_configENS1_25transform_config_selectorIsLb0EEEZNS1_14transform_implILb0ES3_S5_NS0_18transform_iteratorINS0_17counting_iteratorImlEEZNS1_24adjacent_difference_implIS3_Lb1ELb0EPsN6thrust23THRUST_200600_302600_NS16discard_iteratorINSD_11use_defaultEEENSD_5minusIsEEEE10hipError_tPvRmT2_T3_mT4_P12ihipStream_tbEUlmE_sEESB_NS0_8identityIvEEEESJ_SM_SN_mSO_SQ_bEUlT_E_NS1_11comp_targetILNS1_3genE8ELNS1_11target_archE1030ELNS1_3gpuE2ELNS1_3repE0EEENS1_30default_config_static_selectorELNS0_4arch9wavefront6targetE1EEEvT1_, .Lfunc_end708-_ZN7rocprim17ROCPRIM_400000_NS6detail17trampoline_kernelINS0_14default_configENS1_25transform_config_selectorIsLb0EEEZNS1_14transform_implILb0ES3_S5_NS0_18transform_iteratorINS0_17counting_iteratorImlEEZNS1_24adjacent_difference_implIS3_Lb1ELb0EPsN6thrust23THRUST_200600_302600_NS16discard_iteratorINSD_11use_defaultEEENSD_5minusIsEEEE10hipError_tPvRmT2_T3_mT4_P12ihipStream_tbEUlmE_sEESB_NS0_8identityIvEEEESJ_SM_SN_mSO_SQ_bEUlT_E_NS1_11comp_targetILNS1_3genE8ELNS1_11target_archE1030ELNS1_3gpuE2ELNS1_3repE0EEENS1_30default_config_static_selectorELNS0_4arch9wavefront6targetE1EEEvT1_
                                        ; -- End function
	.section	.AMDGPU.csdata,"",@progbits
; Kernel info:
; codeLenInByte = 0
; NumSgprs: 4
; NumVgprs: 0
; NumAgprs: 0
; TotalNumVgprs: 0
; ScratchSize: 0
; MemoryBound: 0
; FloatMode: 240
; IeeeMode: 1
; LDSByteSize: 0 bytes/workgroup (compile time only)
; SGPRBlocks: 0
; VGPRBlocks: 0
; NumSGPRsForWavesPerEU: 4
; NumVGPRsForWavesPerEU: 1
; AccumOffset: 4
; Occupancy: 8
; WaveLimiterHint : 0
; COMPUTE_PGM_RSRC2:SCRATCH_EN: 0
; COMPUTE_PGM_RSRC2:USER_SGPR: 6
; COMPUTE_PGM_RSRC2:TRAP_HANDLER: 0
; COMPUTE_PGM_RSRC2:TGID_X_EN: 1
; COMPUTE_PGM_RSRC2:TGID_Y_EN: 0
; COMPUTE_PGM_RSRC2:TGID_Z_EN: 0
; COMPUTE_PGM_RSRC2:TIDIG_COMP_CNT: 0
; COMPUTE_PGM_RSRC3_GFX90A:ACCUM_OFFSET: 0
; COMPUTE_PGM_RSRC3_GFX90A:TG_SPLIT: 0
	.section	.text._ZN7rocprim17ROCPRIM_400000_NS6detail17trampoline_kernelINS0_14default_configENS1_35adjacent_difference_config_selectorILb1EsEEZNS1_24adjacent_difference_implIS3_Lb1ELb0EPsN6thrust23THRUST_200600_302600_NS16discard_iteratorINS9_11use_defaultEEENS9_5minusIsEEEE10hipError_tPvRmT2_T3_mT4_P12ihipStream_tbEUlT_E_NS1_11comp_targetILNS1_3genE0ELNS1_11target_archE4294967295ELNS1_3gpuE0ELNS1_3repE0EEENS1_30default_config_static_selectorELNS0_4arch9wavefront6targetE1EEEvT1_,"axG",@progbits,_ZN7rocprim17ROCPRIM_400000_NS6detail17trampoline_kernelINS0_14default_configENS1_35adjacent_difference_config_selectorILb1EsEEZNS1_24adjacent_difference_implIS3_Lb1ELb0EPsN6thrust23THRUST_200600_302600_NS16discard_iteratorINS9_11use_defaultEEENS9_5minusIsEEEE10hipError_tPvRmT2_T3_mT4_P12ihipStream_tbEUlT_E_NS1_11comp_targetILNS1_3genE0ELNS1_11target_archE4294967295ELNS1_3gpuE0ELNS1_3repE0EEENS1_30default_config_static_selectorELNS0_4arch9wavefront6targetE1EEEvT1_,comdat
	.protected	_ZN7rocprim17ROCPRIM_400000_NS6detail17trampoline_kernelINS0_14default_configENS1_35adjacent_difference_config_selectorILb1EsEEZNS1_24adjacent_difference_implIS3_Lb1ELb0EPsN6thrust23THRUST_200600_302600_NS16discard_iteratorINS9_11use_defaultEEENS9_5minusIsEEEE10hipError_tPvRmT2_T3_mT4_P12ihipStream_tbEUlT_E_NS1_11comp_targetILNS1_3genE0ELNS1_11target_archE4294967295ELNS1_3gpuE0ELNS1_3repE0EEENS1_30default_config_static_selectorELNS0_4arch9wavefront6targetE1EEEvT1_ ; -- Begin function _ZN7rocprim17ROCPRIM_400000_NS6detail17trampoline_kernelINS0_14default_configENS1_35adjacent_difference_config_selectorILb1EsEEZNS1_24adjacent_difference_implIS3_Lb1ELb0EPsN6thrust23THRUST_200600_302600_NS16discard_iteratorINS9_11use_defaultEEENS9_5minusIsEEEE10hipError_tPvRmT2_T3_mT4_P12ihipStream_tbEUlT_E_NS1_11comp_targetILNS1_3genE0ELNS1_11target_archE4294967295ELNS1_3gpuE0ELNS1_3repE0EEENS1_30default_config_static_selectorELNS0_4arch9wavefront6targetE1EEEvT1_
	.globl	_ZN7rocprim17ROCPRIM_400000_NS6detail17trampoline_kernelINS0_14default_configENS1_35adjacent_difference_config_selectorILb1EsEEZNS1_24adjacent_difference_implIS3_Lb1ELb0EPsN6thrust23THRUST_200600_302600_NS16discard_iteratorINS9_11use_defaultEEENS9_5minusIsEEEE10hipError_tPvRmT2_T3_mT4_P12ihipStream_tbEUlT_E_NS1_11comp_targetILNS1_3genE0ELNS1_11target_archE4294967295ELNS1_3gpuE0ELNS1_3repE0EEENS1_30default_config_static_selectorELNS0_4arch9wavefront6targetE1EEEvT1_
	.p2align	8
	.type	_ZN7rocprim17ROCPRIM_400000_NS6detail17trampoline_kernelINS0_14default_configENS1_35adjacent_difference_config_selectorILb1EsEEZNS1_24adjacent_difference_implIS3_Lb1ELb0EPsN6thrust23THRUST_200600_302600_NS16discard_iteratorINS9_11use_defaultEEENS9_5minusIsEEEE10hipError_tPvRmT2_T3_mT4_P12ihipStream_tbEUlT_E_NS1_11comp_targetILNS1_3genE0ELNS1_11target_archE4294967295ELNS1_3gpuE0ELNS1_3repE0EEENS1_30default_config_static_selectorELNS0_4arch9wavefront6targetE1EEEvT1_,@function
_ZN7rocprim17ROCPRIM_400000_NS6detail17trampoline_kernelINS0_14default_configENS1_35adjacent_difference_config_selectorILb1EsEEZNS1_24adjacent_difference_implIS3_Lb1ELb0EPsN6thrust23THRUST_200600_302600_NS16discard_iteratorINS9_11use_defaultEEENS9_5minusIsEEEE10hipError_tPvRmT2_T3_mT4_P12ihipStream_tbEUlT_E_NS1_11comp_targetILNS1_3genE0ELNS1_11target_archE4294967295ELNS1_3gpuE0ELNS1_3repE0EEENS1_30default_config_static_selectorELNS0_4arch9wavefront6targetE1EEEvT1_: ; @_ZN7rocprim17ROCPRIM_400000_NS6detail17trampoline_kernelINS0_14default_configENS1_35adjacent_difference_config_selectorILb1EsEEZNS1_24adjacent_difference_implIS3_Lb1ELb0EPsN6thrust23THRUST_200600_302600_NS16discard_iteratorINS9_11use_defaultEEENS9_5minusIsEEEE10hipError_tPvRmT2_T3_mT4_P12ihipStream_tbEUlT_E_NS1_11comp_targetILNS1_3genE0ELNS1_11target_archE4294967295ELNS1_3gpuE0ELNS1_3repE0EEENS1_30default_config_static_selectorELNS0_4arch9wavefront6targetE1EEEvT1_
; %bb.0:
	.section	.rodata,"a",@progbits
	.p2align	6, 0x0
	.amdhsa_kernel _ZN7rocprim17ROCPRIM_400000_NS6detail17trampoline_kernelINS0_14default_configENS1_35adjacent_difference_config_selectorILb1EsEEZNS1_24adjacent_difference_implIS3_Lb1ELb0EPsN6thrust23THRUST_200600_302600_NS16discard_iteratorINS9_11use_defaultEEENS9_5minusIsEEEE10hipError_tPvRmT2_T3_mT4_P12ihipStream_tbEUlT_E_NS1_11comp_targetILNS1_3genE0ELNS1_11target_archE4294967295ELNS1_3gpuE0ELNS1_3repE0EEENS1_30default_config_static_selectorELNS0_4arch9wavefront6targetE1EEEvT1_
		.amdhsa_group_segment_fixed_size 0
		.amdhsa_private_segment_fixed_size 0
		.amdhsa_kernarg_size 64
		.amdhsa_user_sgpr_count 6
		.amdhsa_user_sgpr_private_segment_buffer 1
		.amdhsa_user_sgpr_dispatch_ptr 0
		.amdhsa_user_sgpr_queue_ptr 0
		.amdhsa_user_sgpr_kernarg_segment_ptr 1
		.amdhsa_user_sgpr_dispatch_id 0
		.amdhsa_user_sgpr_flat_scratch_init 0
		.amdhsa_user_sgpr_kernarg_preload_length 0
		.amdhsa_user_sgpr_kernarg_preload_offset 0
		.amdhsa_user_sgpr_private_segment_size 0
		.amdhsa_uses_dynamic_stack 0
		.amdhsa_system_sgpr_private_segment_wavefront_offset 0
		.amdhsa_system_sgpr_workgroup_id_x 1
		.amdhsa_system_sgpr_workgroup_id_y 0
		.amdhsa_system_sgpr_workgroup_id_z 0
		.amdhsa_system_sgpr_workgroup_info 0
		.amdhsa_system_vgpr_workitem_id 0
		.amdhsa_next_free_vgpr 1
		.amdhsa_next_free_sgpr 0
		.amdhsa_accum_offset 4
		.amdhsa_reserve_vcc 0
		.amdhsa_reserve_flat_scratch 0
		.amdhsa_float_round_mode_32 0
		.amdhsa_float_round_mode_16_64 0
		.amdhsa_float_denorm_mode_32 3
		.amdhsa_float_denorm_mode_16_64 3
		.amdhsa_dx10_clamp 1
		.amdhsa_ieee_mode 1
		.amdhsa_fp16_overflow 0
		.amdhsa_tg_split 0
		.amdhsa_exception_fp_ieee_invalid_op 0
		.amdhsa_exception_fp_denorm_src 0
		.amdhsa_exception_fp_ieee_div_zero 0
		.amdhsa_exception_fp_ieee_overflow 0
		.amdhsa_exception_fp_ieee_underflow 0
		.amdhsa_exception_fp_ieee_inexact 0
		.amdhsa_exception_int_div_zero 0
	.end_amdhsa_kernel
	.section	.text._ZN7rocprim17ROCPRIM_400000_NS6detail17trampoline_kernelINS0_14default_configENS1_35adjacent_difference_config_selectorILb1EsEEZNS1_24adjacent_difference_implIS3_Lb1ELb0EPsN6thrust23THRUST_200600_302600_NS16discard_iteratorINS9_11use_defaultEEENS9_5minusIsEEEE10hipError_tPvRmT2_T3_mT4_P12ihipStream_tbEUlT_E_NS1_11comp_targetILNS1_3genE0ELNS1_11target_archE4294967295ELNS1_3gpuE0ELNS1_3repE0EEENS1_30default_config_static_selectorELNS0_4arch9wavefront6targetE1EEEvT1_,"axG",@progbits,_ZN7rocprim17ROCPRIM_400000_NS6detail17trampoline_kernelINS0_14default_configENS1_35adjacent_difference_config_selectorILb1EsEEZNS1_24adjacent_difference_implIS3_Lb1ELb0EPsN6thrust23THRUST_200600_302600_NS16discard_iteratorINS9_11use_defaultEEENS9_5minusIsEEEE10hipError_tPvRmT2_T3_mT4_P12ihipStream_tbEUlT_E_NS1_11comp_targetILNS1_3genE0ELNS1_11target_archE4294967295ELNS1_3gpuE0ELNS1_3repE0EEENS1_30default_config_static_selectorELNS0_4arch9wavefront6targetE1EEEvT1_,comdat
.Lfunc_end709:
	.size	_ZN7rocprim17ROCPRIM_400000_NS6detail17trampoline_kernelINS0_14default_configENS1_35adjacent_difference_config_selectorILb1EsEEZNS1_24adjacent_difference_implIS3_Lb1ELb0EPsN6thrust23THRUST_200600_302600_NS16discard_iteratorINS9_11use_defaultEEENS9_5minusIsEEEE10hipError_tPvRmT2_T3_mT4_P12ihipStream_tbEUlT_E_NS1_11comp_targetILNS1_3genE0ELNS1_11target_archE4294967295ELNS1_3gpuE0ELNS1_3repE0EEENS1_30default_config_static_selectorELNS0_4arch9wavefront6targetE1EEEvT1_, .Lfunc_end709-_ZN7rocprim17ROCPRIM_400000_NS6detail17trampoline_kernelINS0_14default_configENS1_35adjacent_difference_config_selectorILb1EsEEZNS1_24adjacent_difference_implIS3_Lb1ELb0EPsN6thrust23THRUST_200600_302600_NS16discard_iteratorINS9_11use_defaultEEENS9_5minusIsEEEE10hipError_tPvRmT2_T3_mT4_P12ihipStream_tbEUlT_E_NS1_11comp_targetILNS1_3genE0ELNS1_11target_archE4294967295ELNS1_3gpuE0ELNS1_3repE0EEENS1_30default_config_static_selectorELNS0_4arch9wavefront6targetE1EEEvT1_
                                        ; -- End function
	.section	.AMDGPU.csdata,"",@progbits
; Kernel info:
; codeLenInByte = 0
; NumSgprs: 4
; NumVgprs: 0
; NumAgprs: 0
; TotalNumVgprs: 0
; ScratchSize: 0
; MemoryBound: 0
; FloatMode: 240
; IeeeMode: 1
; LDSByteSize: 0 bytes/workgroup (compile time only)
; SGPRBlocks: 0
; VGPRBlocks: 0
; NumSGPRsForWavesPerEU: 4
; NumVGPRsForWavesPerEU: 1
; AccumOffset: 4
; Occupancy: 8
; WaveLimiterHint : 0
; COMPUTE_PGM_RSRC2:SCRATCH_EN: 0
; COMPUTE_PGM_RSRC2:USER_SGPR: 6
; COMPUTE_PGM_RSRC2:TRAP_HANDLER: 0
; COMPUTE_PGM_RSRC2:TGID_X_EN: 1
; COMPUTE_PGM_RSRC2:TGID_Y_EN: 0
; COMPUTE_PGM_RSRC2:TGID_Z_EN: 0
; COMPUTE_PGM_RSRC2:TIDIG_COMP_CNT: 0
; COMPUTE_PGM_RSRC3_GFX90A:ACCUM_OFFSET: 0
; COMPUTE_PGM_RSRC3_GFX90A:TG_SPLIT: 0
	.section	.text._ZN7rocprim17ROCPRIM_400000_NS6detail17trampoline_kernelINS0_14default_configENS1_35adjacent_difference_config_selectorILb1EsEEZNS1_24adjacent_difference_implIS3_Lb1ELb0EPsN6thrust23THRUST_200600_302600_NS16discard_iteratorINS9_11use_defaultEEENS9_5minusIsEEEE10hipError_tPvRmT2_T3_mT4_P12ihipStream_tbEUlT_E_NS1_11comp_targetILNS1_3genE10ELNS1_11target_archE1201ELNS1_3gpuE5ELNS1_3repE0EEENS1_30default_config_static_selectorELNS0_4arch9wavefront6targetE1EEEvT1_,"axG",@progbits,_ZN7rocprim17ROCPRIM_400000_NS6detail17trampoline_kernelINS0_14default_configENS1_35adjacent_difference_config_selectorILb1EsEEZNS1_24adjacent_difference_implIS3_Lb1ELb0EPsN6thrust23THRUST_200600_302600_NS16discard_iteratorINS9_11use_defaultEEENS9_5minusIsEEEE10hipError_tPvRmT2_T3_mT4_P12ihipStream_tbEUlT_E_NS1_11comp_targetILNS1_3genE10ELNS1_11target_archE1201ELNS1_3gpuE5ELNS1_3repE0EEENS1_30default_config_static_selectorELNS0_4arch9wavefront6targetE1EEEvT1_,comdat
	.protected	_ZN7rocprim17ROCPRIM_400000_NS6detail17trampoline_kernelINS0_14default_configENS1_35adjacent_difference_config_selectorILb1EsEEZNS1_24adjacent_difference_implIS3_Lb1ELb0EPsN6thrust23THRUST_200600_302600_NS16discard_iteratorINS9_11use_defaultEEENS9_5minusIsEEEE10hipError_tPvRmT2_T3_mT4_P12ihipStream_tbEUlT_E_NS1_11comp_targetILNS1_3genE10ELNS1_11target_archE1201ELNS1_3gpuE5ELNS1_3repE0EEENS1_30default_config_static_selectorELNS0_4arch9wavefront6targetE1EEEvT1_ ; -- Begin function _ZN7rocprim17ROCPRIM_400000_NS6detail17trampoline_kernelINS0_14default_configENS1_35adjacent_difference_config_selectorILb1EsEEZNS1_24adjacent_difference_implIS3_Lb1ELb0EPsN6thrust23THRUST_200600_302600_NS16discard_iteratorINS9_11use_defaultEEENS9_5minusIsEEEE10hipError_tPvRmT2_T3_mT4_P12ihipStream_tbEUlT_E_NS1_11comp_targetILNS1_3genE10ELNS1_11target_archE1201ELNS1_3gpuE5ELNS1_3repE0EEENS1_30default_config_static_selectorELNS0_4arch9wavefront6targetE1EEEvT1_
	.globl	_ZN7rocprim17ROCPRIM_400000_NS6detail17trampoline_kernelINS0_14default_configENS1_35adjacent_difference_config_selectorILb1EsEEZNS1_24adjacent_difference_implIS3_Lb1ELb0EPsN6thrust23THRUST_200600_302600_NS16discard_iteratorINS9_11use_defaultEEENS9_5minusIsEEEE10hipError_tPvRmT2_T3_mT4_P12ihipStream_tbEUlT_E_NS1_11comp_targetILNS1_3genE10ELNS1_11target_archE1201ELNS1_3gpuE5ELNS1_3repE0EEENS1_30default_config_static_selectorELNS0_4arch9wavefront6targetE1EEEvT1_
	.p2align	8
	.type	_ZN7rocprim17ROCPRIM_400000_NS6detail17trampoline_kernelINS0_14default_configENS1_35adjacent_difference_config_selectorILb1EsEEZNS1_24adjacent_difference_implIS3_Lb1ELb0EPsN6thrust23THRUST_200600_302600_NS16discard_iteratorINS9_11use_defaultEEENS9_5minusIsEEEE10hipError_tPvRmT2_T3_mT4_P12ihipStream_tbEUlT_E_NS1_11comp_targetILNS1_3genE10ELNS1_11target_archE1201ELNS1_3gpuE5ELNS1_3repE0EEENS1_30default_config_static_selectorELNS0_4arch9wavefront6targetE1EEEvT1_,@function
_ZN7rocprim17ROCPRIM_400000_NS6detail17trampoline_kernelINS0_14default_configENS1_35adjacent_difference_config_selectorILb1EsEEZNS1_24adjacent_difference_implIS3_Lb1ELb0EPsN6thrust23THRUST_200600_302600_NS16discard_iteratorINS9_11use_defaultEEENS9_5minusIsEEEE10hipError_tPvRmT2_T3_mT4_P12ihipStream_tbEUlT_E_NS1_11comp_targetILNS1_3genE10ELNS1_11target_archE1201ELNS1_3gpuE5ELNS1_3repE0EEENS1_30default_config_static_selectorELNS0_4arch9wavefront6targetE1EEEvT1_: ; @_ZN7rocprim17ROCPRIM_400000_NS6detail17trampoline_kernelINS0_14default_configENS1_35adjacent_difference_config_selectorILb1EsEEZNS1_24adjacent_difference_implIS3_Lb1ELb0EPsN6thrust23THRUST_200600_302600_NS16discard_iteratorINS9_11use_defaultEEENS9_5minusIsEEEE10hipError_tPvRmT2_T3_mT4_P12ihipStream_tbEUlT_E_NS1_11comp_targetILNS1_3genE10ELNS1_11target_archE1201ELNS1_3gpuE5ELNS1_3repE0EEENS1_30default_config_static_selectorELNS0_4arch9wavefront6targetE1EEEvT1_
; %bb.0:
	.section	.rodata,"a",@progbits
	.p2align	6, 0x0
	.amdhsa_kernel _ZN7rocprim17ROCPRIM_400000_NS6detail17trampoline_kernelINS0_14default_configENS1_35adjacent_difference_config_selectorILb1EsEEZNS1_24adjacent_difference_implIS3_Lb1ELb0EPsN6thrust23THRUST_200600_302600_NS16discard_iteratorINS9_11use_defaultEEENS9_5minusIsEEEE10hipError_tPvRmT2_T3_mT4_P12ihipStream_tbEUlT_E_NS1_11comp_targetILNS1_3genE10ELNS1_11target_archE1201ELNS1_3gpuE5ELNS1_3repE0EEENS1_30default_config_static_selectorELNS0_4arch9wavefront6targetE1EEEvT1_
		.amdhsa_group_segment_fixed_size 0
		.amdhsa_private_segment_fixed_size 0
		.amdhsa_kernarg_size 64
		.amdhsa_user_sgpr_count 6
		.amdhsa_user_sgpr_private_segment_buffer 1
		.amdhsa_user_sgpr_dispatch_ptr 0
		.amdhsa_user_sgpr_queue_ptr 0
		.amdhsa_user_sgpr_kernarg_segment_ptr 1
		.amdhsa_user_sgpr_dispatch_id 0
		.amdhsa_user_sgpr_flat_scratch_init 0
		.amdhsa_user_sgpr_kernarg_preload_length 0
		.amdhsa_user_sgpr_kernarg_preload_offset 0
		.amdhsa_user_sgpr_private_segment_size 0
		.amdhsa_uses_dynamic_stack 0
		.amdhsa_system_sgpr_private_segment_wavefront_offset 0
		.amdhsa_system_sgpr_workgroup_id_x 1
		.amdhsa_system_sgpr_workgroup_id_y 0
		.amdhsa_system_sgpr_workgroup_id_z 0
		.amdhsa_system_sgpr_workgroup_info 0
		.amdhsa_system_vgpr_workitem_id 0
		.amdhsa_next_free_vgpr 1
		.amdhsa_next_free_sgpr 0
		.amdhsa_accum_offset 4
		.amdhsa_reserve_vcc 0
		.amdhsa_reserve_flat_scratch 0
		.amdhsa_float_round_mode_32 0
		.amdhsa_float_round_mode_16_64 0
		.amdhsa_float_denorm_mode_32 3
		.amdhsa_float_denorm_mode_16_64 3
		.amdhsa_dx10_clamp 1
		.amdhsa_ieee_mode 1
		.amdhsa_fp16_overflow 0
		.amdhsa_tg_split 0
		.amdhsa_exception_fp_ieee_invalid_op 0
		.amdhsa_exception_fp_denorm_src 0
		.amdhsa_exception_fp_ieee_div_zero 0
		.amdhsa_exception_fp_ieee_overflow 0
		.amdhsa_exception_fp_ieee_underflow 0
		.amdhsa_exception_fp_ieee_inexact 0
		.amdhsa_exception_int_div_zero 0
	.end_amdhsa_kernel
	.section	.text._ZN7rocprim17ROCPRIM_400000_NS6detail17trampoline_kernelINS0_14default_configENS1_35adjacent_difference_config_selectorILb1EsEEZNS1_24adjacent_difference_implIS3_Lb1ELb0EPsN6thrust23THRUST_200600_302600_NS16discard_iteratorINS9_11use_defaultEEENS9_5minusIsEEEE10hipError_tPvRmT2_T3_mT4_P12ihipStream_tbEUlT_E_NS1_11comp_targetILNS1_3genE10ELNS1_11target_archE1201ELNS1_3gpuE5ELNS1_3repE0EEENS1_30default_config_static_selectorELNS0_4arch9wavefront6targetE1EEEvT1_,"axG",@progbits,_ZN7rocprim17ROCPRIM_400000_NS6detail17trampoline_kernelINS0_14default_configENS1_35adjacent_difference_config_selectorILb1EsEEZNS1_24adjacent_difference_implIS3_Lb1ELb0EPsN6thrust23THRUST_200600_302600_NS16discard_iteratorINS9_11use_defaultEEENS9_5minusIsEEEE10hipError_tPvRmT2_T3_mT4_P12ihipStream_tbEUlT_E_NS1_11comp_targetILNS1_3genE10ELNS1_11target_archE1201ELNS1_3gpuE5ELNS1_3repE0EEENS1_30default_config_static_selectorELNS0_4arch9wavefront6targetE1EEEvT1_,comdat
.Lfunc_end710:
	.size	_ZN7rocprim17ROCPRIM_400000_NS6detail17trampoline_kernelINS0_14default_configENS1_35adjacent_difference_config_selectorILb1EsEEZNS1_24adjacent_difference_implIS3_Lb1ELb0EPsN6thrust23THRUST_200600_302600_NS16discard_iteratorINS9_11use_defaultEEENS9_5minusIsEEEE10hipError_tPvRmT2_T3_mT4_P12ihipStream_tbEUlT_E_NS1_11comp_targetILNS1_3genE10ELNS1_11target_archE1201ELNS1_3gpuE5ELNS1_3repE0EEENS1_30default_config_static_selectorELNS0_4arch9wavefront6targetE1EEEvT1_, .Lfunc_end710-_ZN7rocprim17ROCPRIM_400000_NS6detail17trampoline_kernelINS0_14default_configENS1_35adjacent_difference_config_selectorILb1EsEEZNS1_24adjacent_difference_implIS3_Lb1ELb0EPsN6thrust23THRUST_200600_302600_NS16discard_iteratorINS9_11use_defaultEEENS9_5minusIsEEEE10hipError_tPvRmT2_T3_mT4_P12ihipStream_tbEUlT_E_NS1_11comp_targetILNS1_3genE10ELNS1_11target_archE1201ELNS1_3gpuE5ELNS1_3repE0EEENS1_30default_config_static_selectorELNS0_4arch9wavefront6targetE1EEEvT1_
                                        ; -- End function
	.section	.AMDGPU.csdata,"",@progbits
; Kernel info:
; codeLenInByte = 0
; NumSgprs: 4
; NumVgprs: 0
; NumAgprs: 0
; TotalNumVgprs: 0
; ScratchSize: 0
; MemoryBound: 0
; FloatMode: 240
; IeeeMode: 1
; LDSByteSize: 0 bytes/workgroup (compile time only)
; SGPRBlocks: 0
; VGPRBlocks: 0
; NumSGPRsForWavesPerEU: 4
; NumVGPRsForWavesPerEU: 1
; AccumOffset: 4
; Occupancy: 8
; WaveLimiterHint : 0
; COMPUTE_PGM_RSRC2:SCRATCH_EN: 0
; COMPUTE_PGM_RSRC2:USER_SGPR: 6
; COMPUTE_PGM_RSRC2:TRAP_HANDLER: 0
; COMPUTE_PGM_RSRC2:TGID_X_EN: 1
; COMPUTE_PGM_RSRC2:TGID_Y_EN: 0
; COMPUTE_PGM_RSRC2:TGID_Z_EN: 0
; COMPUTE_PGM_RSRC2:TIDIG_COMP_CNT: 0
; COMPUTE_PGM_RSRC3_GFX90A:ACCUM_OFFSET: 0
; COMPUTE_PGM_RSRC3_GFX90A:TG_SPLIT: 0
	.section	.text._ZN7rocprim17ROCPRIM_400000_NS6detail17trampoline_kernelINS0_14default_configENS1_35adjacent_difference_config_selectorILb1EsEEZNS1_24adjacent_difference_implIS3_Lb1ELb0EPsN6thrust23THRUST_200600_302600_NS16discard_iteratorINS9_11use_defaultEEENS9_5minusIsEEEE10hipError_tPvRmT2_T3_mT4_P12ihipStream_tbEUlT_E_NS1_11comp_targetILNS1_3genE5ELNS1_11target_archE942ELNS1_3gpuE9ELNS1_3repE0EEENS1_30default_config_static_selectorELNS0_4arch9wavefront6targetE1EEEvT1_,"axG",@progbits,_ZN7rocprim17ROCPRIM_400000_NS6detail17trampoline_kernelINS0_14default_configENS1_35adjacent_difference_config_selectorILb1EsEEZNS1_24adjacent_difference_implIS3_Lb1ELb0EPsN6thrust23THRUST_200600_302600_NS16discard_iteratorINS9_11use_defaultEEENS9_5minusIsEEEE10hipError_tPvRmT2_T3_mT4_P12ihipStream_tbEUlT_E_NS1_11comp_targetILNS1_3genE5ELNS1_11target_archE942ELNS1_3gpuE9ELNS1_3repE0EEENS1_30default_config_static_selectorELNS0_4arch9wavefront6targetE1EEEvT1_,comdat
	.protected	_ZN7rocprim17ROCPRIM_400000_NS6detail17trampoline_kernelINS0_14default_configENS1_35adjacent_difference_config_selectorILb1EsEEZNS1_24adjacent_difference_implIS3_Lb1ELb0EPsN6thrust23THRUST_200600_302600_NS16discard_iteratorINS9_11use_defaultEEENS9_5minusIsEEEE10hipError_tPvRmT2_T3_mT4_P12ihipStream_tbEUlT_E_NS1_11comp_targetILNS1_3genE5ELNS1_11target_archE942ELNS1_3gpuE9ELNS1_3repE0EEENS1_30default_config_static_selectorELNS0_4arch9wavefront6targetE1EEEvT1_ ; -- Begin function _ZN7rocprim17ROCPRIM_400000_NS6detail17trampoline_kernelINS0_14default_configENS1_35adjacent_difference_config_selectorILb1EsEEZNS1_24adjacent_difference_implIS3_Lb1ELb0EPsN6thrust23THRUST_200600_302600_NS16discard_iteratorINS9_11use_defaultEEENS9_5minusIsEEEE10hipError_tPvRmT2_T3_mT4_P12ihipStream_tbEUlT_E_NS1_11comp_targetILNS1_3genE5ELNS1_11target_archE942ELNS1_3gpuE9ELNS1_3repE0EEENS1_30default_config_static_selectorELNS0_4arch9wavefront6targetE1EEEvT1_
	.globl	_ZN7rocprim17ROCPRIM_400000_NS6detail17trampoline_kernelINS0_14default_configENS1_35adjacent_difference_config_selectorILb1EsEEZNS1_24adjacent_difference_implIS3_Lb1ELb0EPsN6thrust23THRUST_200600_302600_NS16discard_iteratorINS9_11use_defaultEEENS9_5minusIsEEEE10hipError_tPvRmT2_T3_mT4_P12ihipStream_tbEUlT_E_NS1_11comp_targetILNS1_3genE5ELNS1_11target_archE942ELNS1_3gpuE9ELNS1_3repE0EEENS1_30default_config_static_selectorELNS0_4arch9wavefront6targetE1EEEvT1_
	.p2align	8
	.type	_ZN7rocprim17ROCPRIM_400000_NS6detail17trampoline_kernelINS0_14default_configENS1_35adjacent_difference_config_selectorILb1EsEEZNS1_24adjacent_difference_implIS3_Lb1ELb0EPsN6thrust23THRUST_200600_302600_NS16discard_iteratorINS9_11use_defaultEEENS9_5minusIsEEEE10hipError_tPvRmT2_T3_mT4_P12ihipStream_tbEUlT_E_NS1_11comp_targetILNS1_3genE5ELNS1_11target_archE942ELNS1_3gpuE9ELNS1_3repE0EEENS1_30default_config_static_selectorELNS0_4arch9wavefront6targetE1EEEvT1_,@function
_ZN7rocprim17ROCPRIM_400000_NS6detail17trampoline_kernelINS0_14default_configENS1_35adjacent_difference_config_selectorILb1EsEEZNS1_24adjacent_difference_implIS3_Lb1ELb0EPsN6thrust23THRUST_200600_302600_NS16discard_iteratorINS9_11use_defaultEEENS9_5minusIsEEEE10hipError_tPvRmT2_T3_mT4_P12ihipStream_tbEUlT_E_NS1_11comp_targetILNS1_3genE5ELNS1_11target_archE942ELNS1_3gpuE9ELNS1_3repE0EEENS1_30default_config_static_selectorELNS0_4arch9wavefront6targetE1EEEvT1_: ; @_ZN7rocprim17ROCPRIM_400000_NS6detail17trampoline_kernelINS0_14default_configENS1_35adjacent_difference_config_selectorILb1EsEEZNS1_24adjacent_difference_implIS3_Lb1ELb0EPsN6thrust23THRUST_200600_302600_NS16discard_iteratorINS9_11use_defaultEEENS9_5minusIsEEEE10hipError_tPvRmT2_T3_mT4_P12ihipStream_tbEUlT_E_NS1_11comp_targetILNS1_3genE5ELNS1_11target_archE942ELNS1_3gpuE9ELNS1_3repE0EEENS1_30default_config_static_selectorELNS0_4arch9wavefront6targetE1EEEvT1_
; %bb.0:
	.section	.rodata,"a",@progbits
	.p2align	6, 0x0
	.amdhsa_kernel _ZN7rocprim17ROCPRIM_400000_NS6detail17trampoline_kernelINS0_14default_configENS1_35adjacent_difference_config_selectorILb1EsEEZNS1_24adjacent_difference_implIS3_Lb1ELb0EPsN6thrust23THRUST_200600_302600_NS16discard_iteratorINS9_11use_defaultEEENS9_5minusIsEEEE10hipError_tPvRmT2_T3_mT4_P12ihipStream_tbEUlT_E_NS1_11comp_targetILNS1_3genE5ELNS1_11target_archE942ELNS1_3gpuE9ELNS1_3repE0EEENS1_30default_config_static_selectorELNS0_4arch9wavefront6targetE1EEEvT1_
		.amdhsa_group_segment_fixed_size 0
		.amdhsa_private_segment_fixed_size 0
		.amdhsa_kernarg_size 64
		.amdhsa_user_sgpr_count 6
		.amdhsa_user_sgpr_private_segment_buffer 1
		.amdhsa_user_sgpr_dispatch_ptr 0
		.amdhsa_user_sgpr_queue_ptr 0
		.amdhsa_user_sgpr_kernarg_segment_ptr 1
		.amdhsa_user_sgpr_dispatch_id 0
		.amdhsa_user_sgpr_flat_scratch_init 0
		.amdhsa_user_sgpr_kernarg_preload_length 0
		.amdhsa_user_sgpr_kernarg_preload_offset 0
		.amdhsa_user_sgpr_private_segment_size 0
		.amdhsa_uses_dynamic_stack 0
		.amdhsa_system_sgpr_private_segment_wavefront_offset 0
		.amdhsa_system_sgpr_workgroup_id_x 1
		.amdhsa_system_sgpr_workgroup_id_y 0
		.amdhsa_system_sgpr_workgroup_id_z 0
		.amdhsa_system_sgpr_workgroup_info 0
		.amdhsa_system_vgpr_workitem_id 0
		.amdhsa_next_free_vgpr 1
		.amdhsa_next_free_sgpr 0
		.amdhsa_accum_offset 4
		.amdhsa_reserve_vcc 0
		.amdhsa_reserve_flat_scratch 0
		.amdhsa_float_round_mode_32 0
		.amdhsa_float_round_mode_16_64 0
		.amdhsa_float_denorm_mode_32 3
		.amdhsa_float_denorm_mode_16_64 3
		.amdhsa_dx10_clamp 1
		.amdhsa_ieee_mode 1
		.amdhsa_fp16_overflow 0
		.amdhsa_tg_split 0
		.amdhsa_exception_fp_ieee_invalid_op 0
		.amdhsa_exception_fp_denorm_src 0
		.amdhsa_exception_fp_ieee_div_zero 0
		.amdhsa_exception_fp_ieee_overflow 0
		.amdhsa_exception_fp_ieee_underflow 0
		.amdhsa_exception_fp_ieee_inexact 0
		.amdhsa_exception_int_div_zero 0
	.end_amdhsa_kernel
	.section	.text._ZN7rocprim17ROCPRIM_400000_NS6detail17trampoline_kernelINS0_14default_configENS1_35adjacent_difference_config_selectorILb1EsEEZNS1_24adjacent_difference_implIS3_Lb1ELb0EPsN6thrust23THRUST_200600_302600_NS16discard_iteratorINS9_11use_defaultEEENS9_5minusIsEEEE10hipError_tPvRmT2_T3_mT4_P12ihipStream_tbEUlT_E_NS1_11comp_targetILNS1_3genE5ELNS1_11target_archE942ELNS1_3gpuE9ELNS1_3repE0EEENS1_30default_config_static_selectorELNS0_4arch9wavefront6targetE1EEEvT1_,"axG",@progbits,_ZN7rocprim17ROCPRIM_400000_NS6detail17trampoline_kernelINS0_14default_configENS1_35adjacent_difference_config_selectorILb1EsEEZNS1_24adjacent_difference_implIS3_Lb1ELb0EPsN6thrust23THRUST_200600_302600_NS16discard_iteratorINS9_11use_defaultEEENS9_5minusIsEEEE10hipError_tPvRmT2_T3_mT4_P12ihipStream_tbEUlT_E_NS1_11comp_targetILNS1_3genE5ELNS1_11target_archE942ELNS1_3gpuE9ELNS1_3repE0EEENS1_30default_config_static_selectorELNS0_4arch9wavefront6targetE1EEEvT1_,comdat
.Lfunc_end711:
	.size	_ZN7rocprim17ROCPRIM_400000_NS6detail17trampoline_kernelINS0_14default_configENS1_35adjacent_difference_config_selectorILb1EsEEZNS1_24adjacent_difference_implIS3_Lb1ELb0EPsN6thrust23THRUST_200600_302600_NS16discard_iteratorINS9_11use_defaultEEENS9_5minusIsEEEE10hipError_tPvRmT2_T3_mT4_P12ihipStream_tbEUlT_E_NS1_11comp_targetILNS1_3genE5ELNS1_11target_archE942ELNS1_3gpuE9ELNS1_3repE0EEENS1_30default_config_static_selectorELNS0_4arch9wavefront6targetE1EEEvT1_, .Lfunc_end711-_ZN7rocprim17ROCPRIM_400000_NS6detail17trampoline_kernelINS0_14default_configENS1_35adjacent_difference_config_selectorILb1EsEEZNS1_24adjacent_difference_implIS3_Lb1ELb0EPsN6thrust23THRUST_200600_302600_NS16discard_iteratorINS9_11use_defaultEEENS9_5minusIsEEEE10hipError_tPvRmT2_T3_mT4_P12ihipStream_tbEUlT_E_NS1_11comp_targetILNS1_3genE5ELNS1_11target_archE942ELNS1_3gpuE9ELNS1_3repE0EEENS1_30default_config_static_selectorELNS0_4arch9wavefront6targetE1EEEvT1_
                                        ; -- End function
	.section	.AMDGPU.csdata,"",@progbits
; Kernel info:
; codeLenInByte = 0
; NumSgprs: 4
; NumVgprs: 0
; NumAgprs: 0
; TotalNumVgprs: 0
; ScratchSize: 0
; MemoryBound: 0
; FloatMode: 240
; IeeeMode: 1
; LDSByteSize: 0 bytes/workgroup (compile time only)
; SGPRBlocks: 0
; VGPRBlocks: 0
; NumSGPRsForWavesPerEU: 4
; NumVGPRsForWavesPerEU: 1
; AccumOffset: 4
; Occupancy: 8
; WaveLimiterHint : 0
; COMPUTE_PGM_RSRC2:SCRATCH_EN: 0
; COMPUTE_PGM_RSRC2:USER_SGPR: 6
; COMPUTE_PGM_RSRC2:TRAP_HANDLER: 0
; COMPUTE_PGM_RSRC2:TGID_X_EN: 1
; COMPUTE_PGM_RSRC2:TGID_Y_EN: 0
; COMPUTE_PGM_RSRC2:TGID_Z_EN: 0
; COMPUTE_PGM_RSRC2:TIDIG_COMP_CNT: 0
; COMPUTE_PGM_RSRC3_GFX90A:ACCUM_OFFSET: 0
; COMPUTE_PGM_RSRC3_GFX90A:TG_SPLIT: 0
	.section	.text._ZN7rocprim17ROCPRIM_400000_NS6detail17trampoline_kernelINS0_14default_configENS1_35adjacent_difference_config_selectorILb1EsEEZNS1_24adjacent_difference_implIS3_Lb1ELb0EPsN6thrust23THRUST_200600_302600_NS16discard_iteratorINS9_11use_defaultEEENS9_5minusIsEEEE10hipError_tPvRmT2_T3_mT4_P12ihipStream_tbEUlT_E_NS1_11comp_targetILNS1_3genE4ELNS1_11target_archE910ELNS1_3gpuE8ELNS1_3repE0EEENS1_30default_config_static_selectorELNS0_4arch9wavefront6targetE1EEEvT1_,"axG",@progbits,_ZN7rocprim17ROCPRIM_400000_NS6detail17trampoline_kernelINS0_14default_configENS1_35adjacent_difference_config_selectorILb1EsEEZNS1_24adjacent_difference_implIS3_Lb1ELb0EPsN6thrust23THRUST_200600_302600_NS16discard_iteratorINS9_11use_defaultEEENS9_5minusIsEEEE10hipError_tPvRmT2_T3_mT4_P12ihipStream_tbEUlT_E_NS1_11comp_targetILNS1_3genE4ELNS1_11target_archE910ELNS1_3gpuE8ELNS1_3repE0EEENS1_30default_config_static_selectorELNS0_4arch9wavefront6targetE1EEEvT1_,comdat
	.protected	_ZN7rocprim17ROCPRIM_400000_NS6detail17trampoline_kernelINS0_14default_configENS1_35adjacent_difference_config_selectorILb1EsEEZNS1_24adjacent_difference_implIS3_Lb1ELb0EPsN6thrust23THRUST_200600_302600_NS16discard_iteratorINS9_11use_defaultEEENS9_5minusIsEEEE10hipError_tPvRmT2_T3_mT4_P12ihipStream_tbEUlT_E_NS1_11comp_targetILNS1_3genE4ELNS1_11target_archE910ELNS1_3gpuE8ELNS1_3repE0EEENS1_30default_config_static_selectorELNS0_4arch9wavefront6targetE1EEEvT1_ ; -- Begin function _ZN7rocprim17ROCPRIM_400000_NS6detail17trampoline_kernelINS0_14default_configENS1_35adjacent_difference_config_selectorILb1EsEEZNS1_24adjacent_difference_implIS3_Lb1ELb0EPsN6thrust23THRUST_200600_302600_NS16discard_iteratorINS9_11use_defaultEEENS9_5minusIsEEEE10hipError_tPvRmT2_T3_mT4_P12ihipStream_tbEUlT_E_NS1_11comp_targetILNS1_3genE4ELNS1_11target_archE910ELNS1_3gpuE8ELNS1_3repE0EEENS1_30default_config_static_selectorELNS0_4arch9wavefront6targetE1EEEvT1_
	.globl	_ZN7rocprim17ROCPRIM_400000_NS6detail17trampoline_kernelINS0_14default_configENS1_35adjacent_difference_config_selectorILb1EsEEZNS1_24adjacent_difference_implIS3_Lb1ELb0EPsN6thrust23THRUST_200600_302600_NS16discard_iteratorINS9_11use_defaultEEENS9_5minusIsEEEE10hipError_tPvRmT2_T3_mT4_P12ihipStream_tbEUlT_E_NS1_11comp_targetILNS1_3genE4ELNS1_11target_archE910ELNS1_3gpuE8ELNS1_3repE0EEENS1_30default_config_static_selectorELNS0_4arch9wavefront6targetE1EEEvT1_
	.p2align	8
	.type	_ZN7rocprim17ROCPRIM_400000_NS6detail17trampoline_kernelINS0_14default_configENS1_35adjacent_difference_config_selectorILb1EsEEZNS1_24adjacent_difference_implIS3_Lb1ELb0EPsN6thrust23THRUST_200600_302600_NS16discard_iteratorINS9_11use_defaultEEENS9_5minusIsEEEE10hipError_tPvRmT2_T3_mT4_P12ihipStream_tbEUlT_E_NS1_11comp_targetILNS1_3genE4ELNS1_11target_archE910ELNS1_3gpuE8ELNS1_3repE0EEENS1_30default_config_static_selectorELNS0_4arch9wavefront6targetE1EEEvT1_,@function
_ZN7rocprim17ROCPRIM_400000_NS6detail17trampoline_kernelINS0_14default_configENS1_35adjacent_difference_config_selectorILb1EsEEZNS1_24adjacent_difference_implIS3_Lb1ELb0EPsN6thrust23THRUST_200600_302600_NS16discard_iteratorINS9_11use_defaultEEENS9_5minusIsEEEE10hipError_tPvRmT2_T3_mT4_P12ihipStream_tbEUlT_E_NS1_11comp_targetILNS1_3genE4ELNS1_11target_archE910ELNS1_3gpuE8ELNS1_3repE0EEENS1_30default_config_static_selectorELNS0_4arch9wavefront6targetE1EEEvT1_: ; @_ZN7rocprim17ROCPRIM_400000_NS6detail17trampoline_kernelINS0_14default_configENS1_35adjacent_difference_config_selectorILb1EsEEZNS1_24adjacent_difference_implIS3_Lb1ELb0EPsN6thrust23THRUST_200600_302600_NS16discard_iteratorINS9_11use_defaultEEENS9_5minusIsEEEE10hipError_tPvRmT2_T3_mT4_P12ihipStream_tbEUlT_E_NS1_11comp_targetILNS1_3genE4ELNS1_11target_archE910ELNS1_3gpuE8ELNS1_3repE0EEENS1_30default_config_static_selectorELNS0_4arch9wavefront6targetE1EEEvT1_
; %bb.0:
	s_load_dwordx4 s[0:3], s[4:5], 0x0
	s_load_dwordx2 s[12:13], s[4:5], 0x20
	s_load_dwordx4 s[8:11], s[4:5], 0x30
	s_mul_i32 s4, s6, 0x440
	s_mov_b32 s7, 0
	s_waitcnt lgkmcnt(0)
	s_lshl_b64 s[2:3], s[2:3], 1
	s_add_u32 s18, s0, s2
	s_addc_u32 s19, s1, s3
	s_mov_b32 s0, 0xfc3c3710
	s_add_u32 s0, 0x10c, s0
	s_addc_u32 s3, 0, 0
	v_add_co_u32_e64 v1, s[0:1], s0, 2.0
	s_cmp_lg_u64 s[0:1], 0
	s_addc_u32 s0, s3, 0x3c3c3b
	v_readfirstlane_b32 s3, v1
	s_mul_hi_u32 s14, s3, 0xfffffbc0
	s_mul_i32 s1, s0, 0xfffffbc0
	s_sub_i32 s14, s14, s3
	s_add_i32 s14, s14, s1
	s_mul_i32 s16, s3, 0xfffffbc0
	s_mul_hi_u32 s1, s3, s14
	s_mul_i32 s15, s3, s14
	s_mul_hi_u32 s3, s3, s16
	s_add_u32 s3, s3, s15
	s_addc_u32 s1, 0, s1
	s_mul_hi_u32 s17, s0, s16
	s_mul_i32 s16, s0, s16
	s_add_u32 s3, s3, s16
	s_mul_hi_u32 s15, s0, s14
	s_addc_u32 s1, s1, s17
	s_addc_u32 s3, s15, 0
	s_mul_i32 s14, s0, s14
	s_add_u32 s1, s1, s14
	s_addc_u32 s3, 0, s3
	v_add_co_u32_e32 v1, vcc, s1, v1
	s_cmp_lg_u64 vcc, 0
	s_addc_u32 s0, s0, s3
	v_readfirstlane_b32 s14, v1
	s_mul_i32 s3, s12, s0
	s_mul_hi_u32 s15, s12, s14
	s_mul_hi_u32 s1, s12, s0
	s_add_u32 s3, s15, s3
	s_addc_u32 s1, 0, s1
	s_mul_hi_u32 s16, s13, s14
	s_mul_i32 s14, s13, s14
	s_add_u32 s3, s3, s14
	s_mul_hi_u32 s15, s13, s0
	s_addc_u32 s1, s1, s16
	s_addc_u32 s3, s15, 0
	s_mul_i32 s0, s13, s0
	s_add_u32 s0, s1, s0
	s_addc_u32 s1, 0, s3
	s_add_u32 s3, s0, 1
	s_addc_u32 s14, s1, 0
	s_add_u32 s15, s0, 2
	s_mul_i32 s17, s1, 0x440
	s_mul_hi_u32 s20, s0, 0x440
	s_addc_u32 s16, s1, 0
	s_add_i32 s20, s20, s17
	s_mul_i32 s17, s0, 0x440
	v_mov_b32_e32 v1, s17
	v_sub_co_u32_e32 v1, vcc, s12, v1
	s_movk_i32 s2, 0x440
	s_cmp_lg_u64 vcc, 0
	s_subb_u32 s17, s13, s20
	v_subrev_co_u32_e32 v2, vcc, s2, v1
	s_cmp_lg_u64 vcc, 0
	s_subb_u32 s2, s17, 0
	v_readfirstlane_b32 s20, v2
	s_cmpk_gt_u32 s20, 0x43f
	s_cselect_b32 s20, -1, 0
	s_cmp_eq_u32 s2, 0
	s_cselect_b32 s2, s20, -1
	s_cmp_lg_u32 s2, 0
	s_cselect_b32 s2, s15, s3
	s_cselect_b32 s3, s16, s14
	v_readfirstlane_b32 s14, v1
	s_cmpk_gt_u32 s14, 0x43f
	s_cselect_b32 s14, -1, 0
	s_cmp_eq_u32 s17, 0
	s_cselect_b32 s14, s14, -1
	s_cmp_lg_u32 s14, 0
	s_cselect_b32 s3, s3, s1
	s_cselect_b32 s2, s2, s0
	s_mul_i32 s0, s3, 0x440
	s_mul_hi_u32 s1, s2, 0x440
	s_add_i32 s1, s1, s0
	s_mul_i32 s0, s2, 0x440
	s_sub_u32 s0, s12, s0
	s_subb_u32 s1, s13, s1
	s_cmp_lg_u64 s[0:1], 0
	s_cselect_b64 s[0:1], -1, 0
	v_cndmask_b32_e64 v1, 0, 1, s[0:1]
	v_mov_b32_e32 v2, s3
	v_add_co_u32_e32 v10, vcc, s2, v1
	v_addc_co_u32_e32 v11, vcc, 0, v2, vcc
	s_add_u32 s2, s10, s6
	v_add_co_u32_e32 v14, vcc, -1, v10
	s_addc_u32 s3, s11, 0
	v_addc_co_u32_e32 v15, vcc, -1, v11, vcc
	v_cmp_ge_u64_e64 s[0:1], s[2:3], v[14:15]
	s_movk_i32 s5, 0xfbc0
	s_mov_b64 s[14:15], -1
	s_and_b64 vcc, exec, s[0:1]
	s_cbranch_vccz .LBB712_36
; %bb.1:
	v_mul_lo_u32 v1, v14, s5
	s_mov_b32 s5, s7
	s_lshl_b64 s[14:15], s[4:5], 1
	v_add_u32_e32 v2, s12, v1
	s_add_u32 s14, s18, s14
	s_addc_u32 s15, s19, s15
	v_cmp_lt_u32_e32 vcc, v0, v2
                                        ; implicit-def: $vgpr1
	s_and_saveexec_b64 s[16:17], vcc
	s_cbranch_execz .LBB712_3
; %bb.2:
	v_lshlrev_b32_e32 v1, 1, v0
	global_load_ushort v1, v1, s[14:15]
.LBB712_3:
	s_or_b64 exec, exec, s[16:17]
	v_or_b32_e32 v3, 64, v0
	v_cmp_lt_u32_e32 vcc, v3, v2
                                        ; implicit-def: $vgpr3
	s_and_saveexec_b64 s[16:17], vcc
	s_cbranch_execz .LBB712_5
; %bb.4:
	v_lshlrev_b32_e32 v3, 1, v0
	global_load_ushort v3, v3, s[14:15] offset:128
.LBB712_5:
	s_or_b64 exec, exec, s[16:17]
	v_or_b32_e32 v4, 0x80, v0
	v_cmp_lt_u32_e32 vcc, v4, v2
                                        ; implicit-def: $vgpr4
	s_and_saveexec_b64 s[16:17], vcc
	s_cbranch_execz .LBB712_7
; %bb.6:
	v_lshlrev_b32_e32 v4, 1, v0
	global_load_ushort v4, v4, s[14:15] offset:256
.LBB712_7:
	s_or_b64 exec, exec, s[16:17]
	v_or_b32_e32 v5, 0xc0, v0
	v_cmp_lt_u32_e32 vcc, v5, v2
                                        ; implicit-def: $vgpr5
	s_and_saveexec_b64 s[16:17], vcc
	s_cbranch_execz .LBB712_9
; %bb.8:
	v_lshlrev_b32_e32 v5, 1, v0
	global_load_ushort v5, v5, s[14:15] offset:384
.LBB712_9:
	s_or_b64 exec, exec, s[16:17]
	v_or_b32_e32 v6, 0x100, v0
	v_cmp_lt_u32_e32 vcc, v6, v2
                                        ; implicit-def: $vgpr6
	s_and_saveexec_b64 s[16:17], vcc
	s_cbranch_execz .LBB712_11
; %bb.10:
	v_lshlrev_b32_e32 v6, 1, v0
	global_load_ushort v6, v6, s[14:15] offset:512
.LBB712_11:
	s_or_b64 exec, exec, s[16:17]
	v_or_b32_e32 v7, 0x140, v0
	v_cmp_lt_u32_e32 vcc, v7, v2
                                        ; implicit-def: $vgpr7
	s_and_saveexec_b64 s[16:17], vcc
	s_cbranch_execz .LBB712_13
; %bb.12:
	v_lshlrev_b32_e32 v7, 1, v0
	global_load_ushort v7, v7, s[14:15] offset:640
.LBB712_13:
	s_or_b64 exec, exec, s[16:17]
	v_or_b32_e32 v8, 0x180, v0
	v_cmp_lt_u32_e32 vcc, v8, v2
                                        ; implicit-def: $vgpr8
	s_and_saveexec_b64 s[16:17], vcc
	s_cbranch_execz .LBB712_15
; %bb.14:
	v_lshlrev_b32_e32 v8, 1, v0
	global_load_ushort v8, v8, s[14:15] offset:768
.LBB712_15:
	s_or_b64 exec, exec, s[16:17]
	v_or_b32_e32 v9, 0x1c0, v0
	v_cmp_lt_u32_e32 vcc, v9, v2
                                        ; implicit-def: $vgpr9
	s_and_saveexec_b64 s[16:17], vcc
	s_cbranch_execz .LBB712_17
; %bb.16:
	v_lshlrev_b32_e32 v9, 1, v0
	global_load_ushort v9, v9, s[14:15] offset:896
.LBB712_17:
	s_or_b64 exec, exec, s[16:17]
	v_or_b32_e32 v12, 0x200, v0
	v_cmp_lt_u32_e32 vcc, v12, v2
                                        ; implicit-def: $vgpr12
	s_and_saveexec_b64 s[16:17], vcc
	s_cbranch_execz .LBB712_19
; %bb.18:
	v_lshlrev_b32_e32 v12, 1, v0
	global_load_ushort v12, v12, s[14:15] offset:1024
.LBB712_19:
	s_or_b64 exec, exec, s[16:17]
	v_or_b32_e32 v13, 0x240, v0
	v_cmp_lt_u32_e32 vcc, v13, v2
                                        ; implicit-def: $vgpr13
	s_and_saveexec_b64 s[16:17], vcc
	s_cbranch_execz .LBB712_21
; %bb.20:
	v_lshlrev_b32_e32 v13, 1, v0
	global_load_ushort v13, v13, s[14:15] offset:1152
.LBB712_21:
	s_or_b64 exec, exec, s[16:17]
	v_or_b32_e32 v16, 0x280, v0
	v_cmp_lt_u32_e32 vcc, v16, v2
                                        ; implicit-def: $vgpr16
	s_and_saveexec_b64 s[16:17], vcc
	s_cbranch_execz .LBB712_23
; %bb.22:
	v_lshlrev_b32_e32 v16, 1, v0
	global_load_ushort v16, v16, s[14:15] offset:1280
.LBB712_23:
	s_or_b64 exec, exec, s[16:17]
	v_or_b32_e32 v17, 0x2c0, v0
	v_cmp_lt_u32_e32 vcc, v17, v2
                                        ; implicit-def: $vgpr17
	s_and_saveexec_b64 s[16:17], vcc
	s_cbranch_execz .LBB712_25
; %bb.24:
	v_lshlrev_b32_e32 v17, 1, v0
	global_load_ushort v17, v17, s[14:15] offset:1408
.LBB712_25:
	s_or_b64 exec, exec, s[16:17]
	v_or_b32_e32 v18, 0x300, v0
	v_cmp_lt_u32_e32 vcc, v18, v2
                                        ; implicit-def: $vgpr18
	s_and_saveexec_b64 s[16:17], vcc
	s_cbranch_execz .LBB712_27
; %bb.26:
	v_lshlrev_b32_e32 v18, 1, v0
	global_load_ushort v18, v18, s[14:15] offset:1536
.LBB712_27:
	s_or_b64 exec, exec, s[16:17]
	v_or_b32_e32 v19, 0x340, v0
	v_cmp_lt_u32_e32 vcc, v19, v2
                                        ; implicit-def: $vgpr19
	s_and_saveexec_b64 s[16:17], vcc
	s_cbranch_execz .LBB712_29
; %bb.28:
	v_lshlrev_b32_e32 v19, 1, v0
	global_load_ushort v19, v19, s[14:15] offset:1664
.LBB712_29:
	s_or_b64 exec, exec, s[16:17]
	v_or_b32_e32 v20, 0x380, v0
	v_cmp_lt_u32_e32 vcc, v20, v2
                                        ; implicit-def: $vgpr20
	s_and_saveexec_b64 s[16:17], vcc
	s_cbranch_execz .LBB712_31
; %bb.30:
	v_lshlrev_b32_e32 v20, 1, v0
	global_load_ushort v20, v20, s[14:15] offset:1792
.LBB712_31:
	s_or_b64 exec, exec, s[16:17]
	v_or_b32_e32 v21, 0x3c0, v0
	v_cmp_lt_u32_e32 vcc, v21, v2
                                        ; implicit-def: $vgpr21
	s_and_saveexec_b64 s[16:17], vcc
	s_cbranch_execz .LBB712_33
; %bb.32:
	v_lshlrev_b32_e32 v21, 1, v0
	global_load_ushort v21, v21, s[14:15] offset:1920
.LBB712_33:
	s_or_b64 exec, exec, s[16:17]
	v_or_b32_e32 v22, 0x400, v0
	v_cmp_lt_u32_e32 vcc, v22, v2
                                        ; implicit-def: $vgpr2
	s_and_saveexec_b64 s[16:17], vcc
	s_cbranch_execz .LBB712_35
; %bb.34:
	v_lshlrev_b32_e32 v2, 1, v0
	global_load_ushort v2, v2, s[14:15] offset:2048
.LBB712_35:
	s_or_b64 exec, exec, s[16:17]
	v_lshlrev_b32_e32 v22, 1, v0
	s_mov_b64 s[14:15], 0
	s_waitcnt vmcnt(0)
	ds_write_b16 v22, v1
	ds_write_b16 v22, v3 offset:128
	ds_write_b16 v22, v4 offset:256
	;; [unrolled: 1-line block ×16, first 2 shown]
	s_waitcnt lgkmcnt(0)
	; wave barrier
.LBB712_36:
	s_and_b64 vcc, exec, s[14:15]
	v_lshlrev_b32_e32 v9, 1, v0
	s_cbranch_vccz .LBB712_38
; %bb.37:
	s_mov_b32 s5, 0
	s_lshl_b64 s[4:5], s[4:5], 1
	s_add_u32 s4, s18, s4
	s_addc_u32 s5, s19, s5
	global_load_ushort v1, v9, s[4:5]
	global_load_ushort v2, v9, s[4:5] offset:128
	global_load_ushort v3, v9, s[4:5] offset:256
	;; [unrolled: 1-line block ×16, first 2 shown]
	s_waitcnt vmcnt(16)
	ds_write_b16 v9, v1
	s_waitcnt vmcnt(15)
	ds_write_b16 v9, v2 offset:128
	s_waitcnt vmcnt(14)
	ds_write_b16 v9, v3 offset:256
	;; [unrolled: 2-line block ×16, first 2 shown]
	s_waitcnt lgkmcnt(0)
	; wave barrier
.LBB712_38:
	v_mul_u32_u24_e32 v1, 17, v0
	v_lshlrev_b32_e32 v2, 1, v1
	s_waitcnt lgkmcnt(0)
	ds_read_b96 v[6:8], v2
	ds_read_b64 v[12:13], v2 offset:12
	ds_read_u16 v1, v2 offset:20
	ds_read_b96 v[2:4], v2 offset:22
	s_cmp_eq_u64 s[2:3], 0
	s_waitcnt lgkmcnt(3)
	v_alignbit_b32 v5, v8, v7, 16
	v_alignbit_b32 v7, v7, v6, 16
	v_lshrrev_b32_e32 v8, 16, v8
	s_waitcnt lgkmcnt(0)
	; wave barrier
	s_waitcnt lgkmcnt(0)
	s_cbranch_scc1 .LBB712_43
; %bb.39:
	s_lshl_b64 s[4:5], s[10:11], 1
	s_add_u32 s8, s8, s4
	s_addc_u32 s9, s9, s5
	s_lshl_b64 s[4:5], s[6:7], 1
	s_add_u32 s4, s8, s4
	s_addc_u32 s5, s9, s5
	v_mov_b32_e32 v16, 0
	global_load_ushort v24, v16, s[4:5] offset:-2
	v_cmp_eq_u64_e32 vcc, s[2:3], v[14:15]
	s_cbranch_vccnz .LBB712_44
; %bb.40:
	v_cmp_ne_u32_e32 vcc, 0, v0
	s_waitcnt vmcnt(0)
	v_mov_b32_e32 v14, v24
	ds_write_b16_d16_hi v9, v4
	s_waitcnt lgkmcnt(0)
	; wave barrier
	s_waitcnt lgkmcnt(0)
	s_and_saveexec_b64 s[4:5], vcc
	s_cbranch_execz .LBB712_42
; %bb.41:
	v_add_u32_e32 v14, -2, v9
	ds_read_u16 v14, v14
.LBB712_42:
	s_or_b64 exec, exec, s[4:5]
	s_mov_b32 s3, 0x5040100
	s_waitcnt lgkmcnt(0)
	v_sub_u16_e32 v16, v6, v14
	v_perm_b32 v18, v7, v6, s3
	v_alignbit_b32 v20, v5, v7, 16
	v_lshrrev_b32_e32 v17, 16, v5
	v_perm_b32 v21, v12, v8, s3
	v_alignbit_b32 v23, v13, v12, 16
	v_lshrrev_b32_e32 v15, 16, v13
	v_perm_b32 v19, v2, v1, s3
	v_alignbit_b32 v22, v3, v2, 16
	v_alignbit_b32 v14, v4, v3, 16
	s_branch .LBB712_48
.LBB712_43:
                                        ; implicit-def: $vgpr22
                                        ; implicit-def: $vgpr19
                                        ; implicit-def: $vgpr23
                                        ; implicit-def: $vgpr21
                                        ; implicit-def: $vgpr20
                                        ; implicit-def: $vgpr18
                                        ; implicit-def: $vgpr14
                                        ; implicit-def: $vgpr16
                                        ; implicit-def: $vgpr17
                                        ; implicit-def: $vgpr15
	s_branch .LBB712_49
.LBB712_44:
                                        ; implicit-def: $vgpr22
                                        ; implicit-def: $vgpr19
                                        ; implicit-def: $vgpr23
                                        ; implicit-def: $vgpr21
                                        ; implicit-def: $vgpr20
                                        ; implicit-def: $vgpr18
                                        ; implicit-def: $vgpr14
                                        ; implicit-def: $vgpr16
                                        ; implicit-def: $vgpr17
                                        ; implicit-def: $vgpr15
	s_cbranch_execz .LBB712_48
; %bb.45:
	v_mul_u32_u24_e32 v16, 17, v0
	v_cmp_ne_u32_e32 vcc, 0, v0
	ds_write_b16_d16_hi v9, v4
	s_waitcnt lgkmcnt(0)
	; wave barrier
	s_waitcnt lgkmcnt(0)
	s_and_saveexec_b64 s[4:5], vcc
	s_cbranch_execz .LBB712_47
; %bb.46:
	v_add_u32_e32 v14, -2, v9
	s_waitcnt vmcnt(0)
	ds_read_u16 v24, v14
.LBB712_47:
	s_or_b64 exec, exec, s[4:5]
	s_mulk_i32 s2, 0xfbc0
	s_add_i32 s2, s2, s12
	v_add_u32_e32 v14, 15, v16
	v_add_u32_e32 v15, 16, v16
	v_lshrrev_b32_e32 v17, 16, v3
	v_cmp_gt_u32_e32 vcc, s2, v14
	v_cndmask_b32_e32 v14, 0, v17, vcc
	v_cmp_gt_u32_e32 vcc, s2, v15
	v_cndmask_b32_e32 v15, 0, v4, vcc
	s_mov_b32 s3, 0x5040100
	v_perm_b32 v14, v15, v14, s3
	v_add_u32_e32 v15, 13, v16
	v_add_u32_e32 v17, 14, v16
	v_lshrrev_b32_e32 v20, 16, v2
	v_cmp_gt_u32_e32 vcc, s2, v15
	v_add_u32_e32 v18, 11, v16
	v_cndmask_b32_e32 v22, 0, v20, vcc
	v_cmp_gt_u32_e32 vcc, s2, v17
	v_add_u32_e32 v19, 12, v16
	v_cndmask_b32_e32 v25, 0, v3, vcc
	v_cmp_gt_u32_e32 vcc, s2, v18
	v_cndmask_b32_e32 v26, 0, v1, vcc
	v_cmp_gt_u32_e32 vcc, s2, v19
	v_add_u32_e32 v15, 10, v16
	v_cndmask_b32_e32 v19, 0, v2, vcc
	v_lshrrev_b32_e32 v17, 16, v13
	v_cmp_gt_u32_e32 vcc, s2, v15
	v_cndmask_b32_e32 v15, 0, v17, vcc
	v_add_u32_e32 v17, 8, v16
	v_add_u32_e32 v18, 9, v16
	v_lshrrev_b32_e32 v23, 16, v12
	v_cmp_gt_u32_e32 vcc, s2, v17
	v_add_u32_e32 v20, 6, v16
	v_cndmask_b32_e32 v23, 0, v23, vcc
	v_cmp_gt_u32_e32 vcc, s2, v18
	v_add_u32_e32 v21, 7, v16
	v_cndmask_b32_e32 v27, 0, v13, vcc
	v_cmp_gt_u32_e32 vcc, s2, v20
	v_cndmask_b32_e32 v28, 0, v8, vcc
	v_cmp_gt_u32_e32 vcc, s2, v21
	v_add_u32_e32 v17, 5, v16
	v_cndmask_b32_e32 v21, 0, v12, vcc
	v_lshrrev_b32_e32 v18, 16, v5
	v_cmp_gt_u32_e32 vcc, s2, v17
	v_cndmask_b32_e32 v17, 0, v18, vcc
	v_add_u32_e32 v18, 3, v16
	v_add_u32_e32 v20, 4, v16
	v_lshrrev_b32_e32 v31, 16, v7
	v_cmp_gt_u32_e32 vcc, s2, v18
	v_add_u32_e32 v29, 1, v16
	v_cndmask_b32_e32 v31, 0, v31, vcc
	v_cmp_gt_u32_e32 vcc, s2, v20
	v_add_u32_e32 v30, 2, v16
	v_cndmask_b32_e32 v20, 0, v5, vcc
	v_cmp_gt_u32_e32 vcc, s2, v29
	v_cndmask_b32_e32 v18, 0, v6, vcc
	v_cmp_gt_u32_e32 vcc, s2, v30
	;; [unrolled: 2-line block ×3, first 2 shown]
	s_waitcnt vmcnt(0) lgkmcnt(0)
	v_cndmask_b32_e32 v16, 0, v24, vcc
	v_sub_u16_e32 v16, v6, v16
	v_perm_b32 v18, v29, v18, s3
	v_perm_b32 v20, v20, v31, s3
	;; [unrolled: 1-line block ×6, first 2 shown]
.LBB712_48:
	s_cbranch_execnz .LBB712_58
.LBB712_49:
	v_cmp_eq_u64_e32 vcc, 1, v[10:11]
	v_cmp_ne_u32_e64 s[2:3], 0, v0
	s_cbranch_vccnz .LBB712_53
; %bb.50:
	s_mov_b32 s6, 0x5040100
	v_mov_b32_e32 v10, 0
	v_mov_b32_e32 v16, v6
	ds_write_b16_d16_hi v9, v4
	s_waitcnt lgkmcnt(0)
	; wave barrier
	s_waitcnt lgkmcnt(0)
	s_and_saveexec_b64 s[4:5], s[2:3]
	s_cbranch_execz .LBB712_52
; %bb.51:
	v_add_u32_e32 v10, -2, v9
	ds_read_u16 v10, v10
	s_waitcnt lgkmcnt(0)
	v_sub_u16_e32 v16, v6, v10
	v_mov_b32_e32 v10, v0
.LBB712_52:
	s_or_b64 exec, exec, s[4:5]
	v_perm_b32 v18, v7, v6, s6
	v_alignbit_b32 v20, v5, v7, 16
	v_lshrrev_b32_e32 v17, 16, v5
	v_perm_b32 v21, v12, v8, s6
	v_alignbit_b32 v23, v13, v12, 16
	v_lshrrev_b32_e32 v15, 16, v13
	v_perm_b32 v19, v2, v1, s6
	v_alignbit_b32 v22, v3, v2, 16
	v_alignbit_b32 v14, v4, v3, 16
	s_cbranch_execz .LBB712_54
	s_branch .LBB712_57
.LBB712_53:
                                        ; implicit-def: $vgpr22
                                        ; implicit-def: $vgpr19
                                        ; implicit-def: $vgpr23
                                        ; implicit-def: $vgpr21
                                        ; implicit-def: $vgpr20
                                        ; implicit-def: $vgpr18
                                        ; implicit-def: $vgpr14
                                        ; implicit-def: $vgpr16
                                        ; implicit-def: $vgpr17
                                        ; implicit-def: $vgpr15
                                        ; implicit-def: $vgpr10
.LBB712_54:
	v_mad_u32_u24 v10, v0, 17, 16
	v_mad_u32_u24 v11, v0, 17, 15
	v_cmp_gt_u32_e32 vcc, s12, v10
	v_cndmask_b32_e32 v10, 0, v4, vcc
	v_lshrrev_b32_e32 v15, 16, v3
	v_cmp_gt_u32_e32 vcc, s12, v11
	v_cndmask_b32_e32 v11, 0, v15, vcc
	v_mad_u32_u24 v15, v0, 17, 14
	v_mad_u32_u24 v17, v0, 17, 13
	v_cmp_gt_u32_e32 vcc, s12, v15
	v_mad_u32_u24 v18, v0, 17, 11
	v_lshrrev_b32_e32 v19, 16, v2
	v_cndmask_b32_e32 v16, 0, v3, vcc
	v_cmp_gt_u32_e32 vcc, s12, v17
	v_mad_u32_u24 v17, v0, 17, 9
	v_cndmask_b32_e32 v22, 0, v19, vcc
	v_cmp_gt_u32_e32 vcc, s12, v18
	v_mad_u32_u24 v18, v0, 17, 8
	v_cmp_gt_u32_e64 s[2:3], s12, v17
	v_mad_u32_u24 v20, v0, 17, 12
	v_cndmask_b32_e64 v23, 0, v13, s[2:3]
	v_cmp_gt_u32_e64 s[2:3], s12, v18
	v_mad_u32_u24 v18, v0, 17, 4
	v_cndmask_b32_e32 v19, 0, v1, vcc
	v_cmp_gt_u32_e32 vcc, s12, v20
	v_mad_u32_u24 v20, v0, 17, 6
	v_lshrrev_b32_e32 v21, 16, v12
	v_mad_u32_u24 v27, v0, 17, 3
	v_cmp_gt_u32_e64 s[4:5], s12, v18
	v_cndmask_b32_e64 v25, 0, v21, s[2:3]
	v_cmp_gt_u32_e64 s[2:3], s12, v20
	v_mad_u32_u24 v28, v0, 17, 1
	v_lshrrev_b32_e32 v30, 16, v7
	v_cndmask_b32_e64 v20, 0, v5, s[4:5]
	v_cmp_gt_u32_e64 s[4:5], s12, v27
	v_mad_u32_u24 v29, v0, 17, 2
	v_cndmask_b32_e64 v27, 0, v30, s[4:5]
	v_cmp_gt_u32_e64 s[4:5], s12, v28
	v_mul_u32_u24_e32 v14, 17, v0
	v_mad_u32_u24 v26, v0, 17, 7
	v_cndmask_b32_e64 v18, 0, v6, s[4:5]
	v_cmp_gt_u32_e64 s[4:5], s12, v29
	v_mad_u32_u24 v15, v0, 17, 10
	v_cndmask_b32_e64 v21, 0, v8, s[2:3]
	v_cmp_gt_u32_e64 s[2:3], s12, v26
	v_mad_u32_u24 v17, v0, 17, 5
	v_cndmask_b32_e64 v28, 0, v7, s[4:5]
	v_cmp_ne_u32_e64 s[4:5], 0, v0
	v_cmp_gt_u32_e64 s[6:7], s12, v14
	s_mov_b32 s8, 0x5040100
	s_waitcnt vmcnt(0)
	v_cndmask_b32_e32 v24, 0, v2, vcc
	v_cmp_gt_u32_e32 vcc, s12, v15
	v_lshrrev_b32_e32 v15, 16, v13
	v_cndmask_b32_e64 v26, 0, v12, s[2:3]
	v_cmp_gt_u32_e64 s[2:3], s12, v17
	v_lshrrev_b32_e32 v17, 16, v5
	s_and_b64 s[6:7], s[4:5], s[6:7]
	ds_write_b16_d16_hi v9, v4
	s_waitcnt lgkmcnt(0)
	; wave barrier
	s_waitcnt lgkmcnt(0)
	s_and_saveexec_b64 s[4:5], s[6:7]
	s_cbranch_execz .LBB712_56
; %bb.55:
	v_add_u32_e32 v9, -2, v9
	ds_read_u16 v9, v9
	s_waitcnt lgkmcnt(0)
	v_sub_u16_e32 v6, v6, v9
.LBB712_56:
	s_or_b64 exec, exec, s[4:5]
	v_perm_b32 v14, v10, v11, s8
	v_cndmask_b32_e32 v15, 0, v15, vcc
	v_cndmask_b32_e64 v17, 0, v17, s[2:3]
	v_perm_b32 v18, v28, v18, s8
	v_perm_b32 v20, v20, v27, s8
	;; [unrolled: 1-line block ×6, first 2 shown]
	v_mov_b32_e32 v16, v6
	v_mov_b32_e32 v10, v0
.LBB712_57:
	v_mov_b32_e32 v0, v10
.LBB712_58:
	v_pk_sub_i16 v5, v5, v20
	v_pk_sub_i16 v6, v7, v18
	v_sub_u16_e32 v7, v8, v17
	s_mov_b32 s2, 0x5040100
	v_mul_u32_u24_e32 v0, 34, v0
	v_alignbit_b32 v8, v7, v5, 16
	v_alignbit_b32 v7, v5, v6, 16
	v_perm_b32 v6, v6, v16, s2
	s_mov_b64 s[2:3], -1
	s_and_b64 vcc, exec, s[0:1]
	v_pk_sub_i16 v11, v13, v23
	v_pk_sub_i16 v10, v12, v21
	v_sub_u16_e32 v1, v1, v15
	v_pk_sub_i16 v3, v3, v22
	v_pk_sub_i16 v2, v2, v19
	;; [unrolled: 1-line block ×3, first 2 shown]
	s_waitcnt lgkmcnt(0)
	; wave barrier
	ds_write_b96 v0, v[6:8]
	ds_write_b64 v0, v[10:11] offset:12
	ds_write_b16 v0, v1 offset:20
	ds_write_b96 v0, v[2:4] offset:22
	s_waitcnt lgkmcnt(0)
	s_cbranch_vccnz .LBB712_61
; %bb.59:
	s_andn2_b64 vcc, exec, s[2:3]
	s_cbranch_vccz .LBB712_62
.LBB712_60:
	s_endpgm
.LBB712_61:
	; wave barrier
	s_cbranch_execnz .LBB712_60
.LBB712_62:
	; wave barrier
	s_endpgm
	.section	.rodata,"a",@progbits
	.p2align	6, 0x0
	.amdhsa_kernel _ZN7rocprim17ROCPRIM_400000_NS6detail17trampoline_kernelINS0_14default_configENS1_35adjacent_difference_config_selectorILb1EsEEZNS1_24adjacent_difference_implIS3_Lb1ELb0EPsN6thrust23THRUST_200600_302600_NS16discard_iteratorINS9_11use_defaultEEENS9_5minusIsEEEE10hipError_tPvRmT2_T3_mT4_P12ihipStream_tbEUlT_E_NS1_11comp_targetILNS1_3genE4ELNS1_11target_archE910ELNS1_3gpuE8ELNS1_3repE0EEENS1_30default_config_static_selectorELNS0_4arch9wavefront6targetE1EEEvT1_
		.amdhsa_group_segment_fixed_size 2176
		.amdhsa_private_segment_fixed_size 0
		.amdhsa_kernarg_size 64
		.amdhsa_user_sgpr_count 6
		.amdhsa_user_sgpr_private_segment_buffer 1
		.amdhsa_user_sgpr_dispatch_ptr 0
		.amdhsa_user_sgpr_queue_ptr 0
		.amdhsa_user_sgpr_kernarg_segment_ptr 1
		.amdhsa_user_sgpr_dispatch_id 0
		.amdhsa_user_sgpr_flat_scratch_init 0
		.amdhsa_user_sgpr_kernarg_preload_length 0
		.amdhsa_user_sgpr_kernarg_preload_offset 0
		.amdhsa_user_sgpr_private_segment_size 0
		.amdhsa_uses_dynamic_stack 0
		.amdhsa_system_sgpr_private_segment_wavefront_offset 0
		.amdhsa_system_sgpr_workgroup_id_x 1
		.amdhsa_system_sgpr_workgroup_id_y 0
		.amdhsa_system_sgpr_workgroup_id_z 0
		.amdhsa_system_sgpr_workgroup_info 0
		.amdhsa_system_vgpr_workitem_id 0
		.amdhsa_next_free_vgpr 32
		.amdhsa_next_free_sgpr 21
		.amdhsa_accum_offset 32
		.amdhsa_reserve_vcc 1
		.amdhsa_reserve_flat_scratch 0
		.amdhsa_float_round_mode_32 0
		.amdhsa_float_round_mode_16_64 0
		.amdhsa_float_denorm_mode_32 3
		.amdhsa_float_denorm_mode_16_64 3
		.amdhsa_dx10_clamp 1
		.amdhsa_ieee_mode 1
		.amdhsa_fp16_overflow 0
		.amdhsa_tg_split 0
		.amdhsa_exception_fp_ieee_invalid_op 0
		.amdhsa_exception_fp_denorm_src 0
		.amdhsa_exception_fp_ieee_div_zero 0
		.amdhsa_exception_fp_ieee_overflow 0
		.amdhsa_exception_fp_ieee_underflow 0
		.amdhsa_exception_fp_ieee_inexact 0
		.amdhsa_exception_int_div_zero 0
	.end_amdhsa_kernel
	.section	.text._ZN7rocprim17ROCPRIM_400000_NS6detail17trampoline_kernelINS0_14default_configENS1_35adjacent_difference_config_selectorILb1EsEEZNS1_24adjacent_difference_implIS3_Lb1ELb0EPsN6thrust23THRUST_200600_302600_NS16discard_iteratorINS9_11use_defaultEEENS9_5minusIsEEEE10hipError_tPvRmT2_T3_mT4_P12ihipStream_tbEUlT_E_NS1_11comp_targetILNS1_3genE4ELNS1_11target_archE910ELNS1_3gpuE8ELNS1_3repE0EEENS1_30default_config_static_selectorELNS0_4arch9wavefront6targetE1EEEvT1_,"axG",@progbits,_ZN7rocprim17ROCPRIM_400000_NS6detail17trampoline_kernelINS0_14default_configENS1_35adjacent_difference_config_selectorILb1EsEEZNS1_24adjacent_difference_implIS3_Lb1ELb0EPsN6thrust23THRUST_200600_302600_NS16discard_iteratorINS9_11use_defaultEEENS9_5minusIsEEEE10hipError_tPvRmT2_T3_mT4_P12ihipStream_tbEUlT_E_NS1_11comp_targetILNS1_3genE4ELNS1_11target_archE910ELNS1_3gpuE8ELNS1_3repE0EEENS1_30default_config_static_selectorELNS0_4arch9wavefront6targetE1EEEvT1_,comdat
.Lfunc_end712:
	.size	_ZN7rocprim17ROCPRIM_400000_NS6detail17trampoline_kernelINS0_14default_configENS1_35adjacent_difference_config_selectorILb1EsEEZNS1_24adjacent_difference_implIS3_Lb1ELb0EPsN6thrust23THRUST_200600_302600_NS16discard_iteratorINS9_11use_defaultEEENS9_5minusIsEEEE10hipError_tPvRmT2_T3_mT4_P12ihipStream_tbEUlT_E_NS1_11comp_targetILNS1_3genE4ELNS1_11target_archE910ELNS1_3gpuE8ELNS1_3repE0EEENS1_30default_config_static_selectorELNS0_4arch9wavefront6targetE1EEEvT1_, .Lfunc_end712-_ZN7rocprim17ROCPRIM_400000_NS6detail17trampoline_kernelINS0_14default_configENS1_35adjacent_difference_config_selectorILb1EsEEZNS1_24adjacent_difference_implIS3_Lb1ELb0EPsN6thrust23THRUST_200600_302600_NS16discard_iteratorINS9_11use_defaultEEENS9_5minusIsEEEE10hipError_tPvRmT2_T3_mT4_P12ihipStream_tbEUlT_E_NS1_11comp_targetILNS1_3genE4ELNS1_11target_archE910ELNS1_3gpuE8ELNS1_3repE0EEENS1_30default_config_static_selectorELNS0_4arch9wavefront6targetE1EEEvT1_
                                        ; -- End function
	.section	.AMDGPU.csdata,"",@progbits
; Kernel info:
; codeLenInByte = 3116
; NumSgprs: 25
; NumVgprs: 32
; NumAgprs: 0
; TotalNumVgprs: 32
; ScratchSize: 0
; MemoryBound: 0
; FloatMode: 240
; IeeeMode: 1
; LDSByteSize: 2176 bytes/workgroup (compile time only)
; SGPRBlocks: 3
; VGPRBlocks: 3
; NumSGPRsForWavesPerEU: 25
; NumVGPRsForWavesPerEU: 32
; AccumOffset: 32
; Occupancy: 8
; WaveLimiterHint : 1
; COMPUTE_PGM_RSRC2:SCRATCH_EN: 0
; COMPUTE_PGM_RSRC2:USER_SGPR: 6
; COMPUTE_PGM_RSRC2:TRAP_HANDLER: 0
; COMPUTE_PGM_RSRC2:TGID_X_EN: 1
; COMPUTE_PGM_RSRC2:TGID_Y_EN: 0
; COMPUTE_PGM_RSRC2:TGID_Z_EN: 0
; COMPUTE_PGM_RSRC2:TIDIG_COMP_CNT: 0
; COMPUTE_PGM_RSRC3_GFX90A:ACCUM_OFFSET: 7
; COMPUTE_PGM_RSRC3_GFX90A:TG_SPLIT: 0
	.section	.text._ZN7rocprim17ROCPRIM_400000_NS6detail17trampoline_kernelINS0_14default_configENS1_35adjacent_difference_config_selectorILb1EsEEZNS1_24adjacent_difference_implIS3_Lb1ELb0EPsN6thrust23THRUST_200600_302600_NS16discard_iteratorINS9_11use_defaultEEENS9_5minusIsEEEE10hipError_tPvRmT2_T3_mT4_P12ihipStream_tbEUlT_E_NS1_11comp_targetILNS1_3genE3ELNS1_11target_archE908ELNS1_3gpuE7ELNS1_3repE0EEENS1_30default_config_static_selectorELNS0_4arch9wavefront6targetE1EEEvT1_,"axG",@progbits,_ZN7rocprim17ROCPRIM_400000_NS6detail17trampoline_kernelINS0_14default_configENS1_35adjacent_difference_config_selectorILb1EsEEZNS1_24adjacent_difference_implIS3_Lb1ELb0EPsN6thrust23THRUST_200600_302600_NS16discard_iteratorINS9_11use_defaultEEENS9_5minusIsEEEE10hipError_tPvRmT2_T3_mT4_P12ihipStream_tbEUlT_E_NS1_11comp_targetILNS1_3genE3ELNS1_11target_archE908ELNS1_3gpuE7ELNS1_3repE0EEENS1_30default_config_static_selectorELNS0_4arch9wavefront6targetE1EEEvT1_,comdat
	.protected	_ZN7rocprim17ROCPRIM_400000_NS6detail17trampoline_kernelINS0_14default_configENS1_35adjacent_difference_config_selectorILb1EsEEZNS1_24adjacent_difference_implIS3_Lb1ELb0EPsN6thrust23THRUST_200600_302600_NS16discard_iteratorINS9_11use_defaultEEENS9_5minusIsEEEE10hipError_tPvRmT2_T3_mT4_P12ihipStream_tbEUlT_E_NS1_11comp_targetILNS1_3genE3ELNS1_11target_archE908ELNS1_3gpuE7ELNS1_3repE0EEENS1_30default_config_static_selectorELNS0_4arch9wavefront6targetE1EEEvT1_ ; -- Begin function _ZN7rocprim17ROCPRIM_400000_NS6detail17trampoline_kernelINS0_14default_configENS1_35adjacent_difference_config_selectorILb1EsEEZNS1_24adjacent_difference_implIS3_Lb1ELb0EPsN6thrust23THRUST_200600_302600_NS16discard_iteratorINS9_11use_defaultEEENS9_5minusIsEEEE10hipError_tPvRmT2_T3_mT4_P12ihipStream_tbEUlT_E_NS1_11comp_targetILNS1_3genE3ELNS1_11target_archE908ELNS1_3gpuE7ELNS1_3repE0EEENS1_30default_config_static_selectorELNS0_4arch9wavefront6targetE1EEEvT1_
	.globl	_ZN7rocprim17ROCPRIM_400000_NS6detail17trampoline_kernelINS0_14default_configENS1_35adjacent_difference_config_selectorILb1EsEEZNS1_24adjacent_difference_implIS3_Lb1ELb0EPsN6thrust23THRUST_200600_302600_NS16discard_iteratorINS9_11use_defaultEEENS9_5minusIsEEEE10hipError_tPvRmT2_T3_mT4_P12ihipStream_tbEUlT_E_NS1_11comp_targetILNS1_3genE3ELNS1_11target_archE908ELNS1_3gpuE7ELNS1_3repE0EEENS1_30default_config_static_selectorELNS0_4arch9wavefront6targetE1EEEvT1_
	.p2align	8
	.type	_ZN7rocprim17ROCPRIM_400000_NS6detail17trampoline_kernelINS0_14default_configENS1_35adjacent_difference_config_selectorILb1EsEEZNS1_24adjacent_difference_implIS3_Lb1ELb0EPsN6thrust23THRUST_200600_302600_NS16discard_iteratorINS9_11use_defaultEEENS9_5minusIsEEEE10hipError_tPvRmT2_T3_mT4_P12ihipStream_tbEUlT_E_NS1_11comp_targetILNS1_3genE3ELNS1_11target_archE908ELNS1_3gpuE7ELNS1_3repE0EEENS1_30default_config_static_selectorELNS0_4arch9wavefront6targetE1EEEvT1_,@function
_ZN7rocprim17ROCPRIM_400000_NS6detail17trampoline_kernelINS0_14default_configENS1_35adjacent_difference_config_selectorILb1EsEEZNS1_24adjacent_difference_implIS3_Lb1ELb0EPsN6thrust23THRUST_200600_302600_NS16discard_iteratorINS9_11use_defaultEEENS9_5minusIsEEEE10hipError_tPvRmT2_T3_mT4_P12ihipStream_tbEUlT_E_NS1_11comp_targetILNS1_3genE3ELNS1_11target_archE908ELNS1_3gpuE7ELNS1_3repE0EEENS1_30default_config_static_selectorELNS0_4arch9wavefront6targetE1EEEvT1_: ; @_ZN7rocprim17ROCPRIM_400000_NS6detail17trampoline_kernelINS0_14default_configENS1_35adjacent_difference_config_selectorILb1EsEEZNS1_24adjacent_difference_implIS3_Lb1ELb0EPsN6thrust23THRUST_200600_302600_NS16discard_iteratorINS9_11use_defaultEEENS9_5minusIsEEEE10hipError_tPvRmT2_T3_mT4_P12ihipStream_tbEUlT_E_NS1_11comp_targetILNS1_3genE3ELNS1_11target_archE908ELNS1_3gpuE7ELNS1_3repE0EEENS1_30default_config_static_selectorELNS0_4arch9wavefront6targetE1EEEvT1_
; %bb.0:
	.section	.rodata,"a",@progbits
	.p2align	6, 0x0
	.amdhsa_kernel _ZN7rocprim17ROCPRIM_400000_NS6detail17trampoline_kernelINS0_14default_configENS1_35adjacent_difference_config_selectorILb1EsEEZNS1_24adjacent_difference_implIS3_Lb1ELb0EPsN6thrust23THRUST_200600_302600_NS16discard_iteratorINS9_11use_defaultEEENS9_5minusIsEEEE10hipError_tPvRmT2_T3_mT4_P12ihipStream_tbEUlT_E_NS1_11comp_targetILNS1_3genE3ELNS1_11target_archE908ELNS1_3gpuE7ELNS1_3repE0EEENS1_30default_config_static_selectorELNS0_4arch9wavefront6targetE1EEEvT1_
		.amdhsa_group_segment_fixed_size 0
		.amdhsa_private_segment_fixed_size 0
		.amdhsa_kernarg_size 64
		.amdhsa_user_sgpr_count 6
		.amdhsa_user_sgpr_private_segment_buffer 1
		.amdhsa_user_sgpr_dispatch_ptr 0
		.amdhsa_user_sgpr_queue_ptr 0
		.amdhsa_user_sgpr_kernarg_segment_ptr 1
		.amdhsa_user_sgpr_dispatch_id 0
		.amdhsa_user_sgpr_flat_scratch_init 0
		.amdhsa_user_sgpr_kernarg_preload_length 0
		.amdhsa_user_sgpr_kernarg_preload_offset 0
		.amdhsa_user_sgpr_private_segment_size 0
		.amdhsa_uses_dynamic_stack 0
		.amdhsa_system_sgpr_private_segment_wavefront_offset 0
		.amdhsa_system_sgpr_workgroup_id_x 1
		.amdhsa_system_sgpr_workgroup_id_y 0
		.amdhsa_system_sgpr_workgroup_id_z 0
		.amdhsa_system_sgpr_workgroup_info 0
		.amdhsa_system_vgpr_workitem_id 0
		.amdhsa_next_free_vgpr 1
		.amdhsa_next_free_sgpr 0
		.amdhsa_accum_offset 4
		.amdhsa_reserve_vcc 0
		.amdhsa_reserve_flat_scratch 0
		.amdhsa_float_round_mode_32 0
		.amdhsa_float_round_mode_16_64 0
		.amdhsa_float_denorm_mode_32 3
		.amdhsa_float_denorm_mode_16_64 3
		.amdhsa_dx10_clamp 1
		.amdhsa_ieee_mode 1
		.amdhsa_fp16_overflow 0
		.amdhsa_tg_split 0
		.amdhsa_exception_fp_ieee_invalid_op 0
		.amdhsa_exception_fp_denorm_src 0
		.amdhsa_exception_fp_ieee_div_zero 0
		.amdhsa_exception_fp_ieee_overflow 0
		.amdhsa_exception_fp_ieee_underflow 0
		.amdhsa_exception_fp_ieee_inexact 0
		.amdhsa_exception_int_div_zero 0
	.end_amdhsa_kernel
	.section	.text._ZN7rocprim17ROCPRIM_400000_NS6detail17trampoline_kernelINS0_14default_configENS1_35adjacent_difference_config_selectorILb1EsEEZNS1_24adjacent_difference_implIS3_Lb1ELb0EPsN6thrust23THRUST_200600_302600_NS16discard_iteratorINS9_11use_defaultEEENS9_5minusIsEEEE10hipError_tPvRmT2_T3_mT4_P12ihipStream_tbEUlT_E_NS1_11comp_targetILNS1_3genE3ELNS1_11target_archE908ELNS1_3gpuE7ELNS1_3repE0EEENS1_30default_config_static_selectorELNS0_4arch9wavefront6targetE1EEEvT1_,"axG",@progbits,_ZN7rocprim17ROCPRIM_400000_NS6detail17trampoline_kernelINS0_14default_configENS1_35adjacent_difference_config_selectorILb1EsEEZNS1_24adjacent_difference_implIS3_Lb1ELb0EPsN6thrust23THRUST_200600_302600_NS16discard_iteratorINS9_11use_defaultEEENS9_5minusIsEEEE10hipError_tPvRmT2_T3_mT4_P12ihipStream_tbEUlT_E_NS1_11comp_targetILNS1_3genE3ELNS1_11target_archE908ELNS1_3gpuE7ELNS1_3repE0EEENS1_30default_config_static_selectorELNS0_4arch9wavefront6targetE1EEEvT1_,comdat
.Lfunc_end713:
	.size	_ZN7rocprim17ROCPRIM_400000_NS6detail17trampoline_kernelINS0_14default_configENS1_35adjacent_difference_config_selectorILb1EsEEZNS1_24adjacent_difference_implIS3_Lb1ELb0EPsN6thrust23THRUST_200600_302600_NS16discard_iteratorINS9_11use_defaultEEENS9_5minusIsEEEE10hipError_tPvRmT2_T3_mT4_P12ihipStream_tbEUlT_E_NS1_11comp_targetILNS1_3genE3ELNS1_11target_archE908ELNS1_3gpuE7ELNS1_3repE0EEENS1_30default_config_static_selectorELNS0_4arch9wavefront6targetE1EEEvT1_, .Lfunc_end713-_ZN7rocprim17ROCPRIM_400000_NS6detail17trampoline_kernelINS0_14default_configENS1_35adjacent_difference_config_selectorILb1EsEEZNS1_24adjacent_difference_implIS3_Lb1ELb0EPsN6thrust23THRUST_200600_302600_NS16discard_iteratorINS9_11use_defaultEEENS9_5minusIsEEEE10hipError_tPvRmT2_T3_mT4_P12ihipStream_tbEUlT_E_NS1_11comp_targetILNS1_3genE3ELNS1_11target_archE908ELNS1_3gpuE7ELNS1_3repE0EEENS1_30default_config_static_selectorELNS0_4arch9wavefront6targetE1EEEvT1_
                                        ; -- End function
	.section	.AMDGPU.csdata,"",@progbits
; Kernel info:
; codeLenInByte = 0
; NumSgprs: 4
; NumVgprs: 0
; NumAgprs: 0
; TotalNumVgprs: 0
; ScratchSize: 0
; MemoryBound: 0
; FloatMode: 240
; IeeeMode: 1
; LDSByteSize: 0 bytes/workgroup (compile time only)
; SGPRBlocks: 0
; VGPRBlocks: 0
; NumSGPRsForWavesPerEU: 4
; NumVGPRsForWavesPerEU: 1
; AccumOffset: 4
; Occupancy: 8
; WaveLimiterHint : 0
; COMPUTE_PGM_RSRC2:SCRATCH_EN: 0
; COMPUTE_PGM_RSRC2:USER_SGPR: 6
; COMPUTE_PGM_RSRC2:TRAP_HANDLER: 0
; COMPUTE_PGM_RSRC2:TGID_X_EN: 1
; COMPUTE_PGM_RSRC2:TGID_Y_EN: 0
; COMPUTE_PGM_RSRC2:TGID_Z_EN: 0
; COMPUTE_PGM_RSRC2:TIDIG_COMP_CNT: 0
; COMPUTE_PGM_RSRC3_GFX90A:ACCUM_OFFSET: 0
; COMPUTE_PGM_RSRC3_GFX90A:TG_SPLIT: 0
	.section	.text._ZN7rocprim17ROCPRIM_400000_NS6detail17trampoline_kernelINS0_14default_configENS1_35adjacent_difference_config_selectorILb1EsEEZNS1_24adjacent_difference_implIS3_Lb1ELb0EPsN6thrust23THRUST_200600_302600_NS16discard_iteratorINS9_11use_defaultEEENS9_5minusIsEEEE10hipError_tPvRmT2_T3_mT4_P12ihipStream_tbEUlT_E_NS1_11comp_targetILNS1_3genE2ELNS1_11target_archE906ELNS1_3gpuE6ELNS1_3repE0EEENS1_30default_config_static_selectorELNS0_4arch9wavefront6targetE1EEEvT1_,"axG",@progbits,_ZN7rocprim17ROCPRIM_400000_NS6detail17trampoline_kernelINS0_14default_configENS1_35adjacent_difference_config_selectorILb1EsEEZNS1_24adjacent_difference_implIS3_Lb1ELb0EPsN6thrust23THRUST_200600_302600_NS16discard_iteratorINS9_11use_defaultEEENS9_5minusIsEEEE10hipError_tPvRmT2_T3_mT4_P12ihipStream_tbEUlT_E_NS1_11comp_targetILNS1_3genE2ELNS1_11target_archE906ELNS1_3gpuE6ELNS1_3repE0EEENS1_30default_config_static_selectorELNS0_4arch9wavefront6targetE1EEEvT1_,comdat
	.protected	_ZN7rocprim17ROCPRIM_400000_NS6detail17trampoline_kernelINS0_14default_configENS1_35adjacent_difference_config_selectorILb1EsEEZNS1_24adjacent_difference_implIS3_Lb1ELb0EPsN6thrust23THRUST_200600_302600_NS16discard_iteratorINS9_11use_defaultEEENS9_5minusIsEEEE10hipError_tPvRmT2_T3_mT4_P12ihipStream_tbEUlT_E_NS1_11comp_targetILNS1_3genE2ELNS1_11target_archE906ELNS1_3gpuE6ELNS1_3repE0EEENS1_30default_config_static_selectorELNS0_4arch9wavefront6targetE1EEEvT1_ ; -- Begin function _ZN7rocprim17ROCPRIM_400000_NS6detail17trampoline_kernelINS0_14default_configENS1_35adjacent_difference_config_selectorILb1EsEEZNS1_24adjacent_difference_implIS3_Lb1ELb0EPsN6thrust23THRUST_200600_302600_NS16discard_iteratorINS9_11use_defaultEEENS9_5minusIsEEEE10hipError_tPvRmT2_T3_mT4_P12ihipStream_tbEUlT_E_NS1_11comp_targetILNS1_3genE2ELNS1_11target_archE906ELNS1_3gpuE6ELNS1_3repE0EEENS1_30default_config_static_selectorELNS0_4arch9wavefront6targetE1EEEvT1_
	.globl	_ZN7rocprim17ROCPRIM_400000_NS6detail17trampoline_kernelINS0_14default_configENS1_35adjacent_difference_config_selectorILb1EsEEZNS1_24adjacent_difference_implIS3_Lb1ELb0EPsN6thrust23THRUST_200600_302600_NS16discard_iteratorINS9_11use_defaultEEENS9_5minusIsEEEE10hipError_tPvRmT2_T3_mT4_P12ihipStream_tbEUlT_E_NS1_11comp_targetILNS1_3genE2ELNS1_11target_archE906ELNS1_3gpuE6ELNS1_3repE0EEENS1_30default_config_static_selectorELNS0_4arch9wavefront6targetE1EEEvT1_
	.p2align	8
	.type	_ZN7rocprim17ROCPRIM_400000_NS6detail17trampoline_kernelINS0_14default_configENS1_35adjacent_difference_config_selectorILb1EsEEZNS1_24adjacent_difference_implIS3_Lb1ELb0EPsN6thrust23THRUST_200600_302600_NS16discard_iteratorINS9_11use_defaultEEENS9_5minusIsEEEE10hipError_tPvRmT2_T3_mT4_P12ihipStream_tbEUlT_E_NS1_11comp_targetILNS1_3genE2ELNS1_11target_archE906ELNS1_3gpuE6ELNS1_3repE0EEENS1_30default_config_static_selectorELNS0_4arch9wavefront6targetE1EEEvT1_,@function
_ZN7rocprim17ROCPRIM_400000_NS6detail17trampoline_kernelINS0_14default_configENS1_35adjacent_difference_config_selectorILb1EsEEZNS1_24adjacent_difference_implIS3_Lb1ELb0EPsN6thrust23THRUST_200600_302600_NS16discard_iteratorINS9_11use_defaultEEENS9_5minusIsEEEE10hipError_tPvRmT2_T3_mT4_P12ihipStream_tbEUlT_E_NS1_11comp_targetILNS1_3genE2ELNS1_11target_archE906ELNS1_3gpuE6ELNS1_3repE0EEENS1_30default_config_static_selectorELNS0_4arch9wavefront6targetE1EEEvT1_: ; @_ZN7rocprim17ROCPRIM_400000_NS6detail17trampoline_kernelINS0_14default_configENS1_35adjacent_difference_config_selectorILb1EsEEZNS1_24adjacent_difference_implIS3_Lb1ELb0EPsN6thrust23THRUST_200600_302600_NS16discard_iteratorINS9_11use_defaultEEENS9_5minusIsEEEE10hipError_tPvRmT2_T3_mT4_P12ihipStream_tbEUlT_E_NS1_11comp_targetILNS1_3genE2ELNS1_11target_archE906ELNS1_3gpuE6ELNS1_3repE0EEENS1_30default_config_static_selectorELNS0_4arch9wavefront6targetE1EEEvT1_
; %bb.0:
	.section	.rodata,"a",@progbits
	.p2align	6, 0x0
	.amdhsa_kernel _ZN7rocprim17ROCPRIM_400000_NS6detail17trampoline_kernelINS0_14default_configENS1_35adjacent_difference_config_selectorILb1EsEEZNS1_24adjacent_difference_implIS3_Lb1ELb0EPsN6thrust23THRUST_200600_302600_NS16discard_iteratorINS9_11use_defaultEEENS9_5minusIsEEEE10hipError_tPvRmT2_T3_mT4_P12ihipStream_tbEUlT_E_NS1_11comp_targetILNS1_3genE2ELNS1_11target_archE906ELNS1_3gpuE6ELNS1_3repE0EEENS1_30default_config_static_selectorELNS0_4arch9wavefront6targetE1EEEvT1_
		.amdhsa_group_segment_fixed_size 0
		.amdhsa_private_segment_fixed_size 0
		.amdhsa_kernarg_size 64
		.amdhsa_user_sgpr_count 6
		.amdhsa_user_sgpr_private_segment_buffer 1
		.amdhsa_user_sgpr_dispatch_ptr 0
		.amdhsa_user_sgpr_queue_ptr 0
		.amdhsa_user_sgpr_kernarg_segment_ptr 1
		.amdhsa_user_sgpr_dispatch_id 0
		.amdhsa_user_sgpr_flat_scratch_init 0
		.amdhsa_user_sgpr_kernarg_preload_length 0
		.amdhsa_user_sgpr_kernarg_preload_offset 0
		.amdhsa_user_sgpr_private_segment_size 0
		.amdhsa_uses_dynamic_stack 0
		.amdhsa_system_sgpr_private_segment_wavefront_offset 0
		.amdhsa_system_sgpr_workgroup_id_x 1
		.amdhsa_system_sgpr_workgroup_id_y 0
		.amdhsa_system_sgpr_workgroup_id_z 0
		.amdhsa_system_sgpr_workgroup_info 0
		.amdhsa_system_vgpr_workitem_id 0
		.amdhsa_next_free_vgpr 1
		.amdhsa_next_free_sgpr 0
		.amdhsa_accum_offset 4
		.amdhsa_reserve_vcc 0
		.amdhsa_reserve_flat_scratch 0
		.amdhsa_float_round_mode_32 0
		.amdhsa_float_round_mode_16_64 0
		.amdhsa_float_denorm_mode_32 3
		.amdhsa_float_denorm_mode_16_64 3
		.amdhsa_dx10_clamp 1
		.amdhsa_ieee_mode 1
		.amdhsa_fp16_overflow 0
		.amdhsa_tg_split 0
		.amdhsa_exception_fp_ieee_invalid_op 0
		.amdhsa_exception_fp_denorm_src 0
		.amdhsa_exception_fp_ieee_div_zero 0
		.amdhsa_exception_fp_ieee_overflow 0
		.amdhsa_exception_fp_ieee_underflow 0
		.amdhsa_exception_fp_ieee_inexact 0
		.amdhsa_exception_int_div_zero 0
	.end_amdhsa_kernel
	.section	.text._ZN7rocprim17ROCPRIM_400000_NS6detail17trampoline_kernelINS0_14default_configENS1_35adjacent_difference_config_selectorILb1EsEEZNS1_24adjacent_difference_implIS3_Lb1ELb0EPsN6thrust23THRUST_200600_302600_NS16discard_iteratorINS9_11use_defaultEEENS9_5minusIsEEEE10hipError_tPvRmT2_T3_mT4_P12ihipStream_tbEUlT_E_NS1_11comp_targetILNS1_3genE2ELNS1_11target_archE906ELNS1_3gpuE6ELNS1_3repE0EEENS1_30default_config_static_selectorELNS0_4arch9wavefront6targetE1EEEvT1_,"axG",@progbits,_ZN7rocprim17ROCPRIM_400000_NS6detail17trampoline_kernelINS0_14default_configENS1_35adjacent_difference_config_selectorILb1EsEEZNS1_24adjacent_difference_implIS3_Lb1ELb0EPsN6thrust23THRUST_200600_302600_NS16discard_iteratorINS9_11use_defaultEEENS9_5minusIsEEEE10hipError_tPvRmT2_T3_mT4_P12ihipStream_tbEUlT_E_NS1_11comp_targetILNS1_3genE2ELNS1_11target_archE906ELNS1_3gpuE6ELNS1_3repE0EEENS1_30default_config_static_selectorELNS0_4arch9wavefront6targetE1EEEvT1_,comdat
.Lfunc_end714:
	.size	_ZN7rocprim17ROCPRIM_400000_NS6detail17trampoline_kernelINS0_14default_configENS1_35adjacent_difference_config_selectorILb1EsEEZNS1_24adjacent_difference_implIS3_Lb1ELb0EPsN6thrust23THRUST_200600_302600_NS16discard_iteratorINS9_11use_defaultEEENS9_5minusIsEEEE10hipError_tPvRmT2_T3_mT4_P12ihipStream_tbEUlT_E_NS1_11comp_targetILNS1_3genE2ELNS1_11target_archE906ELNS1_3gpuE6ELNS1_3repE0EEENS1_30default_config_static_selectorELNS0_4arch9wavefront6targetE1EEEvT1_, .Lfunc_end714-_ZN7rocprim17ROCPRIM_400000_NS6detail17trampoline_kernelINS0_14default_configENS1_35adjacent_difference_config_selectorILb1EsEEZNS1_24adjacent_difference_implIS3_Lb1ELb0EPsN6thrust23THRUST_200600_302600_NS16discard_iteratorINS9_11use_defaultEEENS9_5minusIsEEEE10hipError_tPvRmT2_T3_mT4_P12ihipStream_tbEUlT_E_NS1_11comp_targetILNS1_3genE2ELNS1_11target_archE906ELNS1_3gpuE6ELNS1_3repE0EEENS1_30default_config_static_selectorELNS0_4arch9wavefront6targetE1EEEvT1_
                                        ; -- End function
	.section	.AMDGPU.csdata,"",@progbits
; Kernel info:
; codeLenInByte = 0
; NumSgprs: 4
; NumVgprs: 0
; NumAgprs: 0
; TotalNumVgprs: 0
; ScratchSize: 0
; MemoryBound: 0
; FloatMode: 240
; IeeeMode: 1
; LDSByteSize: 0 bytes/workgroup (compile time only)
; SGPRBlocks: 0
; VGPRBlocks: 0
; NumSGPRsForWavesPerEU: 4
; NumVGPRsForWavesPerEU: 1
; AccumOffset: 4
; Occupancy: 8
; WaveLimiterHint : 0
; COMPUTE_PGM_RSRC2:SCRATCH_EN: 0
; COMPUTE_PGM_RSRC2:USER_SGPR: 6
; COMPUTE_PGM_RSRC2:TRAP_HANDLER: 0
; COMPUTE_PGM_RSRC2:TGID_X_EN: 1
; COMPUTE_PGM_RSRC2:TGID_Y_EN: 0
; COMPUTE_PGM_RSRC2:TGID_Z_EN: 0
; COMPUTE_PGM_RSRC2:TIDIG_COMP_CNT: 0
; COMPUTE_PGM_RSRC3_GFX90A:ACCUM_OFFSET: 0
; COMPUTE_PGM_RSRC3_GFX90A:TG_SPLIT: 0
	.section	.text._ZN7rocprim17ROCPRIM_400000_NS6detail17trampoline_kernelINS0_14default_configENS1_35adjacent_difference_config_selectorILb1EsEEZNS1_24adjacent_difference_implIS3_Lb1ELb0EPsN6thrust23THRUST_200600_302600_NS16discard_iteratorINS9_11use_defaultEEENS9_5minusIsEEEE10hipError_tPvRmT2_T3_mT4_P12ihipStream_tbEUlT_E_NS1_11comp_targetILNS1_3genE9ELNS1_11target_archE1100ELNS1_3gpuE3ELNS1_3repE0EEENS1_30default_config_static_selectorELNS0_4arch9wavefront6targetE1EEEvT1_,"axG",@progbits,_ZN7rocprim17ROCPRIM_400000_NS6detail17trampoline_kernelINS0_14default_configENS1_35adjacent_difference_config_selectorILb1EsEEZNS1_24adjacent_difference_implIS3_Lb1ELb0EPsN6thrust23THRUST_200600_302600_NS16discard_iteratorINS9_11use_defaultEEENS9_5minusIsEEEE10hipError_tPvRmT2_T3_mT4_P12ihipStream_tbEUlT_E_NS1_11comp_targetILNS1_3genE9ELNS1_11target_archE1100ELNS1_3gpuE3ELNS1_3repE0EEENS1_30default_config_static_selectorELNS0_4arch9wavefront6targetE1EEEvT1_,comdat
	.protected	_ZN7rocprim17ROCPRIM_400000_NS6detail17trampoline_kernelINS0_14default_configENS1_35adjacent_difference_config_selectorILb1EsEEZNS1_24adjacent_difference_implIS3_Lb1ELb0EPsN6thrust23THRUST_200600_302600_NS16discard_iteratorINS9_11use_defaultEEENS9_5minusIsEEEE10hipError_tPvRmT2_T3_mT4_P12ihipStream_tbEUlT_E_NS1_11comp_targetILNS1_3genE9ELNS1_11target_archE1100ELNS1_3gpuE3ELNS1_3repE0EEENS1_30default_config_static_selectorELNS0_4arch9wavefront6targetE1EEEvT1_ ; -- Begin function _ZN7rocprim17ROCPRIM_400000_NS6detail17trampoline_kernelINS0_14default_configENS1_35adjacent_difference_config_selectorILb1EsEEZNS1_24adjacent_difference_implIS3_Lb1ELb0EPsN6thrust23THRUST_200600_302600_NS16discard_iteratorINS9_11use_defaultEEENS9_5minusIsEEEE10hipError_tPvRmT2_T3_mT4_P12ihipStream_tbEUlT_E_NS1_11comp_targetILNS1_3genE9ELNS1_11target_archE1100ELNS1_3gpuE3ELNS1_3repE0EEENS1_30default_config_static_selectorELNS0_4arch9wavefront6targetE1EEEvT1_
	.globl	_ZN7rocprim17ROCPRIM_400000_NS6detail17trampoline_kernelINS0_14default_configENS1_35adjacent_difference_config_selectorILb1EsEEZNS1_24adjacent_difference_implIS3_Lb1ELb0EPsN6thrust23THRUST_200600_302600_NS16discard_iteratorINS9_11use_defaultEEENS9_5minusIsEEEE10hipError_tPvRmT2_T3_mT4_P12ihipStream_tbEUlT_E_NS1_11comp_targetILNS1_3genE9ELNS1_11target_archE1100ELNS1_3gpuE3ELNS1_3repE0EEENS1_30default_config_static_selectorELNS0_4arch9wavefront6targetE1EEEvT1_
	.p2align	8
	.type	_ZN7rocprim17ROCPRIM_400000_NS6detail17trampoline_kernelINS0_14default_configENS1_35adjacent_difference_config_selectorILb1EsEEZNS1_24adjacent_difference_implIS3_Lb1ELb0EPsN6thrust23THRUST_200600_302600_NS16discard_iteratorINS9_11use_defaultEEENS9_5minusIsEEEE10hipError_tPvRmT2_T3_mT4_P12ihipStream_tbEUlT_E_NS1_11comp_targetILNS1_3genE9ELNS1_11target_archE1100ELNS1_3gpuE3ELNS1_3repE0EEENS1_30default_config_static_selectorELNS0_4arch9wavefront6targetE1EEEvT1_,@function
_ZN7rocprim17ROCPRIM_400000_NS6detail17trampoline_kernelINS0_14default_configENS1_35adjacent_difference_config_selectorILb1EsEEZNS1_24adjacent_difference_implIS3_Lb1ELb0EPsN6thrust23THRUST_200600_302600_NS16discard_iteratorINS9_11use_defaultEEENS9_5minusIsEEEE10hipError_tPvRmT2_T3_mT4_P12ihipStream_tbEUlT_E_NS1_11comp_targetILNS1_3genE9ELNS1_11target_archE1100ELNS1_3gpuE3ELNS1_3repE0EEENS1_30default_config_static_selectorELNS0_4arch9wavefront6targetE1EEEvT1_: ; @_ZN7rocprim17ROCPRIM_400000_NS6detail17trampoline_kernelINS0_14default_configENS1_35adjacent_difference_config_selectorILb1EsEEZNS1_24adjacent_difference_implIS3_Lb1ELb0EPsN6thrust23THRUST_200600_302600_NS16discard_iteratorINS9_11use_defaultEEENS9_5minusIsEEEE10hipError_tPvRmT2_T3_mT4_P12ihipStream_tbEUlT_E_NS1_11comp_targetILNS1_3genE9ELNS1_11target_archE1100ELNS1_3gpuE3ELNS1_3repE0EEENS1_30default_config_static_selectorELNS0_4arch9wavefront6targetE1EEEvT1_
; %bb.0:
	.section	.rodata,"a",@progbits
	.p2align	6, 0x0
	.amdhsa_kernel _ZN7rocprim17ROCPRIM_400000_NS6detail17trampoline_kernelINS0_14default_configENS1_35adjacent_difference_config_selectorILb1EsEEZNS1_24adjacent_difference_implIS3_Lb1ELb0EPsN6thrust23THRUST_200600_302600_NS16discard_iteratorINS9_11use_defaultEEENS9_5minusIsEEEE10hipError_tPvRmT2_T3_mT4_P12ihipStream_tbEUlT_E_NS1_11comp_targetILNS1_3genE9ELNS1_11target_archE1100ELNS1_3gpuE3ELNS1_3repE0EEENS1_30default_config_static_selectorELNS0_4arch9wavefront6targetE1EEEvT1_
		.amdhsa_group_segment_fixed_size 0
		.amdhsa_private_segment_fixed_size 0
		.amdhsa_kernarg_size 64
		.amdhsa_user_sgpr_count 6
		.amdhsa_user_sgpr_private_segment_buffer 1
		.amdhsa_user_sgpr_dispatch_ptr 0
		.amdhsa_user_sgpr_queue_ptr 0
		.amdhsa_user_sgpr_kernarg_segment_ptr 1
		.amdhsa_user_sgpr_dispatch_id 0
		.amdhsa_user_sgpr_flat_scratch_init 0
		.amdhsa_user_sgpr_kernarg_preload_length 0
		.amdhsa_user_sgpr_kernarg_preload_offset 0
		.amdhsa_user_sgpr_private_segment_size 0
		.amdhsa_uses_dynamic_stack 0
		.amdhsa_system_sgpr_private_segment_wavefront_offset 0
		.amdhsa_system_sgpr_workgroup_id_x 1
		.amdhsa_system_sgpr_workgroup_id_y 0
		.amdhsa_system_sgpr_workgroup_id_z 0
		.amdhsa_system_sgpr_workgroup_info 0
		.amdhsa_system_vgpr_workitem_id 0
		.amdhsa_next_free_vgpr 1
		.amdhsa_next_free_sgpr 0
		.amdhsa_accum_offset 4
		.amdhsa_reserve_vcc 0
		.amdhsa_reserve_flat_scratch 0
		.amdhsa_float_round_mode_32 0
		.amdhsa_float_round_mode_16_64 0
		.amdhsa_float_denorm_mode_32 3
		.amdhsa_float_denorm_mode_16_64 3
		.amdhsa_dx10_clamp 1
		.amdhsa_ieee_mode 1
		.amdhsa_fp16_overflow 0
		.amdhsa_tg_split 0
		.amdhsa_exception_fp_ieee_invalid_op 0
		.amdhsa_exception_fp_denorm_src 0
		.amdhsa_exception_fp_ieee_div_zero 0
		.amdhsa_exception_fp_ieee_overflow 0
		.amdhsa_exception_fp_ieee_underflow 0
		.amdhsa_exception_fp_ieee_inexact 0
		.amdhsa_exception_int_div_zero 0
	.end_amdhsa_kernel
	.section	.text._ZN7rocprim17ROCPRIM_400000_NS6detail17trampoline_kernelINS0_14default_configENS1_35adjacent_difference_config_selectorILb1EsEEZNS1_24adjacent_difference_implIS3_Lb1ELb0EPsN6thrust23THRUST_200600_302600_NS16discard_iteratorINS9_11use_defaultEEENS9_5minusIsEEEE10hipError_tPvRmT2_T3_mT4_P12ihipStream_tbEUlT_E_NS1_11comp_targetILNS1_3genE9ELNS1_11target_archE1100ELNS1_3gpuE3ELNS1_3repE0EEENS1_30default_config_static_selectorELNS0_4arch9wavefront6targetE1EEEvT1_,"axG",@progbits,_ZN7rocprim17ROCPRIM_400000_NS6detail17trampoline_kernelINS0_14default_configENS1_35adjacent_difference_config_selectorILb1EsEEZNS1_24adjacent_difference_implIS3_Lb1ELb0EPsN6thrust23THRUST_200600_302600_NS16discard_iteratorINS9_11use_defaultEEENS9_5minusIsEEEE10hipError_tPvRmT2_T3_mT4_P12ihipStream_tbEUlT_E_NS1_11comp_targetILNS1_3genE9ELNS1_11target_archE1100ELNS1_3gpuE3ELNS1_3repE0EEENS1_30default_config_static_selectorELNS0_4arch9wavefront6targetE1EEEvT1_,comdat
.Lfunc_end715:
	.size	_ZN7rocprim17ROCPRIM_400000_NS6detail17trampoline_kernelINS0_14default_configENS1_35adjacent_difference_config_selectorILb1EsEEZNS1_24adjacent_difference_implIS3_Lb1ELb0EPsN6thrust23THRUST_200600_302600_NS16discard_iteratorINS9_11use_defaultEEENS9_5minusIsEEEE10hipError_tPvRmT2_T3_mT4_P12ihipStream_tbEUlT_E_NS1_11comp_targetILNS1_3genE9ELNS1_11target_archE1100ELNS1_3gpuE3ELNS1_3repE0EEENS1_30default_config_static_selectorELNS0_4arch9wavefront6targetE1EEEvT1_, .Lfunc_end715-_ZN7rocprim17ROCPRIM_400000_NS6detail17trampoline_kernelINS0_14default_configENS1_35adjacent_difference_config_selectorILb1EsEEZNS1_24adjacent_difference_implIS3_Lb1ELb0EPsN6thrust23THRUST_200600_302600_NS16discard_iteratorINS9_11use_defaultEEENS9_5minusIsEEEE10hipError_tPvRmT2_T3_mT4_P12ihipStream_tbEUlT_E_NS1_11comp_targetILNS1_3genE9ELNS1_11target_archE1100ELNS1_3gpuE3ELNS1_3repE0EEENS1_30default_config_static_selectorELNS0_4arch9wavefront6targetE1EEEvT1_
                                        ; -- End function
	.section	.AMDGPU.csdata,"",@progbits
; Kernel info:
; codeLenInByte = 0
; NumSgprs: 4
; NumVgprs: 0
; NumAgprs: 0
; TotalNumVgprs: 0
; ScratchSize: 0
; MemoryBound: 0
; FloatMode: 240
; IeeeMode: 1
; LDSByteSize: 0 bytes/workgroup (compile time only)
; SGPRBlocks: 0
; VGPRBlocks: 0
; NumSGPRsForWavesPerEU: 4
; NumVGPRsForWavesPerEU: 1
; AccumOffset: 4
; Occupancy: 8
; WaveLimiterHint : 0
; COMPUTE_PGM_RSRC2:SCRATCH_EN: 0
; COMPUTE_PGM_RSRC2:USER_SGPR: 6
; COMPUTE_PGM_RSRC2:TRAP_HANDLER: 0
; COMPUTE_PGM_RSRC2:TGID_X_EN: 1
; COMPUTE_PGM_RSRC2:TGID_Y_EN: 0
; COMPUTE_PGM_RSRC2:TGID_Z_EN: 0
; COMPUTE_PGM_RSRC2:TIDIG_COMP_CNT: 0
; COMPUTE_PGM_RSRC3_GFX90A:ACCUM_OFFSET: 0
; COMPUTE_PGM_RSRC3_GFX90A:TG_SPLIT: 0
	.section	.text._ZN7rocprim17ROCPRIM_400000_NS6detail17trampoline_kernelINS0_14default_configENS1_35adjacent_difference_config_selectorILb1EsEEZNS1_24adjacent_difference_implIS3_Lb1ELb0EPsN6thrust23THRUST_200600_302600_NS16discard_iteratorINS9_11use_defaultEEENS9_5minusIsEEEE10hipError_tPvRmT2_T3_mT4_P12ihipStream_tbEUlT_E_NS1_11comp_targetILNS1_3genE8ELNS1_11target_archE1030ELNS1_3gpuE2ELNS1_3repE0EEENS1_30default_config_static_selectorELNS0_4arch9wavefront6targetE1EEEvT1_,"axG",@progbits,_ZN7rocprim17ROCPRIM_400000_NS6detail17trampoline_kernelINS0_14default_configENS1_35adjacent_difference_config_selectorILb1EsEEZNS1_24adjacent_difference_implIS3_Lb1ELb0EPsN6thrust23THRUST_200600_302600_NS16discard_iteratorINS9_11use_defaultEEENS9_5minusIsEEEE10hipError_tPvRmT2_T3_mT4_P12ihipStream_tbEUlT_E_NS1_11comp_targetILNS1_3genE8ELNS1_11target_archE1030ELNS1_3gpuE2ELNS1_3repE0EEENS1_30default_config_static_selectorELNS0_4arch9wavefront6targetE1EEEvT1_,comdat
	.protected	_ZN7rocprim17ROCPRIM_400000_NS6detail17trampoline_kernelINS0_14default_configENS1_35adjacent_difference_config_selectorILb1EsEEZNS1_24adjacent_difference_implIS3_Lb1ELb0EPsN6thrust23THRUST_200600_302600_NS16discard_iteratorINS9_11use_defaultEEENS9_5minusIsEEEE10hipError_tPvRmT2_T3_mT4_P12ihipStream_tbEUlT_E_NS1_11comp_targetILNS1_3genE8ELNS1_11target_archE1030ELNS1_3gpuE2ELNS1_3repE0EEENS1_30default_config_static_selectorELNS0_4arch9wavefront6targetE1EEEvT1_ ; -- Begin function _ZN7rocprim17ROCPRIM_400000_NS6detail17trampoline_kernelINS0_14default_configENS1_35adjacent_difference_config_selectorILb1EsEEZNS1_24adjacent_difference_implIS3_Lb1ELb0EPsN6thrust23THRUST_200600_302600_NS16discard_iteratorINS9_11use_defaultEEENS9_5minusIsEEEE10hipError_tPvRmT2_T3_mT4_P12ihipStream_tbEUlT_E_NS1_11comp_targetILNS1_3genE8ELNS1_11target_archE1030ELNS1_3gpuE2ELNS1_3repE0EEENS1_30default_config_static_selectorELNS0_4arch9wavefront6targetE1EEEvT1_
	.globl	_ZN7rocprim17ROCPRIM_400000_NS6detail17trampoline_kernelINS0_14default_configENS1_35adjacent_difference_config_selectorILb1EsEEZNS1_24adjacent_difference_implIS3_Lb1ELb0EPsN6thrust23THRUST_200600_302600_NS16discard_iteratorINS9_11use_defaultEEENS9_5minusIsEEEE10hipError_tPvRmT2_T3_mT4_P12ihipStream_tbEUlT_E_NS1_11comp_targetILNS1_3genE8ELNS1_11target_archE1030ELNS1_3gpuE2ELNS1_3repE0EEENS1_30default_config_static_selectorELNS0_4arch9wavefront6targetE1EEEvT1_
	.p2align	8
	.type	_ZN7rocprim17ROCPRIM_400000_NS6detail17trampoline_kernelINS0_14default_configENS1_35adjacent_difference_config_selectorILb1EsEEZNS1_24adjacent_difference_implIS3_Lb1ELb0EPsN6thrust23THRUST_200600_302600_NS16discard_iteratorINS9_11use_defaultEEENS9_5minusIsEEEE10hipError_tPvRmT2_T3_mT4_P12ihipStream_tbEUlT_E_NS1_11comp_targetILNS1_3genE8ELNS1_11target_archE1030ELNS1_3gpuE2ELNS1_3repE0EEENS1_30default_config_static_selectorELNS0_4arch9wavefront6targetE1EEEvT1_,@function
_ZN7rocprim17ROCPRIM_400000_NS6detail17trampoline_kernelINS0_14default_configENS1_35adjacent_difference_config_selectorILb1EsEEZNS1_24adjacent_difference_implIS3_Lb1ELb0EPsN6thrust23THRUST_200600_302600_NS16discard_iteratorINS9_11use_defaultEEENS9_5minusIsEEEE10hipError_tPvRmT2_T3_mT4_P12ihipStream_tbEUlT_E_NS1_11comp_targetILNS1_3genE8ELNS1_11target_archE1030ELNS1_3gpuE2ELNS1_3repE0EEENS1_30default_config_static_selectorELNS0_4arch9wavefront6targetE1EEEvT1_: ; @_ZN7rocprim17ROCPRIM_400000_NS6detail17trampoline_kernelINS0_14default_configENS1_35adjacent_difference_config_selectorILb1EsEEZNS1_24adjacent_difference_implIS3_Lb1ELb0EPsN6thrust23THRUST_200600_302600_NS16discard_iteratorINS9_11use_defaultEEENS9_5minusIsEEEE10hipError_tPvRmT2_T3_mT4_P12ihipStream_tbEUlT_E_NS1_11comp_targetILNS1_3genE8ELNS1_11target_archE1030ELNS1_3gpuE2ELNS1_3repE0EEENS1_30default_config_static_selectorELNS0_4arch9wavefront6targetE1EEEvT1_
; %bb.0:
	.section	.rodata,"a",@progbits
	.p2align	6, 0x0
	.amdhsa_kernel _ZN7rocprim17ROCPRIM_400000_NS6detail17trampoline_kernelINS0_14default_configENS1_35adjacent_difference_config_selectorILb1EsEEZNS1_24adjacent_difference_implIS3_Lb1ELb0EPsN6thrust23THRUST_200600_302600_NS16discard_iteratorINS9_11use_defaultEEENS9_5minusIsEEEE10hipError_tPvRmT2_T3_mT4_P12ihipStream_tbEUlT_E_NS1_11comp_targetILNS1_3genE8ELNS1_11target_archE1030ELNS1_3gpuE2ELNS1_3repE0EEENS1_30default_config_static_selectorELNS0_4arch9wavefront6targetE1EEEvT1_
		.amdhsa_group_segment_fixed_size 0
		.amdhsa_private_segment_fixed_size 0
		.amdhsa_kernarg_size 64
		.amdhsa_user_sgpr_count 6
		.amdhsa_user_sgpr_private_segment_buffer 1
		.amdhsa_user_sgpr_dispatch_ptr 0
		.amdhsa_user_sgpr_queue_ptr 0
		.amdhsa_user_sgpr_kernarg_segment_ptr 1
		.amdhsa_user_sgpr_dispatch_id 0
		.amdhsa_user_sgpr_flat_scratch_init 0
		.amdhsa_user_sgpr_kernarg_preload_length 0
		.amdhsa_user_sgpr_kernarg_preload_offset 0
		.amdhsa_user_sgpr_private_segment_size 0
		.amdhsa_uses_dynamic_stack 0
		.amdhsa_system_sgpr_private_segment_wavefront_offset 0
		.amdhsa_system_sgpr_workgroup_id_x 1
		.amdhsa_system_sgpr_workgroup_id_y 0
		.amdhsa_system_sgpr_workgroup_id_z 0
		.amdhsa_system_sgpr_workgroup_info 0
		.amdhsa_system_vgpr_workitem_id 0
		.amdhsa_next_free_vgpr 1
		.amdhsa_next_free_sgpr 0
		.amdhsa_accum_offset 4
		.amdhsa_reserve_vcc 0
		.amdhsa_reserve_flat_scratch 0
		.amdhsa_float_round_mode_32 0
		.amdhsa_float_round_mode_16_64 0
		.amdhsa_float_denorm_mode_32 3
		.amdhsa_float_denorm_mode_16_64 3
		.amdhsa_dx10_clamp 1
		.amdhsa_ieee_mode 1
		.amdhsa_fp16_overflow 0
		.amdhsa_tg_split 0
		.amdhsa_exception_fp_ieee_invalid_op 0
		.amdhsa_exception_fp_denorm_src 0
		.amdhsa_exception_fp_ieee_div_zero 0
		.amdhsa_exception_fp_ieee_overflow 0
		.amdhsa_exception_fp_ieee_underflow 0
		.amdhsa_exception_fp_ieee_inexact 0
		.amdhsa_exception_int_div_zero 0
	.end_amdhsa_kernel
	.section	.text._ZN7rocprim17ROCPRIM_400000_NS6detail17trampoline_kernelINS0_14default_configENS1_35adjacent_difference_config_selectorILb1EsEEZNS1_24adjacent_difference_implIS3_Lb1ELb0EPsN6thrust23THRUST_200600_302600_NS16discard_iteratorINS9_11use_defaultEEENS9_5minusIsEEEE10hipError_tPvRmT2_T3_mT4_P12ihipStream_tbEUlT_E_NS1_11comp_targetILNS1_3genE8ELNS1_11target_archE1030ELNS1_3gpuE2ELNS1_3repE0EEENS1_30default_config_static_selectorELNS0_4arch9wavefront6targetE1EEEvT1_,"axG",@progbits,_ZN7rocprim17ROCPRIM_400000_NS6detail17trampoline_kernelINS0_14default_configENS1_35adjacent_difference_config_selectorILb1EsEEZNS1_24adjacent_difference_implIS3_Lb1ELb0EPsN6thrust23THRUST_200600_302600_NS16discard_iteratorINS9_11use_defaultEEENS9_5minusIsEEEE10hipError_tPvRmT2_T3_mT4_P12ihipStream_tbEUlT_E_NS1_11comp_targetILNS1_3genE8ELNS1_11target_archE1030ELNS1_3gpuE2ELNS1_3repE0EEENS1_30default_config_static_selectorELNS0_4arch9wavefront6targetE1EEEvT1_,comdat
.Lfunc_end716:
	.size	_ZN7rocprim17ROCPRIM_400000_NS6detail17trampoline_kernelINS0_14default_configENS1_35adjacent_difference_config_selectorILb1EsEEZNS1_24adjacent_difference_implIS3_Lb1ELb0EPsN6thrust23THRUST_200600_302600_NS16discard_iteratorINS9_11use_defaultEEENS9_5minusIsEEEE10hipError_tPvRmT2_T3_mT4_P12ihipStream_tbEUlT_E_NS1_11comp_targetILNS1_3genE8ELNS1_11target_archE1030ELNS1_3gpuE2ELNS1_3repE0EEENS1_30default_config_static_selectorELNS0_4arch9wavefront6targetE1EEEvT1_, .Lfunc_end716-_ZN7rocprim17ROCPRIM_400000_NS6detail17trampoline_kernelINS0_14default_configENS1_35adjacent_difference_config_selectorILb1EsEEZNS1_24adjacent_difference_implIS3_Lb1ELb0EPsN6thrust23THRUST_200600_302600_NS16discard_iteratorINS9_11use_defaultEEENS9_5minusIsEEEE10hipError_tPvRmT2_T3_mT4_P12ihipStream_tbEUlT_E_NS1_11comp_targetILNS1_3genE8ELNS1_11target_archE1030ELNS1_3gpuE2ELNS1_3repE0EEENS1_30default_config_static_selectorELNS0_4arch9wavefront6targetE1EEEvT1_
                                        ; -- End function
	.section	.AMDGPU.csdata,"",@progbits
; Kernel info:
; codeLenInByte = 0
; NumSgprs: 4
; NumVgprs: 0
; NumAgprs: 0
; TotalNumVgprs: 0
; ScratchSize: 0
; MemoryBound: 0
; FloatMode: 240
; IeeeMode: 1
; LDSByteSize: 0 bytes/workgroup (compile time only)
; SGPRBlocks: 0
; VGPRBlocks: 0
; NumSGPRsForWavesPerEU: 4
; NumVGPRsForWavesPerEU: 1
; AccumOffset: 4
; Occupancy: 8
; WaveLimiterHint : 0
; COMPUTE_PGM_RSRC2:SCRATCH_EN: 0
; COMPUTE_PGM_RSRC2:USER_SGPR: 6
; COMPUTE_PGM_RSRC2:TRAP_HANDLER: 0
; COMPUTE_PGM_RSRC2:TGID_X_EN: 1
; COMPUTE_PGM_RSRC2:TGID_Y_EN: 0
; COMPUTE_PGM_RSRC2:TGID_Z_EN: 0
; COMPUTE_PGM_RSRC2:TIDIG_COMP_CNT: 0
; COMPUTE_PGM_RSRC3_GFX90A:ACCUM_OFFSET: 0
; COMPUTE_PGM_RSRC3_GFX90A:TG_SPLIT: 0
	.section	.text._ZN7rocprim17ROCPRIM_400000_NS6detail17trampoline_kernelINS0_14default_configENS1_25transform_config_selectorItLb0EEEZNS1_14transform_implILb0ES3_S5_NS0_18transform_iteratorINS0_17counting_iteratorImlEEZNS1_24adjacent_difference_implIS3_Lb1ELb0EPtN6thrust23THRUST_200600_302600_NS16discard_iteratorINSD_11use_defaultEEENSD_5minusItEEEE10hipError_tPvRmT2_T3_mT4_P12ihipStream_tbEUlmE_tEESB_NS0_8identityIvEEEESJ_SM_SN_mSO_SQ_bEUlT_E_NS1_11comp_targetILNS1_3genE0ELNS1_11target_archE4294967295ELNS1_3gpuE0ELNS1_3repE0EEENS1_30default_config_static_selectorELNS0_4arch9wavefront6targetE1EEEvT1_,"axG",@progbits,_ZN7rocprim17ROCPRIM_400000_NS6detail17trampoline_kernelINS0_14default_configENS1_25transform_config_selectorItLb0EEEZNS1_14transform_implILb0ES3_S5_NS0_18transform_iteratorINS0_17counting_iteratorImlEEZNS1_24adjacent_difference_implIS3_Lb1ELb0EPtN6thrust23THRUST_200600_302600_NS16discard_iteratorINSD_11use_defaultEEENSD_5minusItEEEE10hipError_tPvRmT2_T3_mT4_P12ihipStream_tbEUlmE_tEESB_NS0_8identityIvEEEESJ_SM_SN_mSO_SQ_bEUlT_E_NS1_11comp_targetILNS1_3genE0ELNS1_11target_archE4294967295ELNS1_3gpuE0ELNS1_3repE0EEENS1_30default_config_static_selectorELNS0_4arch9wavefront6targetE1EEEvT1_,comdat
	.protected	_ZN7rocprim17ROCPRIM_400000_NS6detail17trampoline_kernelINS0_14default_configENS1_25transform_config_selectorItLb0EEEZNS1_14transform_implILb0ES3_S5_NS0_18transform_iteratorINS0_17counting_iteratorImlEEZNS1_24adjacent_difference_implIS3_Lb1ELb0EPtN6thrust23THRUST_200600_302600_NS16discard_iteratorINSD_11use_defaultEEENSD_5minusItEEEE10hipError_tPvRmT2_T3_mT4_P12ihipStream_tbEUlmE_tEESB_NS0_8identityIvEEEESJ_SM_SN_mSO_SQ_bEUlT_E_NS1_11comp_targetILNS1_3genE0ELNS1_11target_archE4294967295ELNS1_3gpuE0ELNS1_3repE0EEENS1_30default_config_static_selectorELNS0_4arch9wavefront6targetE1EEEvT1_ ; -- Begin function _ZN7rocprim17ROCPRIM_400000_NS6detail17trampoline_kernelINS0_14default_configENS1_25transform_config_selectorItLb0EEEZNS1_14transform_implILb0ES3_S5_NS0_18transform_iteratorINS0_17counting_iteratorImlEEZNS1_24adjacent_difference_implIS3_Lb1ELb0EPtN6thrust23THRUST_200600_302600_NS16discard_iteratorINSD_11use_defaultEEENSD_5minusItEEEE10hipError_tPvRmT2_T3_mT4_P12ihipStream_tbEUlmE_tEESB_NS0_8identityIvEEEESJ_SM_SN_mSO_SQ_bEUlT_E_NS1_11comp_targetILNS1_3genE0ELNS1_11target_archE4294967295ELNS1_3gpuE0ELNS1_3repE0EEENS1_30default_config_static_selectorELNS0_4arch9wavefront6targetE1EEEvT1_
	.globl	_ZN7rocprim17ROCPRIM_400000_NS6detail17trampoline_kernelINS0_14default_configENS1_25transform_config_selectorItLb0EEEZNS1_14transform_implILb0ES3_S5_NS0_18transform_iteratorINS0_17counting_iteratorImlEEZNS1_24adjacent_difference_implIS3_Lb1ELb0EPtN6thrust23THRUST_200600_302600_NS16discard_iteratorINSD_11use_defaultEEENSD_5minusItEEEE10hipError_tPvRmT2_T3_mT4_P12ihipStream_tbEUlmE_tEESB_NS0_8identityIvEEEESJ_SM_SN_mSO_SQ_bEUlT_E_NS1_11comp_targetILNS1_3genE0ELNS1_11target_archE4294967295ELNS1_3gpuE0ELNS1_3repE0EEENS1_30default_config_static_selectorELNS0_4arch9wavefront6targetE1EEEvT1_
	.p2align	8
	.type	_ZN7rocprim17ROCPRIM_400000_NS6detail17trampoline_kernelINS0_14default_configENS1_25transform_config_selectorItLb0EEEZNS1_14transform_implILb0ES3_S5_NS0_18transform_iteratorINS0_17counting_iteratorImlEEZNS1_24adjacent_difference_implIS3_Lb1ELb0EPtN6thrust23THRUST_200600_302600_NS16discard_iteratorINSD_11use_defaultEEENSD_5minusItEEEE10hipError_tPvRmT2_T3_mT4_P12ihipStream_tbEUlmE_tEESB_NS0_8identityIvEEEESJ_SM_SN_mSO_SQ_bEUlT_E_NS1_11comp_targetILNS1_3genE0ELNS1_11target_archE4294967295ELNS1_3gpuE0ELNS1_3repE0EEENS1_30default_config_static_selectorELNS0_4arch9wavefront6targetE1EEEvT1_,@function
_ZN7rocprim17ROCPRIM_400000_NS6detail17trampoline_kernelINS0_14default_configENS1_25transform_config_selectorItLb0EEEZNS1_14transform_implILb0ES3_S5_NS0_18transform_iteratorINS0_17counting_iteratorImlEEZNS1_24adjacent_difference_implIS3_Lb1ELb0EPtN6thrust23THRUST_200600_302600_NS16discard_iteratorINSD_11use_defaultEEENSD_5minusItEEEE10hipError_tPvRmT2_T3_mT4_P12ihipStream_tbEUlmE_tEESB_NS0_8identityIvEEEESJ_SM_SN_mSO_SQ_bEUlT_E_NS1_11comp_targetILNS1_3genE0ELNS1_11target_archE4294967295ELNS1_3gpuE0ELNS1_3repE0EEENS1_30default_config_static_selectorELNS0_4arch9wavefront6targetE1EEEvT1_: ; @_ZN7rocprim17ROCPRIM_400000_NS6detail17trampoline_kernelINS0_14default_configENS1_25transform_config_selectorItLb0EEEZNS1_14transform_implILb0ES3_S5_NS0_18transform_iteratorINS0_17counting_iteratorImlEEZNS1_24adjacent_difference_implIS3_Lb1ELb0EPtN6thrust23THRUST_200600_302600_NS16discard_iteratorINSD_11use_defaultEEENSD_5minusItEEEE10hipError_tPvRmT2_T3_mT4_P12ihipStream_tbEUlmE_tEESB_NS0_8identityIvEEEESJ_SM_SN_mSO_SQ_bEUlT_E_NS1_11comp_targetILNS1_3genE0ELNS1_11target_archE4294967295ELNS1_3gpuE0ELNS1_3repE0EEENS1_30default_config_static_selectorELNS0_4arch9wavefront6targetE1EEEvT1_
; %bb.0:
	.section	.rodata,"a",@progbits
	.p2align	6, 0x0
	.amdhsa_kernel _ZN7rocprim17ROCPRIM_400000_NS6detail17trampoline_kernelINS0_14default_configENS1_25transform_config_selectorItLb0EEEZNS1_14transform_implILb0ES3_S5_NS0_18transform_iteratorINS0_17counting_iteratorImlEEZNS1_24adjacent_difference_implIS3_Lb1ELb0EPtN6thrust23THRUST_200600_302600_NS16discard_iteratorINSD_11use_defaultEEENSD_5minusItEEEE10hipError_tPvRmT2_T3_mT4_P12ihipStream_tbEUlmE_tEESB_NS0_8identityIvEEEESJ_SM_SN_mSO_SQ_bEUlT_E_NS1_11comp_targetILNS1_3genE0ELNS1_11target_archE4294967295ELNS1_3gpuE0ELNS1_3repE0EEENS1_30default_config_static_selectorELNS0_4arch9wavefront6targetE1EEEvT1_
		.amdhsa_group_segment_fixed_size 0
		.amdhsa_private_segment_fixed_size 0
		.amdhsa_kernarg_size 56
		.amdhsa_user_sgpr_count 6
		.amdhsa_user_sgpr_private_segment_buffer 1
		.amdhsa_user_sgpr_dispatch_ptr 0
		.amdhsa_user_sgpr_queue_ptr 0
		.amdhsa_user_sgpr_kernarg_segment_ptr 1
		.amdhsa_user_sgpr_dispatch_id 0
		.amdhsa_user_sgpr_flat_scratch_init 0
		.amdhsa_user_sgpr_kernarg_preload_length 0
		.amdhsa_user_sgpr_kernarg_preload_offset 0
		.amdhsa_user_sgpr_private_segment_size 0
		.amdhsa_uses_dynamic_stack 0
		.amdhsa_system_sgpr_private_segment_wavefront_offset 0
		.amdhsa_system_sgpr_workgroup_id_x 1
		.amdhsa_system_sgpr_workgroup_id_y 0
		.amdhsa_system_sgpr_workgroup_id_z 0
		.amdhsa_system_sgpr_workgroup_info 0
		.amdhsa_system_vgpr_workitem_id 0
		.amdhsa_next_free_vgpr 1
		.amdhsa_next_free_sgpr 0
		.amdhsa_accum_offset 4
		.amdhsa_reserve_vcc 0
		.amdhsa_reserve_flat_scratch 0
		.amdhsa_float_round_mode_32 0
		.amdhsa_float_round_mode_16_64 0
		.amdhsa_float_denorm_mode_32 3
		.amdhsa_float_denorm_mode_16_64 3
		.amdhsa_dx10_clamp 1
		.amdhsa_ieee_mode 1
		.amdhsa_fp16_overflow 0
		.amdhsa_tg_split 0
		.amdhsa_exception_fp_ieee_invalid_op 0
		.amdhsa_exception_fp_denorm_src 0
		.amdhsa_exception_fp_ieee_div_zero 0
		.amdhsa_exception_fp_ieee_overflow 0
		.amdhsa_exception_fp_ieee_underflow 0
		.amdhsa_exception_fp_ieee_inexact 0
		.amdhsa_exception_int_div_zero 0
	.end_amdhsa_kernel
	.section	.text._ZN7rocprim17ROCPRIM_400000_NS6detail17trampoline_kernelINS0_14default_configENS1_25transform_config_selectorItLb0EEEZNS1_14transform_implILb0ES3_S5_NS0_18transform_iteratorINS0_17counting_iteratorImlEEZNS1_24adjacent_difference_implIS3_Lb1ELb0EPtN6thrust23THRUST_200600_302600_NS16discard_iteratorINSD_11use_defaultEEENSD_5minusItEEEE10hipError_tPvRmT2_T3_mT4_P12ihipStream_tbEUlmE_tEESB_NS0_8identityIvEEEESJ_SM_SN_mSO_SQ_bEUlT_E_NS1_11comp_targetILNS1_3genE0ELNS1_11target_archE4294967295ELNS1_3gpuE0ELNS1_3repE0EEENS1_30default_config_static_selectorELNS0_4arch9wavefront6targetE1EEEvT1_,"axG",@progbits,_ZN7rocprim17ROCPRIM_400000_NS6detail17trampoline_kernelINS0_14default_configENS1_25transform_config_selectorItLb0EEEZNS1_14transform_implILb0ES3_S5_NS0_18transform_iteratorINS0_17counting_iteratorImlEEZNS1_24adjacent_difference_implIS3_Lb1ELb0EPtN6thrust23THRUST_200600_302600_NS16discard_iteratorINSD_11use_defaultEEENSD_5minusItEEEE10hipError_tPvRmT2_T3_mT4_P12ihipStream_tbEUlmE_tEESB_NS0_8identityIvEEEESJ_SM_SN_mSO_SQ_bEUlT_E_NS1_11comp_targetILNS1_3genE0ELNS1_11target_archE4294967295ELNS1_3gpuE0ELNS1_3repE0EEENS1_30default_config_static_selectorELNS0_4arch9wavefront6targetE1EEEvT1_,comdat
.Lfunc_end717:
	.size	_ZN7rocprim17ROCPRIM_400000_NS6detail17trampoline_kernelINS0_14default_configENS1_25transform_config_selectorItLb0EEEZNS1_14transform_implILb0ES3_S5_NS0_18transform_iteratorINS0_17counting_iteratorImlEEZNS1_24adjacent_difference_implIS3_Lb1ELb0EPtN6thrust23THRUST_200600_302600_NS16discard_iteratorINSD_11use_defaultEEENSD_5minusItEEEE10hipError_tPvRmT2_T3_mT4_P12ihipStream_tbEUlmE_tEESB_NS0_8identityIvEEEESJ_SM_SN_mSO_SQ_bEUlT_E_NS1_11comp_targetILNS1_3genE0ELNS1_11target_archE4294967295ELNS1_3gpuE0ELNS1_3repE0EEENS1_30default_config_static_selectorELNS0_4arch9wavefront6targetE1EEEvT1_, .Lfunc_end717-_ZN7rocprim17ROCPRIM_400000_NS6detail17trampoline_kernelINS0_14default_configENS1_25transform_config_selectorItLb0EEEZNS1_14transform_implILb0ES3_S5_NS0_18transform_iteratorINS0_17counting_iteratorImlEEZNS1_24adjacent_difference_implIS3_Lb1ELb0EPtN6thrust23THRUST_200600_302600_NS16discard_iteratorINSD_11use_defaultEEENSD_5minusItEEEE10hipError_tPvRmT2_T3_mT4_P12ihipStream_tbEUlmE_tEESB_NS0_8identityIvEEEESJ_SM_SN_mSO_SQ_bEUlT_E_NS1_11comp_targetILNS1_3genE0ELNS1_11target_archE4294967295ELNS1_3gpuE0ELNS1_3repE0EEENS1_30default_config_static_selectorELNS0_4arch9wavefront6targetE1EEEvT1_
                                        ; -- End function
	.section	.AMDGPU.csdata,"",@progbits
; Kernel info:
; codeLenInByte = 0
; NumSgprs: 4
; NumVgprs: 0
; NumAgprs: 0
; TotalNumVgprs: 0
; ScratchSize: 0
; MemoryBound: 0
; FloatMode: 240
; IeeeMode: 1
; LDSByteSize: 0 bytes/workgroup (compile time only)
; SGPRBlocks: 0
; VGPRBlocks: 0
; NumSGPRsForWavesPerEU: 4
; NumVGPRsForWavesPerEU: 1
; AccumOffset: 4
; Occupancy: 8
; WaveLimiterHint : 0
; COMPUTE_PGM_RSRC2:SCRATCH_EN: 0
; COMPUTE_PGM_RSRC2:USER_SGPR: 6
; COMPUTE_PGM_RSRC2:TRAP_HANDLER: 0
; COMPUTE_PGM_RSRC2:TGID_X_EN: 1
; COMPUTE_PGM_RSRC2:TGID_Y_EN: 0
; COMPUTE_PGM_RSRC2:TGID_Z_EN: 0
; COMPUTE_PGM_RSRC2:TIDIG_COMP_CNT: 0
; COMPUTE_PGM_RSRC3_GFX90A:ACCUM_OFFSET: 0
; COMPUTE_PGM_RSRC3_GFX90A:TG_SPLIT: 0
	.section	.text._ZN7rocprim17ROCPRIM_400000_NS6detail17trampoline_kernelINS0_14default_configENS1_25transform_config_selectorItLb0EEEZNS1_14transform_implILb0ES3_S5_NS0_18transform_iteratorINS0_17counting_iteratorImlEEZNS1_24adjacent_difference_implIS3_Lb1ELb0EPtN6thrust23THRUST_200600_302600_NS16discard_iteratorINSD_11use_defaultEEENSD_5minusItEEEE10hipError_tPvRmT2_T3_mT4_P12ihipStream_tbEUlmE_tEESB_NS0_8identityIvEEEESJ_SM_SN_mSO_SQ_bEUlT_E_NS1_11comp_targetILNS1_3genE5ELNS1_11target_archE942ELNS1_3gpuE9ELNS1_3repE0EEENS1_30default_config_static_selectorELNS0_4arch9wavefront6targetE1EEEvT1_,"axG",@progbits,_ZN7rocprim17ROCPRIM_400000_NS6detail17trampoline_kernelINS0_14default_configENS1_25transform_config_selectorItLb0EEEZNS1_14transform_implILb0ES3_S5_NS0_18transform_iteratorINS0_17counting_iteratorImlEEZNS1_24adjacent_difference_implIS3_Lb1ELb0EPtN6thrust23THRUST_200600_302600_NS16discard_iteratorINSD_11use_defaultEEENSD_5minusItEEEE10hipError_tPvRmT2_T3_mT4_P12ihipStream_tbEUlmE_tEESB_NS0_8identityIvEEEESJ_SM_SN_mSO_SQ_bEUlT_E_NS1_11comp_targetILNS1_3genE5ELNS1_11target_archE942ELNS1_3gpuE9ELNS1_3repE0EEENS1_30default_config_static_selectorELNS0_4arch9wavefront6targetE1EEEvT1_,comdat
	.protected	_ZN7rocprim17ROCPRIM_400000_NS6detail17trampoline_kernelINS0_14default_configENS1_25transform_config_selectorItLb0EEEZNS1_14transform_implILb0ES3_S5_NS0_18transform_iteratorINS0_17counting_iteratorImlEEZNS1_24adjacent_difference_implIS3_Lb1ELb0EPtN6thrust23THRUST_200600_302600_NS16discard_iteratorINSD_11use_defaultEEENSD_5minusItEEEE10hipError_tPvRmT2_T3_mT4_P12ihipStream_tbEUlmE_tEESB_NS0_8identityIvEEEESJ_SM_SN_mSO_SQ_bEUlT_E_NS1_11comp_targetILNS1_3genE5ELNS1_11target_archE942ELNS1_3gpuE9ELNS1_3repE0EEENS1_30default_config_static_selectorELNS0_4arch9wavefront6targetE1EEEvT1_ ; -- Begin function _ZN7rocprim17ROCPRIM_400000_NS6detail17trampoline_kernelINS0_14default_configENS1_25transform_config_selectorItLb0EEEZNS1_14transform_implILb0ES3_S5_NS0_18transform_iteratorINS0_17counting_iteratorImlEEZNS1_24adjacent_difference_implIS3_Lb1ELb0EPtN6thrust23THRUST_200600_302600_NS16discard_iteratorINSD_11use_defaultEEENSD_5minusItEEEE10hipError_tPvRmT2_T3_mT4_P12ihipStream_tbEUlmE_tEESB_NS0_8identityIvEEEESJ_SM_SN_mSO_SQ_bEUlT_E_NS1_11comp_targetILNS1_3genE5ELNS1_11target_archE942ELNS1_3gpuE9ELNS1_3repE0EEENS1_30default_config_static_selectorELNS0_4arch9wavefront6targetE1EEEvT1_
	.globl	_ZN7rocprim17ROCPRIM_400000_NS6detail17trampoline_kernelINS0_14default_configENS1_25transform_config_selectorItLb0EEEZNS1_14transform_implILb0ES3_S5_NS0_18transform_iteratorINS0_17counting_iteratorImlEEZNS1_24adjacent_difference_implIS3_Lb1ELb0EPtN6thrust23THRUST_200600_302600_NS16discard_iteratorINSD_11use_defaultEEENSD_5minusItEEEE10hipError_tPvRmT2_T3_mT4_P12ihipStream_tbEUlmE_tEESB_NS0_8identityIvEEEESJ_SM_SN_mSO_SQ_bEUlT_E_NS1_11comp_targetILNS1_3genE5ELNS1_11target_archE942ELNS1_3gpuE9ELNS1_3repE0EEENS1_30default_config_static_selectorELNS0_4arch9wavefront6targetE1EEEvT1_
	.p2align	8
	.type	_ZN7rocprim17ROCPRIM_400000_NS6detail17trampoline_kernelINS0_14default_configENS1_25transform_config_selectorItLb0EEEZNS1_14transform_implILb0ES3_S5_NS0_18transform_iteratorINS0_17counting_iteratorImlEEZNS1_24adjacent_difference_implIS3_Lb1ELb0EPtN6thrust23THRUST_200600_302600_NS16discard_iteratorINSD_11use_defaultEEENSD_5minusItEEEE10hipError_tPvRmT2_T3_mT4_P12ihipStream_tbEUlmE_tEESB_NS0_8identityIvEEEESJ_SM_SN_mSO_SQ_bEUlT_E_NS1_11comp_targetILNS1_3genE5ELNS1_11target_archE942ELNS1_3gpuE9ELNS1_3repE0EEENS1_30default_config_static_selectorELNS0_4arch9wavefront6targetE1EEEvT1_,@function
_ZN7rocprim17ROCPRIM_400000_NS6detail17trampoline_kernelINS0_14default_configENS1_25transform_config_selectorItLb0EEEZNS1_14transform_implILb0ES3_S5_NS0_18transform_iteratorINS0_17counting_iteratorImlEEZNS1_24adjacent_difference_implIS3_Lb1ELb0EPtN6thrust23THRUST_200600_302600_NS16discard_iteratorINSD_11use_defaultEEENSD_5minusItEEEE10hipError_tPvRmT2_T3_mT4_P12ihipStream_tbEUlmE_tEESB_NS0_8identityIvEEEESJ_SM_SN_mSO_SQ_bEUlT_E_NS1_11comp_targetILNS1_3genE5ELNS1_11target_archE942ELNS1_3gpuE9ELNS1_3repE0EEENS1_30default_config_static_selectorELNS0_4arch9wavefront6targetE1EEEvT1_: ; @_ZN7rocprim17ROCPRIM_400000_NS6detail17trampoline_kernelINS0_14default_configENS1_25transform_config_selectorItLb0EEEZNS1_14transform_implILb0ES3_S5_NS0_18transform_iteratorINS0_17counting_iteratorImlEEZNS1_24adjacent_difference_implIS3_Lb1ELb0EPtN6thrust23THRUST_200600_302600_NS16discard_iteratorINSD_11use_defaultEEENSD_5minusItEEEE10hipError_tPvRmT2_T3_mT4_P12ihipStream_tbEUlmE_tEESB_NS0_8identityIvEEEESJ_SM_SN_mSO_SQ_bEUlT_E_NS1_11comp_targetILNS1_3genE5ELNS1_11target_archE942ELNS1_3gpuE9ELNS1_3repE0EEENS1_30default_config_static_selectorELNS0_4arch9wavefront6targetE1EEEvT1_
; %bb.0:
	.section	.rodata,"a",@progbits
	.p2align	6, 0x0
	.amdhsa_kernel _ZN7rocprim17ROCPRIM_400000_NS6detail17trampoline_kernelINS0_14default_configENS1_25transform_config_selectorItLb0EEEZNS1_14transform_implILb0ES3_S5_NS0_18transform_iteratorINS0_17counting_iteratorImlEEZNS1_24adjacent_difference_implIS3_Lb1ELb0EPtN6thrust23THRUST_200600_302600_NS16discard_iteratorINSD_11use_defaultEEENSD_5minusItEEEE10hipError_tPvRmT2_T3_mT4_P12ihipStream_tbEUlmE_tEESB_NS0_8identityIvEEEESJ_SM_SN_mSO_SQ_bEUlT_E_NS1_11comp_targetILNS1_3genE5ELNS1_11target_archE942ELNS1_3gpuE9ELNS1_3repE0EEENS1_30default_config_static_selectorELNS0_4arch9wavefront6targetE1EEEvT1_
		.amdhsa_group_segment_fixed_size 0
		.amdhsa_private_segment_fixed_size 0
		.amdhsa_kernarg_size 56
		.amdhsa_user_sgpr_count 6
		.amdhsa_user_sgpr_private_segment_buffer 1
		.amdhsa_user_sgpr_dispatch_ptr 0
		.amdhsa_user_sgpr_queue_ptr 0
		.amdhsa_user_sgpr_kernarg_segment_ptr 1
		.amdhsa_user_sgpr_dispatch_id 0
		.amdhsa_user_sgpr_flat_scratch_init 0
		.amdhsa_user_sgpr_kernarg_preload_length 0
		.amdhsa_user_sgpr_kernarg_preload_offset 0
		.amdhsa_user_sgpr_private_segment_size 0
		.amdhsa_uses_dynamic_stack 0
		.amdhsa_system_sgpr_private_segment_wavefront_offset 0
		.amdhsa_system_sgpr_workgroup_id_x 1
		.amdhsa_system_sgpr_workgroup_id_y 0
		.amdhsa_system_sgpr_workgroup_id_z 0
		.amdhsa_system_sgpr_workgroup_info 0
		.amdhsa_system_vgpr_workitem_id 0
		.amdhsa_next_free_vgpr 1
		.amdhsa_next_free_sgpr 0
		.amdhsa_accum_offset 4
		.amdhsa_reserve_vcc 0
		.amdhsa_reserve_flat_scratch 0
		.amdhsa_float_round_mode_32 0
		.amdhsa_float_round_mode_16_64 0
		.amdhsa_float_denorm_mode_32 3
		.amdhsa_float_denorm_mode_16_64 3
		.amdhsa_dx10_clamp 1
		.amdhsa_ieee_mode 1
		.amdhsa_fp16_overflow 0
		.amdhsa_tg_split 0
		.amdhsa_exception_fp_ieee_invalid_op 0
		.amdhsa_exception_fp_denorm_src 0
		.amdhsa_exception_fp_ieee_div_zero 0
		.amdhsa_exception_fp_ieee_overflow 0
		.amdhsa_exception_fp_ieee_underflow 0
		.amdhsa_exception_fp_ieee_inexact 0
		.amdhsa_exception_int_div_zero 0
	.end_amdhsa_kernel
	.section	.text._ZN7rocprim17ROCPRIM_400000_NS6detail17trampoline_kernelINS0_14default_configENS1_25transform_config_selectorItLb0EEEZNS1_14transform_implILb0ES3_S5_NS0_18transform_iteratorINS0_17counting_iteratorImlEEZNS1_24adjacent_difference_implIS3_Lb1ELb0EPtN6thrust23THRUST_200600_302600_NS16discard_iteratorINSD_11use_defaultEEENSD_5minusItEEEE10hipError_tPvRmT2_T3_mT4_P12ihipStream_tbEUlmE_tEESB_NS0_8identityIvEEEESJ_SM_SN_mSO_SQ_bEUlT_E_NS1_11comp_targetILNS1_3genE5ELNS1_11target_archE942ELNS1_3gpuE9ELNS1_3repE0EEENS1_30default_config_static_selectorELNS0_4arch9wavefront6targetE1EEEvT1_,"axG",@progbits,_ZN7rocprim17ROCPRIM_400000_NS6detail17trampoline_kernelINS0_14default_configENS1_25transform_config_selectorItLb0EEEZNS1_14transform_implILb0ES3_S5_NS0_18transform_iteratorINS0_17counting_iteratorImlEEZNS1_24adjacent_difference_implIS3_Lb1ELb0EPtN6thrust23THRUST_200600_302600_NS16discard_iteratorINSD_11use_defaultEEENSD_5minusItEEEE10hipError_tPvRmT2_T3_mT4_P12ihipStream_tbEUlmE_tEESB_NS0_8identityIvEEEESJ_SM_SN_mSO_SQ_bEUlT_E_NS1_11comp_targetILNS1_3genE5ELNS1_11target_archE942ELNS1_3gpuE9ELNS1_3repE0EEENS1_30default_config_static_selectorELNS0_4arch9wavefront6targetE1EEEvT1_,comdat
.Lfunc_end718:
	.size	_ZN7rocprim17ROCPRIM_400000_NS6detail17trampoline_kernelINS0_14default_configENS1_25transform_config_selectorItLb0EEEZNS1_14transform_implILb0ES3_S5_NS0_18transform_iteratorINS0_17counting_iteratorImlEEZNS1_24adjacent_difference_implIS3_Lb1ELb0EPtN6thrust23THRUST_200600_302600_NS16discard_iteratorINSD_11use_defaultEEENSD_5minusItEEEE10hipError_tPvRmT2_T3_mT4_P12ihipStream_tbEUlmE_tEESB_NS0_8identityIvEEEESJ_SM_SN_mSO_SQ_bEUlT_E_NS1_11comp_targetILNS1_3genE5ELNS1_11target_archE942ELNS1_3gpuE9ELNS1_3repE0EEENS1_30default_config_static_selectorELNS0_4arch9wavefront6targetE1EEEvT1_, .Lfunc_end718-_ZN7rocprim17ROCPRIM_400000_NS6detail17trampoline_kernelINS0_14default_configENS1_25transform_config_selectorItLb0EEEZNS1_14transform_implILb0ES3_S5_NS0_18transform_iteratorINS0_17counting_iteratorImlEEZNS1_24adjacent_difference_implIS3_Lb1ELb0EPtN6thrust23THRUST_200600_302600_NS16discard_iteratorINSD_11use_defaultEEENSD_5minusItEEEE10hipError_tPvRmT2_T3_mT4_P12ihipStream_tbEUlmE_tEESB_NS0_8identityIvEEEESJ_SM_SN_mSO_SQ_bEUlT_E_NS1_11comp_targetILNS1_3genE5ELNS1_11target_archE942ELNS1_3gpuE9ELNS1_3repE0EEENS1_30default_config_static_selectorELNS0_4arch9wavefront6targetE1EEEvT1_
                                        ; -- End function
	.section	.AMDGPU.csdata,"",@progbits
; Kernel info:
; codeLenInByte = 0
; NumSgprs: 4
; NumVgprs: 0
; NumAgprs: 0
; TotalNumVgprs: 0
; ScratchSize: 0
; MemoryBound: 0
; FloatMode: 240
; IeeeMode: 1
; LDSByteSize: 0 bytes/workgroup (compile time only)
; SGPRBlocks: 0
; VGPRBlocks: 0
; NumSGPRsForWavesPerEU: 4
; NumVGPRsForWavesPerEU: 1
; AccumOffset: 4
; Occupancy: 8
; WaveLimiterHint : 0
; COMPUTE_PGM_RSRC2:SCRATCH_EN: 0
; COMPUTE_PGM_RSRC2:USER_SGPR: 6
; COMPUTE_PGM_RSRC2:TRAP_HANDLER: 0
; COMPUTE_PGM_RSRC2:TGID_X_EN: 1
; COMPUTE_PGM_RSRC2:TGID_Y_EN: 0
; COMPUTE_PGM_RSRC2:TGID_Z_EN: 0
; COMPUTE_PGM_RSRC2:TIDIG_COMP_CNT: 0
; COMPUTE_PGM_RSRC3_GFX90A:ACCUM_OFFSET: 0
; COMPUTE_PGM_RSRC3_GFX90A:TG_SPLIT: 0
	.section	.text._ZN7rocprim17ROCPRIM_400000_NS6detail17trampoline_kernelINS0_14default_configENS1_25transform_config_selectorItLb0EEEZNS1_14transform_implILb0ES3_S5_NS0_18transform_iteratorINS0_17counting_iteratorImlEEZNS1_24adjacent_difference_implIS3_Lb1ELb0EPtN6thrust23THRUST_200600_302600_NS16discard_iteratorINSD_11use_defaultEEENSD_5minusItEEEE10hipError_tPvRmT2_T3_mT4_P12ihipStream_tbEUlmE_tEESB_NS0_8identityIvEEEESJ_SM_SN_mSO_SQ_bEUlT_E_NS1_11comp_targetILNS1_3genE4ELNS1_11target_archE910ELNS1_3gpuE8ELNS1_3repE0EEENS1_30default_config_static_selectorELNS0_4arch9wavefront6targetE1EEEvT1_,"axG",@progbits,_ZN7rocprim17ROCPRIM_400000_NS6detail17trampoline_kernelINS0_14default_configENS1_25transform_config_selectorItLb0EEEZNS1_14transform_implILb0ES3_S5_NS0_18transform_iteratorINS0_17counting_iteratorImlEEZNS1_24adjacent_difference_implIS3_Lb1ELb0EPtN6thrust23THRUST_200600_302600_NS16discard_iteratorINSD_11use_defaultEEENSD_5minusItEEEE10hipError_tPvRmT2_T3_mT4_P12ihipStream_tbEUlmE_tEESB_NS0_8identityIvEEEESJ_SM_SN_mSO_SQ_bEUlT_E_NS1_11comp_targetILNS1_3genE4ELNS1_11target_archE910ELNS1_3gpuE8ELNS1_3repE0EEENS1_30default_config_static_selectorELNS0_4arch9wavefront6targetE1EEEvT1_,comdat
	.protected	_ZN7rocprim17ROCPRIM_400000_NS6detail17trampoline_kernelINS0_14default_configENS1_25transform_config_selectorItLb0EEEZNS1_14transform_implILb0ES3_S5_NS0_18transform_iteratorINS0_17counting_iteratorImlEEZNS1_24adjacent_difference_implIS3_Lb1ELb0EPtN6thrust23THRUST_200600_302600_NS16discard_iteratorINSD_11use_defaultEEENSD_5minusItEEEE10hipError_tPvRmT2_T3_mT4_P12ihipStream_tbEUlmE_tEESB_NS0_8identityIvEEEESJ_SM_SN_mSO_SQ_bEUlT_E_NS1_11comp_targetILNS1_3genE4ELNS1_11target_archE910ELNS1_3gpuE8ELNS1_3repE0EEENS1_30default_config_static_selectorELNS0_4arch9wavefront6targetE1EEEvT1_ ; -- Begin function _ZN7rocprim17ROCPRIM_400000_NS6detail17trampoline_kernelINS0_14default_configENS1_25transform_config_selectorItLb0EEEZNS1_14transform_implILb0ES3_S5_NS0_18transform_iteratorINS0_17counting_iteratorImlEEZNS1_24adjacent_difference_implIS3_Lb1ELb0EPtN6thrust23THRUST_200600_302600_NS16discard_iteratorINSD_11use_defaultEEENSD_5minusItEEEE10hipError_tPvRmT2_T3_mT4_P12ihipStream_tbEUlmE_tEESB_NS0_8identityIvEEEESJ_SM_SN_mSO_SQ_bEUlT_E_NS1_11comp_targetILNS1_3genE4ELNS1_11target_archE910ELNS1_3gpuE8ELNS1_3repE0EEENS1_30default_config_static_selectorELNS0_4arch9wavefront6targetE1EEEvT1_
	.globl	_ZN7rocprim17ROCPRIM_400000_NS6detail17trampoline_kernelINS0_14default_configENS1_25transform_config_selectorItLb0EEEZNS1_14transform_implILb0ES3_S5_NS0_18transform_iteratorINS0_17counting_iteratorImlEEZNS1_24adjacent_difference_implIS3_Lb1ELb0EPtN6thrust23THRUST_200600_302600_NS16discard_iteratorINSD_11use_defaultEEENSD_5minusItEEEE10hipError_tPvRmT2_T3_mT4_P12ihipStream_tbEUlmE_tEESB_NS0_8identityIvEEEESJ_SM_SN_mSO_SQ_bEUlT_E_NS1_11comp_targetILNS1_3genE4ELNS1_11target_archE910ELNS1_3gpuE8ELNS1_3repE0EEENS1_30default_config_static_selectorELNS0_4arch9wavefront6targetE1EEEvT1_
	.p2align	8
	.type	_ZN7rocprim17ROCPRIM_400000_NS6detail17trampoline_kernelINS0_14default_configENS1_25transform_config_selectorItLb0EEEZNS1_14transform_implILb0ES3_S5_NS0_18transform_iteratorINS0_17counting_iteratorImlEEZNS1_24adjacent_difference_implIS3_Lb1ELb0EPtN6thrust23THRUST_200600_302600_NS16discard_iteratorINSD_11use_defaultEEENSD_5minusItEEEE10hipError_tPvRmT2_T3_mT4_P12ihipStream_tbEUlmE_tEESB_NS0_8identityIvEEEESJ_SM_SN_mSO_SQ_bEUlT_E_NS1_11comp_targetILNS1_3genE4ELNS1_11target_archE910ELNS1_3gpuE8ELNS1_3repE0EEENS1_30default_config_static_selectorELNS0_4arch9wavefront6targetE1EEEvT1_,@function
_ZN7rocprim17ROCPRIM_400000_NS6detail17trampoline_kernelINS0_14default_configENS1_25transform_config_selectorItLb0EEEZNS1_14transform_implILb0ES3_S5_NS0_18transform_iteratorINS0_17counting_iteratorImlEEZNS1_24adjacent_difference_implIS3_Lb1ELb0EPtN6thrust23THRUST_200600_302600_NS16discard_iteratorINSD_11use_defaultEEENSD_5minusItEEEE10hipError_tPvRmT2_T3_mT4_P12ihipStream_tbEUlmE_tEESB_NS0_8identityIvEEEESJ_SM_SN_mSO_SQ_bEUlT_E_NS1_11comp_targetILNS1_3genE4ELNS1_11target_archE910ELNS1_3gpuE8ELNS1_3repE0EEENS1_30default_config_static_selectorELNS0_4arch9wavefront6targetE1EEEvT1_: ; @_ZN7rocprim17ROCPRIM_400000_NS6detail17trampoline_kernelINS0_14default_configENS1_25transform_config_selectorItLb0EEEZNS1_14transform_implILb0ES3_S5_NS0_18transform_iteratorINS0_17counting_iteratorImlEEZNS1_24adjacent_difference_implIS3_Lb1ELb0EPtN6thrust23THRUST_200600_302600_NS16discard_iteratorINSD_11use_defaultEEENSD_5minusItEEEE10hipError_tPvRmT2_T3_mT4_P12ihipStream_tbEUlmE_tEESB_NS0_8identityIvEEEESJ_SM_SN_mSO_SQ_bEUlT_E_NS1_11comp_targetILNS1_3genE4ELNS1_11target_archE910ELNS1_3gpuE8ELNS1_3repE0EEENS1_30default_config_static_selectorELNS0_4arch9wavefront6targetE1EEEvT1_
; %bb.0:
	s_load_dwordx4 s[0:3], s[4:5], 0x18
	s_load_dwordx2 s[8:9], s[4:5], 0x28
	s_load_dwordx4 s[16:19], s[4:5], 0x0
	s_load_dword s22, s[4:5], 0x10
	s_waitcnt lgkmcnt(0)
	s_load_dword s3, s[4:5], 0x38
                                        ; kill: killed $sgpr4_sgpr5
	s_lshl_b64 s[4:5], s[0:1], 1
	s_add_u32 s26, s8, s4
	s_addc_u32 s27, s9, s5
	s_lshl_b32 s20, s6, 9
	s_waitcnt lgkmcnt(0)
	s_add_i32 s3, s3, -1
	s_add_u32 s4, s16, s20
	s_addc_u32 s5, s17, 0
	s_add_u32 s28, s4, s0
	s_addc_u32 s29, s5, s1
	s_mov_b32 s21, 0
	s_cmp_lg_u32 s6, s3
	v_lshlrev_b32_e32 v1, 1, v0
	s_cbranch_scc0 .LBB719_2
; %bb.1:
	v_mov_b32_e32 v2, s29
	v_add_co_u32_e32 v3, vcc, s28, v0
	v_addc_co_u32_e32 v5, vcc, 0, v2, vcc
	v_mad_u64_u32 v[2:3], s[0:1], v3, s22, 0
	v_mov_b32_e32 v4, v3
	v_mad_u64_u32 v[4:5], s[0:1], v5, s22, v[4:5]
	v_mov_b32_e32 v3, v4
	v_lshlrev_b64 v[2:3], 1, v[2:3]
	s_mov_b32 s23, s21
	v_mov_b32_e32 v4, s19
	v_add_co_u32_e32 v2, vcc, s18, v2
	v_addc_co_u32_e32 v3, vcc, v4, v3, vcc
	s_lshl_b64 s[0:1], s[22:23], 7
	v_mov_b32_e32 v12, s1
	v_add_co_u32_e32 v4, vcc, s0, v2
	v_addc_co_u32_e32 v5, vcc, v3, v12, vcc
	v_add_co_u32_e32 v6, vcc, s0, v4
	v_addc_co_u32_e32 v7, vcc, v5, v12, vcc
	;; [unrolled: 2-line block ×4, first 2 shown]
	global_load_ushort v13, v[2:3], off
	global_load_ushort v14, v[4:5], off
	global_load_ushort v15, v[6:7], off
	global_load_ushort v16, v[8:9], off
	global_load_ushort v17, v[10:11], off
	v_add_co_u32_e32 v2, vcc, s0, v10
	v_addc_co_u32_e32 v3, vcc, v11, v12, vcc
	global_load_ushort v4, v[2:3], off
	v_add_co_u32_e32 v2, vcc, s0, v2
	v_addc_co_u32_e32 v3, vcc, v3, v12, vcc
	global_load_ushort v5, v[2:3], off
	;; [unrolled: 3-line block ×3, first 2 shown]
	s_lshl_b64 s[4:5], s[20:21], 1
	s_add_u32 s4, s26, s4
	s_addc_u32 s5, s27, s5
	v_mov_b32_e32 v3, s5
	v_add_co_u32_e32 v6, vcc, s4, v1
	v_addc_co_u32_e32 v7, vcc, 0, v3, vcc
	s_mov_b64 s[16:17], -1
	s_waitcnt vmcnt(7)
	global_store_short v1, v13, s[4:5]
	s_waitcnt vmcnt(7)
	global_store_short v1, v14, s[4:5] offset:128
	s_waitcnt vmcnt(7)
	global_store_short v1, v15, s[4:5] offset:256
	;; [unrolled: 2-line block ×6, first 2 shown]
	s_cbranch_execz .LBB719_3
	s_branch .LBB719_32
.LBB719_2:
	s_mov_b64 s[16:17], 0
                                        ; implicit-def: $vgpr2
                                        ; implicit-def: $vgpr6_vgpr7
.LBB719_3:
	s_sub_i32 s23, s2, s20
	v_cmp_gt_u32_e32 vcc, s23, v0
                                        ; implicit-def: $vgpr2_vgpr3_vgpr4_vgpr5
	s_and_saveexec_b64 s[2:3], vcc
	s_cbranch_execz .LBB719_5
; %bb.4:
	s_waitcnt vmcnt(7)
	v_mov_b32_e32 v2, s29
	v_add_co_u32_e64 v3, s[0:1], s28, v0
	v_addc_co_u32_e64 v5, s[0:1], 0, v2, s[0:1]
	v_mad_u64_u32 v[2:3], s[0:1], v3, s22, 0
	v_mov_b32_e32 v4, v3
	v_mad_u64_u32 v[4:5], s[0:1], v5, s22, v[4:5]
	v_mov_b32_e32 v3, v4
	v_lshlrev_b64 v[2:3], 1, v[2:3]
	v_mov_b32_e32 v4, s19
	v_add_co_u32_e64 v2, s[0:1], s18, v2
	v_addc_co_u32_e64 v3, s[0:1], v4, v3, s[0:1]
	global_load_ushort v2, v[2:3], off
.LBB719_5:
	s_or_b64 exec, exec, s[2:3]
	v_or_b32_e32 v6, 64, v0
	v_cmp_gt_u32_e64 s[0:1], s23, v6
	s_and_saveexec_b64 s[4:5], s[0:1]
	s_cbranch_execz .LBB719_7
; %bb.6:
	v_mov_b32_e32 v7, s29
	v_add_co_u32_e64 v6, s[2:3], s28, v6
	v_addc_co_u32_e64 v9, s[2:3], 0, v7, s[2:3]
	v_mad_u64_u32 v[6:7], s[2:3], v6, s22, 0
	v_mov_b32_e32 v8, v7
	v_mad_u64_u32 v[8:9], s[2:3], v9, s22, v[8:9]
	v_mov_b32_e32 v7, v8
	v_lshlrev_b64 v[6:7], 1, v[6:7]
	v_mov_b32_e32 v8, s19
	v_add_co_u32_e64 v6, s[2:3], s18, v6
	v_addc_co_u32_e64 v7, s[2:3], v8, v7, s[2:3]
	global_load_ushort v6, v[6:7], off
	s_mov_b32 s2, 0x5040100
	s_waitcnt vmcnt(0)
	v_perm_b32 v2, v6, v2, s2
.LBB719_7:
	s_or_b64 exec, exec, s[4:5]
	v_or_b32_e32 v6, 0x80, v0
	v_cmp_gt_u32_e64 s[2:3], s23, v6
	s_and_saveexec_b64 s[6:7], s[2:3]
	s_cbranch_execz .LBB719_9
; %bb.8:
	v_mov_b32_e32 v7, s29
	v_add_co_u32_e64 v6, s[4:5], s28, v6
	v_addc_co_u32_e64 v9, s[4:5], 0, v7, s[4:5]
	v_mad_u64_u32 v[6:7], s[4:5], v6, s22, 0
	v_mov_b32_e32 v8, v7
	v_mad_u64_u32 v[8:9], s[4:5], v9, s22, v[8:9]
	v_mov_b32_e32 v7, v8
	v_lshlrev_b64 v[6:7], 1, v[6:7]
	v_mov_b32_e32 v8, s19
	v_add_co_u32_e64 v6, s[4:5], s18, v6
	v_addc_co_u32_e64 v7, s[4:5], v8, v7, s[4:5]
	global_load_ushort v6, v[6:7], off
	s_mov_b32 s4, 0xffff
	s_waitcnt vmcnt(0)
	v_bfi_b32 v3, s4, v6, v3
.LBB719_9:
	s_or_b64 exec, exec, s[6:7]
	v_or_b32_e32 v6, 0xc0, v0
	v_cmp_gt_u32_e64 s[4:5], s23, v6
	s_and_saveexec_b64 s[8:9], s[4:5]
	s_cbranch_execz .LBB719_11
; %bb.10:
	v_mov_b32_e32 v7, s29
	v_add_co_u32_e64 v6, s[6:7], s28, v6
	v_addc_co_u32_e64 v9, s[6:7], 0, v7, s[6:7]
	v_mad_u64_u32 v[6:7], s[6:7], v6, s22, 0
	v_mov_b32_e32 v8, v7
	v_mad_u64_u32 v[8:9], s[6:7], v9, s22, v[8:9]
	v_mov_b32_e32 v7, v8
	v_lshlrev_b64 v[6:7], 1, v[6:7]
	v_mov_b32_e32 v8, s19
	v_add_co_u32_e64 v6, s[6:7], s18, v6
	v_addc_co_u32_e64 v7, s[6:7], v8, v7, s[6:7]
	global_load_ushort v6, v[6:7], off
	s_mov_b32 s6, 0x5040100
	s_waitcnt vmcnt(0)
	v_perm_b32 v3, v6, v3, s6
.LBB719_11:
	s_or_b64 exec, exec, s[8:9]
	v_or_b32_e32 v6, 0x100, v0
	v_cmp_gt_u32_e64 s[6:7], s23, v6
	s_and_saveexec_b64 s[10:11], s[6:7]
	s_cbranch_execz .LBB719_13
; %bb.12:
	v_mov_b32_e32 v7, s29
	v_add_co_u32_e64 v6, s[8:9], s28, v6
	v_addc_co_u32_e64 v9, s[8:9], 0, v7, s[8:9]
	v_mad_u64_u32 v[6:7], s[8:9], v6, s22, 0
	v_mov_b32_e32 v8, v7
	v_mad_u64_u32 v[8:9], s[8:9], v9, s22, v[8:9]
	v_mov_b32_e32 v7, v8
	v_lshlrev_b64 v[6:7], 1, v[6:7]
	v_mov_b32_e32 v8, s19
	v_add_co_u32_e64 v6, s[8:9], s18, v6
	v_addc_co_u32_e64 v7, s[8:9], v8, v7, s[8:9]
	global_load_ushort v6, v[6:7], off
	s_mov_b32 s8, 0xffff
	s_waitcnt vmcnt(0)
	v_bfi_b32 v4, s8, v6, v4
.LBB719_13:
	;; [unrolled: 44-line block ×3, first 2 shown]
	s_or_b64 exec, exec, s[14:15]
	v_or_b32_e32 v0, 0x1c0, v0
	v_cmp_gt_u32_e64 s[12:13], s23, v0
	s_and_saveexec_b64 s[24:25], s[12:13]
	s_cbranch_execz .LBB719_19
; %bb.18:
	v_mov_b32_e32 v6, s29
	v_add_co_u32_e64 v0, s[14:15], s28, v0
	v_addc_co_u32_e64 v8, s[14:15], 0, v6, s[14:15]
	v_mad_u64_u32 v[6:7], s[14:15], v0, s22, 0
	v_mov_b32_e32 v0, v7
	v_mad_u64_u32 v[8:9], s[14:15], v8, s22, v[0:1]
	v_mov_b32_e32 v7, v8
	v_lshlrev_b64 v[6:7], 1, v[6:7]
	v_mov_b32_e32 v0, s19
	v_add_co_u32_e64 v6, s[14:15], s18, v6
	v_addc_co_u32_e64 v7, s[14:15], v0, v7, s[14:15]
	global_load_ushort v0, v[6:7], off
	s_mov_b32 s14, 0x5040100
	s_waitcnt vmcnt(0)
	v_perm_b32 v5, v0, v5, s14
.LBB719_19:
	s_or_b64 exec, exec, s[24:25]
	s_lshl_b64 s[14:15], s[20:21], 1
	s_add_u32 s14, s26, s14
	s_addc_u32 s15, s27, s15
	v_mov_b32_e32 v0, s15
	v_add_co_u32_e64 v6, s[14:15], s14, v1
	v_addc_co_u32_e64 v7, s[14:15], 0, v0, s[14:15]
	s_and_saveexec_b64 s[14:15], vcc
	s_cbranch_execnz .LBB719_35
; %bb.20:
	s_or_b64 exec, exec, s[14:15]
	s_and_saveexec_b64 s[14:15], s[0:1]
	s_cbranch_execnz .LBB719_36
.LBB719_21:
	s_or_b64 exec, exec, s[14:15]
	s_mov_b32 s14, 0xffff
	s_and_saveexec_b64 s[0:1], s[2:3]
	s_cbranch_execz .LBB719_23
.LBB719_22:
	global_store_short v[6:7], v3, off offset:256
.LBB719_23:
	s_or_b64 exec, exec, s[0:1]
	v_bfi_b32 v0, s14, v3, v3
	v_cndmask_b32_e64 v0, v0, v3, s[4:5]
	s_and_saveexec_b64 s[0:1], s[4:5]
	s_cbranch_execz .LBB719_25
; %bb.24:
	global_store_short_d16_hi v[6:7], v0, off offset:384
.LBB719_25:
	s_or_b64 exec, exec, s[0:1]
	s_mov_b32 s2, 0xffff
	v_cndmask_b32_e64 v0, v4, v4, s[6:7]
	s_and_saveexec_b64 s[0:1], s[6:7]
	s_cbranch_execz .LBB719_27
; %bb.26:
	global_store_short v[6:7], v0, off offset:512
.LBB719_27:
	s_or_b64 exec, exec, s[0:1]
	v_bfi_b32 v0, s2, v0, v4
	v_cndmask_b32_e64 v0, v0, v4, s[8:9]
	s_and_saveexec_b64 s[0:1], s[8:9]
	s_cbranch_execnz .LBB719_37
; %bb.28:
	s_or_b64 exec, exec, s[0:1]
	s_and_saveexec_b64 s[0:1], s[10:11]
	s_cbranch_execnz .LBB719_38
.LBB719_29:
	s_or_b64 exec, exec, s[0:1]
                                        ; implicit-def: $vgpr2
	s_and_saveexec_b64 s[0:1], s[12:13]
	s_cbranch_execz .LBB719_31
.LBB719_30:
	v_cndmask_b32_e64 v0, v5, v5, s[12:13]
	s_waitcnt vmcnt(0)
	v_lshrrev_b32_e32 v2, 16, v0
	s_or_b64 s[16:17], s[16:17], exec
.LBB719_31:
	s_or_b64 exec, exec, s[0:1]
.LBB719_32:
	s_and_saveexec_b64 s[0:1], s[16:17]
	s_cbranch_execnz .LBB719_34
; %bb.33:
	s_endpgm
.LBB719_34:
	s_waitcnt vmcnt(0)
	global_store_short v[6:7], v2, off offset:896
	s_endpgm
.LBB719_35:
	s_waitcnt vmcnt(0)
	global_store_short v[6:7], v2, off
	s_or_b64 exec, exec, s[14:15]
	s_and_saveexec_b64 s[14:15], s[0:1]
	s_cbranch_execz .LBB719_21
.LBB719_36:
	s_waitcnt vmcnt(0)
	global_store_short_d16_hi v[6:7], v2, off offset:128
	s_or_b64 exec, exec, s[14:15]
	s_mov_b32 s14, 0xffff
	s_and_saveexec_b64 s[0:1], s[2:3]
	s_cbranch_execnz .LBB719_22
	s_branch .LBB719_23
.LBB719_37:
	global_store_short_d16_hi v[6:7], v0, off offset:640
	s_or_b64 exec, exec, s[0:1]
	s_and_saveexec_b64 s[0:1], s[10:11]
	s_cbranch_execz .LBB719_29
.LBB719_38:
	v_cndmask_b32_e64 v0, v5, v5, s[10:11]
	global_store_short v[6:7], v0, off offset:768
	s_or_b64 exec, exec, s[0:1]
                                        ; implicit-def: $vgpr2
	s_and_saveexec_b64 s[0:1], s[12:13]
	s_cbranch_execnz .LBB719_30
	s_branch .LBB719_31
	.section	.rodata,"a",@progbits
	.p2align	6, 0x0
	.amdhsa_kernel _ZN7rocprim17ROCPRIM_400000_NS6detail17trampoline_kernelINS0_14default_configENS1_25transform_config_selectorItLb0EEEZNS1_14transform_implILb0ES3_S5_NS0_18transform_iteratorINS0_17counting_iteratorImlEEZNS1_24adjacent_difference_implIS3_Lb1ELb0EPtN6thrust23THRUST_200600_302600_NS16discard_iteratorINSD_11use_defaultEEENSD_5minusItEEEE10hipError_tPvRmT2_T3_mT4_P12ihipStream_tbEUlmE_tEESB_NS0_8identityIvEEEESJ_SM_SN_mSO_SQ_bEUlT_E_NS1_11comp_targetILNS1_3genE4ELNS1_11target_archE910ELNS1_3gpuE8ELNS1_3repE0EEENS1_30default_config_static_selectorELNS0_4arch9wavefront6targetE1EEEvT1_
		.amdhsa_group_segment_fixed_size 0
		.amdhsa_private_segment_fixed_size 0
		.amdhsa_kernarg_size 312
		.amdhsa_user_sgpr_count 6
		.amdhsa_user_sgpr_private_segment_buffer 1
		.amdhsa_user_sgpr_dispatch_ptr 0
		.amdhsa_user_sgpr_queue_ptr 0
		.amdhsa_user_sgpr_kernarg_segment_ptr 1
		.amdhsa_user_sgpr_dispatch_id 0
		.amdhsa_user_sgpr_flat_scratch_init 0
		.amdhsa_user_sgpr_kernarg_preload_length 0
		.amdhsa_user_sgpr_kernarg_preload_offset 0
		.amdhsa_user_sgpr_private_segment_size 0
		.amdhsa_uses_dynamic_stack 0
		.amdhsa_system_sgpr_private_segment_wavefront_offset 0
		.amdhsa_system_sgpr_workgroup_id_x 1
		.amdhsa_system_sgpr_workgroup_id_y 0
		.amdhsa_system_sgpr_workgroup_id_z 0
		.amdhsa_system_sgpr_workgroup_info 0
		.amdhsa_system_vgpr_workitem_id 0
		.amdhsa_next_free_vgpr 18
		.amdhsa_next_free_sgpr 30
		.amdhsa_accum_offset 20
		.amdhsa_reserve_vcc 1
		.amdhsa_reserve_flat_scratch 0
		.amdhsa_float_round_mode_32 0
		.amdhsa_float_round_mode_16_64 0
		.amdhsa_float_denorm_mode_32 3
		.amdhsa_float_denorm_mode_16_64 3
		.amdhsa_dx10_clamp 1
		.amdhsa_ieee_mode 1
		.amdhsa_fp16_overflow 0
		.amdhsa_tg_split 0
		.amdhsa_exception_fp_ieee_invalid_op 0
		.amdhsa_exception_fp_denorm_src 0
		.amdhsa_exception_fp_ieee_div_zero 0
		.amdhsa_exception_fp_ieee_overflow 0
		.amdhsa_exception_fp_ieee_underflow 0
		.amdhsa_exception_fp_ieee_inexact 0
		.amdhsa_exception_int_div_zero 0
	.end_amdhsa_kernel
	.section	.text._ZN7rocprim17ROCPRIM_400000_NS6detail17trampoline_kernelINS0_14default_configENS1_25transform_config_selectorItLb0EEEZNS1_14transform_implILb0ES3_S5_NS0_18transform_iteratorINS0_17counting_iteratorImlEEZNS1_24adjacent_difference_implIS3_Lb1ELb0EPtN6thrust23THRUST_200600_302600_NS16discard_iteratorINSD_11use_defaultEEENSD_5minusItEEEE10hipError_tPvRmT2_T3_mT4_P12ihipStream_tbEUlmE_tEESB_NS0_8identityIvEEEESJ_SM_SN_mSO_SQ_bEUlT_E_NS1_11comp_targetILNS1_3genE4ELNS1_11target_archE910ELNS1_3gpuE8ELNS1_3repE0EEENS1_30default_config_static_selectorELNS0_4arch9wavefront6targetE1EEEvT1_,"axG",@progbits,_ZN7rocprim17ROCPRIM_400000_NS6detail17trampoline_kernelINS0_14default_configENS1_25transform_config_selectorItLb0EEEZNS1_14transform_implILb0ES3_S5_NS0_18transform_iteratorINS0_17counting_iteratorImlEEZNS1_24adjacent_difference_implIS3_Lb1ELb0EPtN6thrust23THRUST_200600_302600_NS16discard_iteratorINSD_11use_defaultEEENSD_5minusItEEEE10hipError_tPvRmT2_T3_mT4_P12ihipStream_tbEUlmE_tEESB_NS0_8identityIvEEEESJ_SM_SN_mSO_SQ_bEUlT_E_NS1_11comp_targetILNS1_3genE4ELNS1_11target_archE910ELNS1_3gpuE8ELNS1_3repE0EEENS1_30default_config_static_selectorELNS0_4arch9wavefront6targetE1EEEvT1_,comdat
.Lfunc_end719:
	.size	_ZN7rocprim17ROCPRIM_400000_NS6detail17trampoline_kernelINS0_14default_configENS1_25transform_config_selectorItLb0EEEZNS1_14transform_implILb0ES3_S5_NS0_18transform_iteratorINS0_17counting_iteratorImlEEZNS1_24adjacent_difference_implIS3_Lb1ELb0EPtN6thrust23THRUST_200600_302600_NS16discard_iteratorINSD_11use_defaultEEENSD_5minusItEEEE10hipError_tPvRmT2_T3_mT4_P12ihipStream_tbEUlmE_tEESB_NS0_8identityIvEEEESJ_SM_SN_mSO_SQ_bEUlT_E_NS1_11comp_targetILNS1_3genE4ELNS1_11target_archE910ELNS1_3gpuE8ELNS1_3repE0EEENS1_30default_config_static_selectorELNS0_4arch9wavefront6targetE1EEEvT1_, .Lfunc_end719-_ZN7rocprim17ROCPRIM_400000_NS6detail17trampoline_kernelINS0_14default_configENS1_25transform_config_selectorItLb0EEEZNS1_14transform_implILb0ES3_S5_NS0_18transform_iteratorINS0_17counting_iteratorImlEEZNS1_24adjacent_difference_implIS3_Lb1ELb0EPtN6thrust23THRUST_200600_302600_NS16discard_iteratorINSD_11use_defaultEEENSD_5minusItEEEE10hipError_tPvRmT2_T3_mT4_P12ihipStream_tbEUlmE_tEESB_NS0_8identityIvEEEESJ_SM_SN_mSO_SQ_bEUlT_E_NS1_11comp_targetILNS1_3genE4ELNS1_11target_archE910ELNS1_3gpuE8ELNS1_3repE0EEENS1_30default_config_static_selectorELNS0_4arch9wavefront6targetE1EEEvT1_
                                        ; -- End function
	.section	.AMDGPU.csdata,"",@progbits
; Kernel info:
; codeLenInByte = 1776
; NumSgprs: 34
; NumVgprs: 18
; NumAgprs: 0
; TotalNumVgprs: 18
; ScratchSize: 0
; MemoryBound: 0
; FloatMode: 240
; IeeeMode: 1
; LDSByteSize: 0 bytes/workgroup (compile time only)
; SGPRBlocks: 4
; VGPRBlocks: 2
; NumSGPRsForWavesPerEU: 34
; NumVGPRsForWavesPerEU: 18
; AccumOffset: 20
; Occupancy: 8
; WaveLimiterHint : 1
; COMPUTE_PGM_RSRC2:SCRATCH_EN: 0
; COMPUTE_PGM_RSRC2:USER_SGPR: 6
; COMPUTE_PGM_RSRC2:TRAP_HANDLER: 0
; COMPUTE_PGM_RSRC2:TGID_X_EN: 1
; COMPUTE_PGM_RSRC2:TGID_Y_EN: 0
; COMPUTE_PGM_RSRC2:TGID_Z_EN: 0
; COMPUTE_PGM_RSRC2:TIDIG_COMP_CNT: 0
; COMPUTE_PGM_RSRC3_GFX90A:ACCUM_OFFSET: 4
; COMPUTE_PGM_RSRC3_GFX90A:TG_SPLIT: 0
	.section	.text._ZN7rocprim17ROCPRIM_400000_NS6detail17trampoline_kernelINS0_14default_configENS1_25transform_config_selectorItLb0EEEZNS1_14transform_implILb0ES3_S5_NS0_18transform_iteratorINS0_17counting_iteratorImlEEZNS1_24adjacent_difference_implIS3_Lb1ELb0EPtN6thrust23THRUST_200600_302600_NS16discard_iteratorINSD_11use_defaultEEENSD_5minusItEEEE10hipError_tPvRmT2_T3_mT4_P12ihipStream_tbEUlmE_tEESB_NS0_8identityIvEEEESJ_SM_SN_mSO_SQ_bEUlT_E_NS1_11comp_targetILNS1_3genE3ELNS1_11target_archE908ELNS1_3gpuE7ELNS1_3repE0EEENS1_30default_config_static_selectorELNS0_4arch9wavefront6targetE1EEEvT1_,"axG",@progbits,_ZN7rocprim17ROCPRIM_400000_NS6detail17trampoline_kernelINS0_14default_configENS1_25transform_config_selectorItLb0EEEZNS1_14transform_implILb0ES3_S5_NS0_18transform_iteratorINS0_17counting_iteratorImlEEZNS1_24adjacent_difference_implIS3_Lb1ELb0EPtN6thrust23THRUST_200600_302600_NS16discard_iteratorINSD_11use_defaultEEENSD_5minusItEEEE10hipError_tPvRmT2_T3_mT4_P12ihipStream_tbEUlmE_tEESB_NS0_8identityIvEEEESJ_SM_SN_mSO_SQ_bEUlT_E_NS1_11comp_targetILNS1_3genE3ELNS1_11target_archE908ELNS1_3gpuE7ELNS1_3repE0EEENS1_30default_config_static_selectorELNS0_4arch9wavefront6targetE1EEEvT1_,comdat
	.protected	_ZN7rocprim17ROCPRIM_400000_NS6detail17trampoline_kernelINS0_14default_configENS1_25transform_config_selectorItLb0EEEZNS1_14transform_implILb0ES3_S5_NS0_18transform_iteratorINS0_17counting_iteratorImlEEZNS1_24adjacent_difference_implIS3_Lb1ELb0EPtN6thrust23THRUST_200600_302600_NS16discard_iteratorINSD_11use_defaultEEENSD_5minusItEEEE10hipError_tPvRmT2_T3_mT4_P12ihipStream_tbEUlmE_tEESB_NS0_8identityIvEEEESJ_SM_SN_mSO_SQ_bEUlT_E_NS1_11comp_targetILNS1_3genE3ELNS1_11target_archE908ELNS1_3gpuE7ELNS1_3repE0EEENS1_30default_config_static_selectorELNS0_4arch9wavefront6targetE1EEEvT1_ ; -- Begin function _ZN7rocprim17ROCPRIM_400000_NS6detail17trampoline_kernelINS0_14default_configENS1_25transform_config_selectorItLb0EEEZNS1_14transform_implILb0ES3_S5_NS0_18transform_iteratorINS0_17counting_iteratorImlEEZNS1_24adjacent_difference_implIS3_Lb1ELb0EPtN6thrust23THRUST_200600_302600_NS16discard_iteratorINSD_11use_defaultEEENSD_5minusItEEEE10hipError_tPvRmT2_T3_mT4_P12ihipStream_tbEUlmE_tEESB_NS0_8identityIvEEEESJ_SM_SN_mSO_SQ_bEUlT_E_NS1_11comp_targetILNS1_3genE3ELNS1_11target_archE908ELNS1_3gpuE7ELNS1_3repE0EEENS1_30default_config_static_selectorELNS0_4arch9wavefront6targetE1EEEvT1_
	.globl	_ZN7rocprim17ROCPRIM_400000_NS6detail17trampoline_kernelINS0_14default_configENS1_25transform_config_selectorItLb0EEEZNS1_14transform_implILb0ES3_S5_NS0_18transform_iteratorINS0_17counting_iteratorImlEEZNS1_24adjacent_difference_implIS3_Lb1ELb0EPtN6thrust23THRUST_200600_302600_NS16discard_iteratorINSD_11use_defaultEEENSD_5minusItEEEE10hipError_tPvRmT2_T3_mT4_P12ihipStream_tbEUlmE_tEESB_NS0_8identityIvEEEESJ_SM_SN_mSO_SQ_bEUlT_E_NS1_11comp_targetILNS1_3genE3ELNS1_11target_archE908ELNS1_3gpuE7ELNS1_3repE0EEENS1_30default_config_static_selectorELNS0_4arch9wavefront6targetE1EEEvT1_
	.p2align	8
	.type	_ZN7rocprim17ROCPRIM_400000_NS6detail17trampoline_kernelINS0_14default_configENS1_25transform_config_selectorItLb0EEEZNS1_14transform_implILb0ES3_S5_NS0_18transform_iteratorINS0_17counting_iteratorImlEEZNS1_24adjacent_difference_implIS3_Lb1ELb0EPtN6thrust23THRUST_200600_302600_NS16discard_iteratorINSD_11use_defaultEEENSD_5minusItEEEE10hipError_tPvRmT2_T3_mT4_P12ihipStream_tbEUlmE_tEESB_NS0_8identityIvEEEESJ_SM_SN_mSO_SQ_bEUlT_E_NS1_11comp_targetILNS1_3genE3ELNS1_11target_archE908ELNS1_3gpuE7ELNS1_3repE0EEENS1_30default_config_static_selectorELNS0_4arch9wavefront6targetE1EEEvT1_,@function
_ZN7rocprim17ROCPRIM_400000_NS6detail17trampoline_kernelINS0_14default_configENS1_25transform_config_selectorItLb0EEEZNS1_14transform_implILb0ES3_S5_NS0_18transform_iteratorINS0_17counting_iteratorImlEEZNS1_24adjacent_difference_implIS3_Lb1ELb0EPtN6thrust23THRUST_200600_302600_NS16discard_iteratorINSD_11use_defaultEEENSD_5minusItEEEE10hipError_tPvRmT2_T3_mT4_P12ihipStream_tbEUlmE_tEESB_NS0_8identityIvEEEESJ_SM_SN_mSO_SQ_bEUlT_E_NS1_11comp_targetILNS1_3genE3ELNS1_11target_archE908ELNS1_3gpuE7ELNS1_3repE0EEENS1_30default_config_static_selectorELNS0_4arch9wavefront6targetE1EEEvT1_: ; @_ZN7rocprim17ROCPRIM_400000_NS6detail17trampoline_kernelINS0_14default_configENS1_25transform_config_selectorItLb0EEEZNS1_14transform_implILb0ES3_S5_NS0_18transform_iteratorINS0_17counting_iteratorImlEEZNS1_24adjacent_difference_implIS3_Lb1ELb0EPtN6thrust23THRUST_200600_302600_NS16discard_iteratorINSD_11use_defaultEEENSD_5minusItEEEE10hipError_tPvRmT2_T3_mT4_P12ihipStream_tbEUlmE_tEESB_NS0_8identityIvEEEESJ_SM_SN_mSO_SQ_bEUlT_E_NS1_11comp_targetILNS1_3genE3ELNS1_11target_archE908ELNS1_3gpuE7ELNS1_3repE0EEENS1_30default_config_static_selectorELNS0_4arch9wavefront6targetE1EEEvT1_
; %bb.0:
	.section	.rodata,"a",@progbits
	.p2align	6, 0x0
	.amdhsa_kernel _ZN7rocprim17ROCPRIM_400000_NS6detail17trampoline_kernelINS0_14default_configENS1_25transform_config_selectorItLb0EEEZNS1_14transform_implILb0ES3_S5_NS0_18transform_iteratorINS0_17counting_iteratorImlEEZNS1_24adjacent_difference_implIS3_Lb1ELb0EPtN6thrust23THRUST_200600_302600_NS16discard_iteratorINSD_11use_defaultEEENSD_5minusItEEEE10hipError_tPvRmT2_T3_mT4_P12ihipStream_tbEUlmE_tEESB_NS0_8identityIvEEEESJ_SM_SN_mSO_SQ_bEUlT_E_NS1_11comp_targetILNS1_3genE3ELNS1_11target_archE908ELNS1_3gpuE7ELNS1_3repE0EEENS1_30default_config_static_selectorELNS0_4arch9wavefront6targetE1EEEvT1_
		.amdhsa_group_segment_fixed_size 0
		.amdhsa_private_segment_fixed_size 0
		.amdhsa_kernarg_size 56
		.amdhsa_user_sgpr_count 6
		.amdhsa_user_sgpr_private_segment_buffer 1
		.amdhsa_user_sgpr_dispatch_ptr 0
		.amdhsa_user_sgpr_queue_ptr 0
		.amdhsa_user_sgpr_kernarg_segment_ptr 1
		.amdhsa_user_sgpr_dispatch_id 0
		.amdhsa_user_sgpr_flat_scratch_init 0
		.amdhsa_user_sgpr_kernarg_preload_length 0
		.amdhsa_user_sgpr_kernarg_preload_offset 0
		.amdhsa_user_sgpr_private_segment_size 0
		.amdhsa_uses_dynamic_stack 0
		.amdhsa_system_sgpr_private_segment_wavefront_offset 0
		.amdhsa_system_sgpr_workgroup_id_x 1
		.amdhsa_system_sgpr_workgroup_id_y 0
		.amdhsa_system_sgpr_workgroup_id_z 0
		.amdhsa_system_sgpr_workgroup_info 0
		.amdhsa_system_vgpr_workitem_id 0
		.amdhsa_next_free_vgpr 1
		.amdhsa_next_free_sgpr 0
		.amdhsa_accum_offset 4
		.amdhsa_reserve_vcc 0
		.amdhsa_reserve_flat_scratch 0
		.amdhsa_float_round_mode_32 0
		.amdhsa_float_round_mode_16_64 0
		.amdhsa_float_denorm_mode_32 3
		.amdhsa_float_denorm_mode_16_64 3
		.amdhsa_dx10_clamp 1
		.amdhsa_ieee_mode 1
		.amdhsa_fp16_overflow 0
		.amdhsa_tg_split 0
		.amdhsa_exception_fp_ieee_invalid_op 0
		.amdhsa_exception_fp_denorm_src 0
		.amdhsa_exception_fp_ieee_div_zero 0
		.amdhsa_exception_fp_ieee_overflow 0
		.amdhsa_exception_fp_ieee_underflow 0
		.amdhsa_exception_fp_ieee_inexact 0
		.amdhsa_exception_int_div_zero 0
	.end_amdhsa_kernel
	.section	.text._ZN7rocprim17ROCPRIM_400000_NS6detail17trampoline_kernelINS0_14default_configENS1_25transform_config_selectorItLb0EEEZNS1_14transform_implILb0ES3_S5_NS0_18transform_iteratorINS0_17counting_iteratorImlEEZNS1_24adjacent_difference_implIS3_Lb1ELb0EPtN6thrust23THRUST_200600_302600_NS16discard_iteratorINSD_11use_defaultEEENSD_5minusItEEEE10hipError_tPvRmT2_T3_mT4_P12ihipStream_tbEUlmE_tEESB_NS0_8identityIvEEEESJ_SM_SN_mSO_SQ_bEUlT_E_NS1_11comp_targetILNS1_3genE3ELNS1_11target_archE908ELNS1_3gpuE7ELNS1_3repE0EEENS1_30default_config_static_selectorELNS0_4arch9wavefront6targetE1EEEvT1_,"axG",@progbits,_ZN7rocprim17ROCPRIM_400000_NS6detail17trampoline_kernelINS0_14default_configENS1_25transform_config_selectorItLb0EEEZNS1_14transform_implILb0ES3_S5_NS0_18transform_iteratorINS0_17counting_iteratorImlEEZNS1_24adjacent_difference_implIS3_Lb1ELb0EPtN6thrust23THRUST_200600_302600_NS16discard_iteratorINSD_11use_defaultEEENSD_5minusItEEEE10hipError_tPvRmT2_T3_mT4_P12ihipStream_tbEUlmE_tEESB_NS0_8identityIvEEEESJ_SM_SN_mSO_SQ_bEUlT_E_NS1_11comp_targetILNS1_3genE3ELNS1_11target_archE908ELNS1_3gpuE7ELNS1_3repE0EEENS1_30default_config_static_selectorELNS0_4arch9wavefront6targetE1EEEvT1_,comdat
.Lfunc_end720:
	.size	_ZN7rocprim17ROCPRIM_400000_NS6detail17trampoline_kernelINS0_14default_configENS1_25transform_config_selectorItLb0EEEZNS1_14transform_implILb0ES3_S5_NS0_18transform_iteratorINS0_17counting_iteratorImlEEZNS1_24adjacent_difference_implIS3_Lb1ELb0EPtN6thrust23THRUST_200600_302600_NS16discard_iteratorINSD_11use_defaultEEENSD_5minusItEEEE10hipError_tPvRmT2_T3_mT4_P12ihipStream_tbEUlmE_tEESB_NS0_8identityIvEEEESJ_SM_SN_mSO_SQ_bEUlT_E_NS1_11comp_targetILNS1_3genE3ELNS1_11target_archE908ELNS1_3gpuE7ELNS1_3repE0EEENS1_30default_config_static_selectorELNS0_4arch9wavefront6targetE1EEEvT1_, .Lfunc_end720-_ZN7rocprim17ROCPRIM_400000_NS6detail17trampoline_kernelINS0_14default_configENS1_25transform_config_selectorItLb0EEEZNS1_14transform_implILb0ES3_S5_NS0_18transform_iteratorINS0_17counting_iteratorImlEEZNS1_24adjacent_difference_implIS3_Lb1ELb0EPtN6thrust23THRUST_200600_302600_NS16discard_iteratorINSD_11use_defaultEEENSD_5minusItEEEE10hipError_tPvRmT2_T3_mT4_P12ihipStream_tbEUlmE_tEESB_NS0_8identityIvEEEESJ_SM_SN_mSO_SQ_bEUlT_E_NS1_11comp_targetILNS1_3genE3ELNS1_11target_archE908ELNS1_3gpuE7ELNS1_3repE0EEENS1_30default_config_static_selectorELNS0_4arch9wavefront6targetE1EEEvT1_
                                        ; -- End function
	.section	.AMDGPU.csdata,"",@progbits
; Kernel info:
; codeLenInByte = 0
; NumSgprs: 4
; NumVgprs: 0
; NumAgprs: 0
; TotalNumVgprs: 0
; ScratchSize: 0
; MemoryBound: 0
; FloatMode: 240
; IeeeMode: 1
; LDSByteSize: 0 bytes/workgroup (compile time only)
; SGPRBlocks: 0
; VGPRBlocks: 0
; NumSGPRsForWavesPerEU: 4
; NumVGPRsForWavesPerEU: 1
; AccumOffset: 4
; Occupancy: 8
; WaveLimiterHint : 0
; COMPUTE_PGM_RSRC2:SCRATCH_EN: 0
; COMPUTE_PGM_RSRC2:USER_SGPR: 6
; COMPUTE_PGM_RSRC2:TRAP_HANDLER: 0
; COMPUTE_PGM_RSRC2:TGID_X_EN: 1
; COMPUTE_PGM_RSRC2:TGID_Y_EN: 0
; COMPUTE_PGM_RSRC2:TGID_Z_EN: 0
; COMPUTE_PGM_RSRC2:TIDIG_COMP_CNT: 0
; COMPUTE_PGM_RSRC3_GFX90A:ACCUM_OFFSET: 0
; COMPUTE_PGM_RSRC3_GFX90A:TG_SPLIT: 0
	.section	.text._ZN7rocprim17ROCPRIM_400000_NS6detail17trampoline_kernelINS0_14default_configENS1_25transform_config_selectorItLb0EEEZNS1_14transform_implILb0ES3_S5_NS0_18transform_iteratorINS0_17counting_iteratorImlEEZNS1_24adjacent_difference_implIS3_Lb1ELb0EPtN6thrust23THRUST_200600_302600_NS16discard_iteratorINSD_11use_defaultEEENSD_5minusItEEEE10hipError_tPvRmT2_T3_mT4_P12ihipStream_tbEUlmE_tEESB_NS0_8identityIvEEEESJ_SM_SN_mSO_SQ_bEUlT_E_NS1_11comp_targetILNS1_3genE2ELNS1_11target_archE906ELNS1_3gpuE6ELNS1_3repE0EEENS1_30default_config_static_selectorELNS0_4arch9wavefront6targetE1EEEvT1_,"axG",@progbits,_ZN7rocprim17ROCPRIM_400000_NS6detail17trampoline_kernelINS0_14default_configENS1_25transform_config_selectorItLb0EEEZNS1_14transform_implILb0ES3_S5_NS0_18transform_iteratorINS0_17counting_iteratorImlEEZNS1_24adjacent_difference_implIS3_Lb1ELb0EPtN6thrust23THRUST_200600_302600_NS16discard_iteratorINSD_11use_defaultEEENSD_5minusItEEEE10hipError_tPvRmT2_T3_mT4_P12ihipStream_tbEUlmE_tEESB_NS0_8identityIvEEEESJ_SM_SN_mSO_SQ_bEUlT_E_NS1_11comp_targetILNS1_3genE2ELNS1_11target_archE906ELNS1_3gpuE6ELNS1_3repE0EEENS1_30default_config_static_selectorELNS0_4arch9wavefront6targetE1EEEvT1_,comdat
	.protected	_ZN7rocprim17ROCPRIM_400000_NS6detail17trampoline_kernelINS0_14default_configENS1_25transform_config_selectorItLb0EEEZNS1_14transform_implILb0ES3_S5_NS0_18transform_iteratorINS0_17counting_iteratorImlEEZNS1_24adjacent_difference_implIS3_Lb1ELb0EPtN6thrust23THRUST_200600_302600_NS16discard_iteratorINSD_11use_defaultEEENSD_5minusItEEEE10hipError_tPvRmT2_T3_mT4_P12ihipStream_tbEUlmE_tEESB_NS0_8identityIvEEEESJ_SM_SN_mSO_SQ_bEUlT_E_NS1_11comp_targetILNS1_3genE2ELNS1_11target_archE906ELNS1_3gpuE6ELNS1_3repE0EEENS1_30default_config_static_selectorELNS0_4arch9wavefront6targetE1EEEvT1_ ; -- Begin function _ZN7rocprim17ROCPRIM_400000_NS6detail17trampoline_kernelINS0_14default_configENS1_25transform_config_selectorItLb0EEEZNS1_14transform_implILb0ES3_S5_NS0_18transform_iteratorINS0_17counting_iteratorImlEEZNS1_24adjacent_difference_implIS3_Lb1ELb0EPtN6thrust23THRUST_200600_302600_NS16discard_iteratorINSD_11use_defaultEEENSD_5minusItEEEE10hipError_tPvRmT2_T3_mT4_P12ihipStream_tbEUlmE_tEESB_NS0_8identityIvEEEESJ_SM_SN_mSO_SQ_bEUlT_E_NS1_11comp_targetILNS1_3genE2ELNS1_11target_archE906ELNS1_3gpuE6ELNS1_3repE0EEENS1_30default_config_static_selectorELNS0_4arch9wavefront6targetE1EEEvT1_
	.globl	_ZN7rocprim17ROCPRIM_400000_NS6detail17trampoline_kernelINS0_14default_configENS1_25transform_config_selectorItLb0EEEZNS1_14transform_implILb0ES3_S5_NS0_18transform_iteratorINS0_17counting_iteratorImlEEZNS1_24adjacent_difference_implIS3_Lb1ELb0EPtN6thrust23THRUST_200600_302600_NS16discard_iteratorINSD_11use_defaultEEENSD_5minusItEEEE10hipError_tPvRmT2_T3_mT4_P12ihipStream_tbEUlmE_tEESB_NS0_8identityIvEEEESJ_SM_SN_mSO_SQ_bEUlT_E_NS1_11comp_targetILNS1_3genE2ELNS1_11target_archE906ELNS1_3gpuE6ELNS1_3repE0EEENS1_30default_config_static_selectorELNS0_4arch9wavefront6targetE1EEEvT1_
	.p2align	8
	.type	_ZN7rocprim17ROCPRIM_400000_NS6detail17trampoline_kernelINS0_14default_configENS1_25transform_config_selectorItLb0EEEZNS1_14transform_implILb0ES3_S5_NS0_18transform_iteratorINS0_17counting_iteratorImlEEZNS1_24adjacent_difference_implIS3_Lb1ELb0EPtN6thrust23THRUST_200600_302600_NS16discard_iteratorINSD_11use_defaultEEENSD_5minusItEEEE10hipError_tPvRmT2_T3_mT4_P12ihipStream_tbEUlmE_tEESB_NS0_8identityIvEEEESJ_SM_SN_mSO_SQ_bEUlT_E_NS1_11comp_targetILNS1_3genE2ELNS1_11target_archE906ELNS1_3gpuE6ELNS1_3repE0EEENS1_30default_config_static_selectorELNS0_4arch9wavefront6targetE1EEEvT1_,@function
_ZN7rocprim17ROCPRIM_400000_NS6detail17trampoline_kernelINS0_14default_configENS1_25transform_config_selectorItLb0EEEZNS1_14transform_implILb0ES3_S5_NS0_18transform_iteratorINS0_17counting_iteratorImlEEZNS1_24adjacent_difference_implIS3_Lb1ELb0EPtN6thrust23THRUST_200600_302600_NS16discard_iteratorINSD_11use_defaultEEENSD_5minusItEEEE10hipError_tPvRmT2_T3_mT4_P12ihipStream_tbEUlmE_tEESB_NS0_8identityIvEEEESJ_SM_SN_mSO_SQ_bEUlT_E_NS1_11comp_targetILNS1_3genE2ELNS1_11target_archE906ELNS1_3gpuE6ELNS1_3repE0EEENS1_30default_config_static_selectorELNS0_4arch9wavefront6targetE1EEEvT1_: ; @_ZN7rocprim17ROCPRIM_400000_NS6detail17trampoline_kernelINS0_14default_configENS1_25transform_config_selectorItLb0EEEZNS1_14transform_implILb0ES3_S5_NS0_18transform_iteratorINS0_17counting_iteratorImlEEZNS1_24adjacent_difference_implIS3_Lb1ELb0EPtN6thrust23THRUST_200600_302600_NS16discard_iteratorINSD_11use_defaultEEENSD_5minusItEEEE10hipError_tPvRmT2_T3_mT4_P12ihipStream_tbEUlmE_tEESB_NS0_8identityIvEEEESJ_SM_SN_mSO_SQ_bEUlT_E_NS1_11comp_targetILNS1_3genE2ELNS1_11target_archE906ELNS1_3gpuE6ELNS1_3repE0EEENS1_30default_config_static_selectorELNS0_4arch9wavefront6targetE1EEEvT1_
; %bb.0:
	.section	.rodata,"a",@progbits
	.p2align	6, 0x0
	.amdhsa_kernel _ZN7rocprim17ROCPRIM_400000_NS6detail17trampoline_kernelINS0_14default_configENS1_25transform_config_selectorItLb0EEEZNS1_14transform_implILb0ES3_S5_NS0_18transform_iteratorINS0_17counting_iteratorImlEEZNS1_24adjacent_difference_implIS3_Lb1ELb0EPtN6thrust23THRUST_200600_302600_NS16discard_iteratorINSD_11use_defaultEEENSD_5minusItEEEE10hipError_tPvRmT2_T3_mT4_P12ihipStream_tbEUlmE_tEESB_NS0_8identityIvEEEESJ_SM_SN_mSO_SQ_bEUlT_E_NS1_11comp_targetILNS1_3genE2ELNS1_11target_archE906ELNS1_3gpuE6ELNS1_3repE0EEENS1_30default_config_static_selectorELNS0_4arch9wavefront6targetE1EEEvT1_
		.amdhsa_group_segment_fixed_size 0
		.amdhsa_private_segment_fixed_size 0
		.amdhsa_kernarg_size 56
		.amdhsa_user_sgpr_count 6
		.amdhsa_user_sgpr_private_segment_buffer 1
		.amdhsa_user_sgpr_dispatch_ptr 0
		.amdhsa_user_sgpr_queue_ptr 0
		.amdhsa_user_sgpr_kernarg_segment_ptr 1
		.amdhsa_user_sgpr_dispatch_id 0
		.amdhsa_user_sgpr_flat_scratch_init 0
		.amdhsa_user_sgpr_kernarg_preload_length 0
		.amdhsa_user_sgpr_kernarg_preload_offset 0
		.amdhsa_user_sgpr_private_segment_size 0
		.amdhsa_uses_dynamic_stack 0
		.amdhsa_system_sgpr_private_segment_wavefront_offset 0
		.amdhsa_system_sgpr_workgroup_id_x 1
		.amdhsa_system_sgpr_workgroup_id_y 0
		.amdhsa_system_sgpr_workgroup_id_z 0
		.amdhsa_system_sgpr_workgroup_info 0
		.amdhsa_system_vgpr_workitem_id 0
		.amdhsa_next_free_vgpr 1
		.amdhsa_next_free_sgpr 0
		.amdhsa_accum_offset 4
		.amdhsa_reserve_vcc 0
		.amdhsa_reserve_flat_scratch 0
		.amdhsa_float_round_mode_32 0
		.amdhsa_float_round_mode_16_64 0
		.amdhsa_float_denorm_mode_32 3
		.amdhsa_float_denorm_mode_16_64 3
		.amdhsa_dx10_clamp 1
		.amdhsa_ieee_mode 1
		.amdhsa_fp16_overflow 0
		.amdhsa_tg_split 0
		.amdhsa_exception_fp_ieee_invalid_op 0
		.amdhsa_exception_fp_denorm_src 0
		.amdhsa_exception_fp_ieee_div_zero 0
		.amdhsa_exception_fp_ieee_overflow 0
		.amdhsa_exception_fp_ieee_underflow 0
		.amdhsa_exception_fp_ieee_inexact 0
		.amdhsa_exception_int_div_zero 0
	.end_amdhsa_kernel
	.section	.text._ZN7rocprim17ROCPRIM_400000_NS6detail17trampoline_kernelINS0_14default_configENS1_25transform_config_selectorItLb0EEEZNS1_14transform_implILb0ES3_S5_NS0_18transform_iteratorINS0_17counting_iteratorImlEEZNS1_24adjacent_difference_implIS3_Lb1ELb0EPtN6thrust23THRUST_200600_302600_NS16discard_iteratorINSD_11use_defaultEEENSD_5minusItEEEE10hipError_tPvRmT2_T3_mT4_P12ihipStream_tbEUlmE_tEESB_NS0_8identityIvEEEESJ_SM_SN_mSO_SQ_bEUlT_E_NS1_11comp_targetILNS1_3genE2ELNS1_11target_archE906ELNS1_3gpuE6ELNS1_3repE0EEENS1_30default_config_static_selectorELNS0_4arch9wavefront6targetE1EEEvT1_,"axG",@progbits,_ZN7rocprim17ROCPRIM_400000_NS6detail17trampoline_kernelINS0_14default_configENS1_25transform_config_selectorItLb0EEEZNS1_14transform_implILb0ES3_S5_NS0_18transform_iteratorINS0_17counting_iteratorImlEEZNS1_24adjacent_difference_implIS3_Lb1ELb0EPtN6thrust23THRUST_200600_302600_NS16discard_iteratorINSD_11use_defaultEEENSD_5minusItEEEE10hipError_tPvRmT2_T3_mT4_P12ihipStream_tbEUlmE_tEESB_NS0_8identityIvEEEESJ_SM_SN_mSO_SQ_bEUlT_E_NS1_11comp_targetILNS1_3genE2ELNS1_11target_archE906ELNS1_3gpuE6ELNS1_3repE0EEENS1_30default_config_static_selectorELNS0_4arch9wavefront6targetE1EEEvT1_,comdat
.Lfunc_end721:
	.size	_ZN7rocprim17ROCPRIM_400000_NS6detail17trampoline_kernelINS0_14default_configENS1_25transform_config_selectorItLb0EEEZNS1_14transform_implILb0ES3_S5_NS0_18transform_iteratorINS0_17counting_iteratorImlEEZNS1_24adjacent_difference_implIS3_Lb1ELb0EPtN6thrust23THRUST_200600_302600_NS16discard_iteratorINSD_11use_defaultEEENSD_5minusItEEEE10hipError_tPvRmT2_T3_mT4_P12ihipStream_tbEUlmE_tEESB_NS0_8identityIvEEEESJ_SM_SN_mSO_SQ_bEUlT_E_NS1_11comp_targetILNS1_3genE2ELNS1_11target_archE906ELNS1_3gpuE6ELNS1_3repE0EEENS1_30default_config_static_selectorELNS0_4arch9wavefront6targetE1EEEvT1_, .Lfunc_end721-_ZN7rocprim17ROCPRIM_400000_NS6detail17trampoline_kernelINS0_14default_configENS1_25transform_config_selectorItLb0EEEZNS1_14transform_implILb0ES3_S5_NS0_18transform_iteratorINS0_17counting_iteratorImlEEZNS1_24adjacent_difference_implIS3_Lb1ELb0EPtN6thrust23THRUST_200600_302600_NS16discard_iteratorINSD_11use_defaultEEENSD_5minusItEEEE10hipError_tPvRmT2_T3_mT4_P12ihipStream_tbEUlmE_tEESB_NS0_8identityIvEEEESJ_SM_SN_mSO_SQ_bEUlT_E_NS1_11comp_targetILNS1_3genE2ELNS1_11target_archE906ELNS1_3gpuE6ELNS1_3repE0EEENS1_30default_config_static_selectorELNS0_4arch9wavefront6targetE1EEEvT1_
                                        ; -- End function
	.section	.AMDGPU.csdata,"",@progbits
; Kernel info:
; codeLenInByte = 0
; NumSgprs: 4
; NumVgprs: 0
; NumAgprs: 0
; TotalNumVgprs: 0
; ScratchSize: 0
; MemoryBound: 0
; FloatMode: 240
; IeeeMode: 1
; LDSByteSize: 0 bytes/workgroup (compile time only)
; SGPRBlocks: 0
; VGPRBlocks: 0
; NumSGPRsForWavesPerEU: 4
; NumVGPRsForWavesPerEU: 1
; AccumOffset: 4
; Occupancy: 8
; WaveLimiterHint : 0
; COMPUTE_PGM_RSRC2:SCRATCH_EN: 0
; COMPUTE_PGM_RSRC2:USER_SGPR: 6
; COMPUTE_PGM_RSRC2:TRAP_HANDLER: 0
; COMPUTE_PGM_RSRC2:TGID_X_EN: 1
; COMPUTE_PGM_RSRC2:TGID_Y_EN: 0
; COMPUTE_PGM_RSRC2:TGID_Z_EN: 0
; COMPUTE_PGM_RSRC2:TIDIG_COMP_CNT: 0
; COMPUTE_PGM_RSRC3_GFX90A:ACCUM_OFFSET: 0
; COMPUTE_PGM_RSRC3_GFX90A:TG_SPLIT: 0
	.section	.text._ZN7rocprim17ROCPRIM_400000_NS6detail17trampoline_kernelINS0_14default_configENS1_25transform_config_selectorItLb0EEEZNS1_14transform_implILb0ES3_S5_NS0_18transform_iteratorINS0_17counting_iteratorImlEEZNS1_24adjacent_difference_implIS3_Lb1ELb0EPtN6thrust23THRUST_200600_302600_NS16discard_iteratorINSD_11use_defaultEEENSD_5minusItEEEE10hipError_tPvRmT2_T3_mT4_P12ihipStream_tbEUlmE_tEESB_NS0_8identityIvEEEESJ_SM_SN_mSO_SQ_bEUlT_E_NS1_11comp_targetILNS1_3genE10ELNS1_11target_archE1201ELNS1_3gpuE5ELNS1_3repE0EEENS1_30default_config_static_selectorELNS0_4arch9wavefront6targetE1EEEvT1_,"axG",@progbits,_ZN7rocprim17ROCPRIM_400000_NS6detail17trampoline_kernelINS0_14default_configENS1_25transform_config_selectorItLb0EEEZNS1_14transform_implILb0ES3_S5_NS0_18transform_iteratorINS0_17counting_iteratorImlEEZNS1_24adjacent_difference_implIS3_Lb1ELb0EPtN6thrust23THRUST_200600_302600_NS16discard_iteratorINSD_11use_defaultEEENSD_5minusItEEEE10hipError_tPvRmT2_T3_mT4_P12ihipStream_tbEUlmE_tEESB_NS0_8identityIvEEEESJ_SM_SN_mSO_SQ_bEUlT_E_NS1_11comp_targetILNS1_3genE10ELNS1_11target_archE1201ELNS1_3gpuE5ELNS1_3repE0EEENS1_30default_config_static_selectorELNS0_4arch9wavefront6targetE1EEEvT1_,comdat
	.protected	_ZN7rocprim17ROCPRIM_400000_NS6detail17trampoline_kernelINS0_14default_configENS1_25transform_config_selectorItLb0EEEZNS1_14transform_implILb0ES3_S5_NS0_18transform_iteratorINS0_17counting_iteratorImlEEZNS1_24adjacent_difference_implIS3_Lb1ELb0EPtN6thrust23THRUST_200600_302600_NS16discard_iteratorINSD_11use_defaultEEENSD_5minusItEEEE10hipError_tPvRmT2_T3_mT4_P12ihipStream_tbEUlmE_tEESB_NS0_8identityIvEEEESJ_SM_SN_mSO_SQ_bEUlT_E_NS1_11comp_targetILNS1_3genE10ELNS1_11target_archE1201ELNS1_3gpuE5ELNS1_3repE0EEENS1_30default_config_static_selectorELNS0_4arch9wavefront6targetE1EEEvT1_ ; -- Begin function _ZN7rocprim17ROCPRIM_400000_NS6detail17trampoline_kernelINS0_14default_configENS1_25transform_config_selectorItLb0EEEZNS1_14transform_implILb0ES3_S5_NS0_18transform_iteratorINS0_17counting_iteratorImlEEZNS1_24adjacent_difference_implIS3_Lb1ELb0EPtN6thrust23THRUST_200600_302600_NS16discard_iteratorINSD_11use_defaultEEENSD_5minusItEEEE10hipError_tPvRmT2_T3_mT4_P12ihipStream_tbEUlmE_tEESB_NS0_8identityIvEEEESJ_SM_SN_mSO_SQ_bEUlT_E_NS1_11comp_targetILNS1_3genE10ELNS1_11target_archE1201ELNS1_3gpuE5ELNS1_3repE0EEENS1_30default_config_static_selectorELNS0_4arch9wavefront6targetE1EEEvT1_
	.globl	_ZN7rocprim17ROCPRIM_400000_NS6detail17trampoline_kernelINS0_14default_configENS1_25transform_config_selectorItLb0EEEZNS1_14transform_implILb0ES3_S5_NS0_18transform_iteratorINS0_17counting_iteratorImlEEZNS1_24adjacent_difference_implIS3_Lb1ELb0EPtN6thrust23THRUST_200600_302600_NS16discard_iteratorINSD_11use_defaultEEENSD_5minusItEEEE10hipError_tPvRmT2_T3_mT4_P12ihipStream_tbEUlmE_tEESB_NS0_8identityIvEEEESJ_SM_SN_mSO_SQ_bEUlT_E_NS1_11comp_targetILNS1_3genE10ELNS1_11target_archE1201ELNS1_3gpuE5ELNS1_3repE0EEENS1_30default_config_static_selectorELNS0_4arch9wavefront6targetE1EEEvT1_
	.p2align	8
	.type	_ZN7rocprim17ROCPRIM_400000_NS6detail17trampoline_kernelINS0_14default_configENS1_25transform_config_selectorItLb0EEEZNS1_14transform_implILb0ES3_S5_NS0_18transform_iteratorINS0_17counting_iteratorImlEEZNS1_24adjacent_difference_implIS3_Lb1ELb0EPtN6thrust23THRUST_200600_302600_NS16discard_iteratorINSD_11use_defaultEEENSD_5minusItEEEE10hipError_tPvRmT2_T3_mT4_P12ihipStream_tbEUlmE_tEESB_NS0_8identityIvEEEESJ_SM_SN_mSO_SQ_bEUlT_E_NS1_11comp_targetILNS1_3genE10ELNS1_11target_archE1201ELNS1_3gpuE5ELNS1_3repE0EEENS1_30default_config_static_selectorELNS0_4arch9wavefront6targetE1EEEvT1_,@function
_ZN7rocprim17ROCPRIM_400000_NS6detail17trampoline_kernelINS0_14default_configENS1_25transform_config_selectorItLb0EEEZNS1_14transform_implILb0ES3_S5_NS0_18transform_iteratorINS0_17counting_iteratorImlEEZNS1_24adjacent_difference_implIS3_Lb1ELb0EPtN6thrust23THRUST_200600_302600_NS16discard_iteratorINSD_11use_defaultEEENSD_5minusItEEEE10hipError_tPvRmT2_T3_mT4_P12ihipStream_tbEUlmE_tEESB_NS0_8identityIvEEEESJ_SM_SN_mSO_SQ_bEUlT_E_NS1_11comp_targetILNS1_3genE10ELNS1_11target_archE1201ELNS1_3gpuE5ELNS1_3repE0EEENS1_30default_config_static_selectorELNS0_4arch9wavefront6targetE1EEEvT1_: ; @_ZN7rocprim17ROCPRIM_400000_NS6detail17trampoline_kernelINS0_14default_configENS1_25transform_config_selectorItLb0EEEZNS1_14transform_implILb0ES3_S5_NS0_18transform_iteratorINS0_17counting_iteratorImlEEZNS1_24adjacent_difference_implIS3_Lb1ELb0EPtN6thrust23THRUST_200600_302600_NS16discard_iteratorINSD_11use_defaultEEENSD_5minusItEEEE10hipError_tPvRmT2_T3_mT4_P12ihipStream_tbEUlmE_tEESB_NS0_8identityIvEEEESJ_SM_SN_mSO_SQ_bEUlT_E_NS1_11comp_targetILNS1_3genE10ELNS1_11target_archE1201ELNS1_3gpuE5ELNS1_3repE0EEENS1_30default_config_static_selectorELNS0_4arch9wavefront6targetE1EEEvT1_
; %bb.0:
	.section	.rodata,"a",@progbits
	.p2align	6, 0x0
	.amdhsa_kernel _ZN7rocprim17ROCPRIM_400000_NS6detail17trampoline_kernelINS0_14default_configENS1_25transform_config_selectorItLb0EEEZNS1_14transform_implILb0ES3_S5_NS0_18transform_iteratorINS0_17counting_iteratorImlEEZNS1_24adjacent_difference_implIS3_Lb1ELb0EPtN6thrust23THRUST_200600_302600_NS16discard_iteratorINSD_11use_defaultEEENSD_5minusItEEEE10hipError_tPvRmT2_T3_mT4_P12ihipStream_tbEUlmE_tEESB_NS0_8identityIvEEEESJ_SM_SN_mSO_SQ_bEUlT_E_NS1_11comp_targetILNS1_3genE10ELNS1_11target_archE1201ELNS1_3gpuE5ELNS1_3repE0EEENS1_30default_config_static_selectorELNS0_4arch9wavefront6targetE1EEEvT1_
		.amdhsa_group_segment_fixed_size 0
		.amdhsa_private_segment_fixed_size 0
		.amdhsa_kernarg_size 56
		.amdhsa_user_sgpr_count 6
		.amdhsa_user_sgpr_private_segment_buffer 1
		.amdhsa_user_sgpr_dispatch_ptr 0
		.amdhsa_user_sgpr_queue_ptr 0
		.amdhsa_user_sgpr_kernarg_segment_ptr 1
		.amdhsa_user_sgpr_dispatch_id 0
		.amdhsa_user_sgpr_flat_scratch_init 0
		.amdhsa_user_sgpr_kernarg_preload_length 0
		.amdhsa_user_sgpr_kernarg_preload_offset 0
		.amdhsa_user_sgpr_private_segment_size 0
		.amdhsa_uses_dynamic_stack 0
		.amdhsa_system_sgpr_private_segment_wavefront_offset 0
		.amdhsa_system_sgpr_workgroup_id_x 1
		.amdhsa_system_sgpr_workgroup_id_y 0
		.amdhsa_system_sgpr_workgroup_id_z 0
		.amdhsa_system_sgpr_workgroup_info 0
		.amdhsa_system_vgpr_workitem_id 0
		.amdhsa_next_free_vgpr 1
		.amdhsa_next_free_sgpr 0
		.amdhsa_accum_offset 4
		.amdhsa_reserve_vcc 0
		.amdhsa_reserve_flat_scratch 0
		.amdhsa_float_round_mode_32 0
		.amdhsa_float_round_mode_16_64 0
		.amdhsa_float_denorm_mode_32 3
		.amdhsa_float_denorm_mode_16_64 3
		.amdhsa_dx10_clamp 1
		.amdhsa_ieee_mode 1
		.amdhsa_fp16_overflow 0
		.amdhsa_tg_split 0
		.amdhsa_exception_fp_ieee_invalid_op 0
		.amdhsa_exception_fp_denorm_src 0
		.amdhsa_exception_fp_ieee_div_zero 0
		.amdhsa_exception_fp_ieee_overflow 0
		.amdhsa_exception_fp_ieee_underflow 0
		.amdhsa_exception_fp_ieee_inexact 0
		.amdhsa_exception_int_div_zero 0
	.end_amdhsa_kernel
	.section	.text._ZN7rocprim17ROCPRIM_400000_NS6detail17trampoline_kernelINS0_14default_configENS1_25transform_config_selectorItLb0EEEZNS1_14transform_implILb0ES3_S5_NS0_18transform_iteratorINS0_17counting_iteratorImlEEZNS1_24adjacent_difference_implIS3_Lb1ELb0EPtN6thrust23THRUST_200600_302600_NS16discard_iteratorINSD_11use_defaultEEENSD_5minusItEEEE10hipError_tPvRmT2_T3_mT4_P12ihipStream_tbEUlmE_tEESB_NS0_8identityIvEEEESJ_SM_SN_mSO_SQ_bEUlT_E_NS1_11comp_targetILNS1_3genE10ELNS1_11target_archE1201ELNS1_3gpuE5ELNS1_3repE0EEENS1_30default_config_static_selectorELNS0_4arch9wavefront6targetE1EEEvT1_,"axG",@progbits,_ZN7rocprim17ROCPRIM_400000_NS6detail17trampoline_kernelINS0_14default_configENS1_25transform_config_selectorItLb0EEEZNS1_14transform_implILb0ES3_S5_NS0_18transform_iteratorINS0_17counting_iteratorImlEEZNS1_24adjacent_difference_implIS3_Lb1ELb0EPtN6thrust23THRUST_200600_302600_NS16discard_iteratorINSD_11use_defaultEEENSD_5minusItEEEE10hipError_tPvRmT2_T3_mT4_P12ihipStream_tbEUlmE_tEESB_NS0_8identityIvEEEESJ_SM_SN_mSO_SQ_bEUlT_E_NS1_11comp_targetILNS1_3genE10ELNS1_11target_archE1201ELNS1_3gpuE5ELNS1_3repE0EEENS1_30default_config_static_selectorELNS0_4arch9wavefront6targetE1EEEvT1_,comdat
.Lfunc_end722:
	.size	_ZN7rocprim17ROCPRIM_400000_NS6detail17trampoline_kernelINS0_14default_configENS1_25transform_config_selectorItLb0EEEZNS1_14transform_implILb0ES3_S5_NS0_18transform_iteratorINS0_17counting_iteratorImlEEZNS1_24adjacent_difference_implIS3_Lb1ELb0EPtN6thrust23THRUST_200600_302600_NS16discard_iteratorINSD_11use_defaultEEENSD_5minusItEEEE10hipError_tPvRmT2_T3_mT4_P12ihipStream_tbEUlmE_tEESB_NS0_8identityIvEEEESJ_SM_SN_mSO_SQ_bEUlT_E_NS1_11comp_targetILNS1_3genE10ELNS1_11target_archE1201ELNS1_3gpuE5ELNS1_3repE0EEENS1_30default_config_static_selectorELNS0_4arch9wavefront6targetE1EEEvT1_, .Lfunc_end722-_ZN7rocprim17ROCPRIM_400000_NS6detail17trampoline_kernelINS0_14default_configENS1_25transform_config_selectorItLb0EEEZNS1_14transform_implILb0ES3_S5_NS0_18transform_iteratorINS0_17counting_iteratorImlEEZNS1_24adjacent_difference_implIS3_Lb1ELb0EPtN6thrust23THRUST_200600_302600_NS16discard_iteratorINSD_11use_defaultEEENSD_5minusItEEEE10hipError_tPvRmT2_T3_mT4_P12ihipStream_tbEUlmE_tEESB_NS0_8identityIvEEEESJ_SM_SN_mSO_SQ_bEUlT_E_NS1_11comp_targetILNS1_3genE10ELNS1_11target_archE1201ELNS1_3gpuE5ELNS1_3repE0EEENS1_30default_config_static_selectorELNS0_4arch9wavefront6targetE1EEEvT1_
                                        ; -- End function
	.section	.AMDGPU.csdata,"",@progbits
; Kernel info:
; codeLenInByte = 0
; NumSgprs: 4
; NumVgprs: 0
; NumAgprs: 0
; TotalNumVgprs: 0
; ScratchSize: 0
; MemoryBound: 0
; FloatMode: 240
; IeeeMode: 1
; LDSByteSize: 0 bytes/workgroup (compile time only)
; SGPRBlocks: 0
; VGPRBlocks: 0
; NumSGPRsForWavesPerEU: 4
; NumVGPRsForWavesPerEU: 1
; AccumOffset: 4
; Occupancy: 8
; WaveLimiterHint : 0
; COMPUTE_PGM_RSRC2:SCRATCH_EN: 0
; COMPUTE_PGM_RSRC2:USER_SGPR: 6
; COMPUTE_PGM_RSRC2:TRAP_HANDLER: 0
; COMPUTE_PGM_RSRC2:TGID_X_EN: 1
; COMPUTE_PGM_RSRC2:TGID_Y_EN: 0
; COMPUTE_PGM_RSRC2:TGID_Z_EN: 0
; COMPUTE_PGM_RSRC2:TIDIG_COMP_CNT: 0
; COMPUTE_PGM_RSRC3_GFX90A:ACCUM_OFFSET: 0
; COMPUTE_PGM_RSRC3_GFX90A:TG_SPLIT: 0
	.section	.text._ZN7rocprim17ROCPRIM_400000_NS6detail17trampoline_kernelINS0_14default_configENS1_25transform_config_selectorItLb0EEEZNS1_14transform_implILb0ES3_S5_NS0_18transform_iteratorINS0_17counting_iteratorImlEEZNS1_24adjacent_difference_implIS3_Lb1ELb0EPtN6thrust23THRUST_200600_302600_NS16discard_iteratorINSD_11use_defaultEEENSD_5minusItEEEE10hipError_tPvRmT2_T3_mT4_P12ihipStream_tbEUlmE_tEESB_NS0_8identityIvEEEESJ_SM_SN_mSO_SQ_bEUlT_E_NS1_11comp_targetILNS1_3genE10ELNS1_11target_archE1200ELNS1_3gpuE4ELNS1_3repE0EEENS1_30default_config_static_selectorELNS0_4arch9wavefront6targetE1EEEvT1_,"axG",@progbits,_ZN7rocprim17ROCPRIM_400000_NS6detail17trampoline_kernelINS0_14default_configENS1_25transform_config_selectorItLb0EEEZNS1_14transform_implILb0ES3_S5_NS0_18transform_iteratorINS0_17counting_iteratorImlEEZNS1_24adjacent_difference_implIS3_Lb1ELb0EPtN6thrust23THRUST_200600_302600_NS16discard_iteratorINSD_11use_defaultEEENSD_5minusItEEEE10hipError_tPvRmT2_T3_mT4_P12ihipStream_tbEUlmE_tEESB_NS0_8identityIvEEEESJ_SM_SN_mSO_SQ_bEUlT_E_NS1_11comp_targetILNS1_3genE10ELNS1_11target_archE1200ELNS1_3gpuE4ELNS1_3repE0EEENS1_30default_config_static_selectorELNS0_4arch9wavefront6targetE1EEEvT1_,comdat
	.protected	_ZN7rocprim17ROCPRIM_400000_NS6detail17trampoline_kernelINS0_14default_configENS1_25transform_config_selectorItLb0EEEZNS1_14transform_implILb0ES3_S5_NS0_18transform_iteratorINS0_17counting_iteratorImlEEZNS1_24adjacent_difference_implIS3_Lb1ELb0EPtN6thrust23THRUST_200600_302600_NS16discard_iteratorINSD_11use_defaultEEENSD_5minusItEEEE10hipError_tPvRmT2_T3_mT4_P12ihipStream_tbEUlmE_tEESB_NS0_8identityIvEEEESJ_SM_SN_mSO_SQ_bEUlT_E_NS1_11comp_targetILNS1_3genE10ELNS1_11target_archE1200ELNS1_3gpuE4ELNS1_3repE0EEENS1_30default_config_static_selectorELNS0_4arch9wavefront6targetE1EEEvT1_ ; -- Begin function _ZN7rocprim17ROCPRIM_400000_NS6detail17trampoline_kernelINS0_14default_configENS1_25transform_config_selectorItLb0EEEZNS1_14transform_implILb0ES3_S5_NS0_18transform_iteratorINS0_17counting_iteratorImlEEZNS1_24adjacent_difference_implIS3_Lb1ELb0EPtN6thrust23THRUST_200600_302600_NS16discard_iteratorINSD_11use_defaultEEENSD_5minusItEEEE10hipError_tPvRmT2_T3_mT4_P12ihipStream_tbEUlmE_tEESB_NS0_8identityIvEEEESJ_SM_SN_mSO_SQ_bEUlT_E_NS1_11comp_targetILNS1_3genE10ELNS1_11target_archE1200ELNS1_3gpuE4ELNS1_3repE0EEENS1_30default_config_static_selectorELNS0_4arch9wavefront6targetE1EEEvT1_
	.globl	_ZN7rocprim17ROCPRIM_400000_NS6detail17trampoline_kernelINS0_14default_configENS1_25transform_config_selectorItLb0EEEZNS1_14transform_implILb0ES3_S5_NS0_18transform_iteratorINS0_17counting_iteratorImlEEZNS1_24adjacent_difference_implIS3_Lb1ELb0EPtN6thrust23THRUST_200600_302600_NS16discard_iteratorINSD_11use_defaultEEENSD_5minusItEEEE10hipError_tPvRmT2_T3_mT4_P12ihipStream_tbEUlmE_tEESB_NS0_8identityIvEEEESJ_SM_SN_mSO_SQ_bEUlT_E_NS1_11comp_targetILNS1_3genE10ELNS1_11target_archE1200ELNS1_3gpuE4ELNS1_3repE0EEENS1_30default_config_static_selectorELNS0_4arch9wavefront6targetE1EEEvT1_
	.p2align	8
	.type	_ZN7rocprim17ROCPRIM_400000_NS6detail17trampoline_kernelINS0_14default_configENS1_25transform_config_selectorItLb0EEEZNS1_14transform_implILb0ES3_S5_NS0_18transform_iteratorINS0_17counting_iteratorImlEEZNS1_24adjacent_difference_implIS3_Lb1ELb0EPtN6thrust23THRUST_200600_302600_NS16discard_iteratorINSD_11use_defaultEEENSD_5minusItEEEE10hipError_tPvRmT2_T3_mT4_P12ihipStream_tbEUlmE_tEESB_NS0_8identityIvEEEESJ_SM_SN_mSO_SQ_bEUlT_E_NS1_11comp_targetILNS1_3genE10ELNS1_11target_archE1200ELNS1_3gpuE4ELNS1_3repE0EEENS1_30default_config_static_selectorELNS0_4arch9wavefront6targetE1EEEvT1_,@function
_ZN7rocprim17ROCPRIM_400000_NS6detail17trampoline_kernelINS0_14default_configENS1_25transform_config_selectorItLb0EEEZNS1_14transform_implILb0ES3_S5_NS0_18transform_iteratorINS0_17counting_iteratorImlEEZNS1_24adjacent_difference_implIS3_Lb1ELb0EPtN6thrust23THRUST_200600_302600_NS16discard_iteratorINSD_11use_defaultEEENSD_5minusItEEEE10hipError_tPvRmT2_T3_mT4_P12ihipStream_tbEUlmE_tEESB_NS0_8identityIvEEEESJ_SM_SN_mSO_SQ_bEUlT_E_NS1_11comp_targetILNS1_3genE10ELNS1_11target_archE1200ELNS1_3gpuE4ELNS1_3repE0EEENS1_30default_config_static_selectorELNS0_4arch9wavefront6targetE1EEEvT1_: ; @_ZN7rocprim17ROCPRIM_400000_NS6detail17trampoline_kernelINS0_14default_configENS1_25transform_config_selectorItLb0EEEZNS1_14transform_implILb0ES3_S5_NS0_18transform_iteratorINS0_17counting_iteratorImlEEZNS1_24adjacent_difference_implIS3_Lb1ELb0EPtN6thrust23THRUST_200600_302600_NS16discard_iteratorINSD_11use_defaultEEENSD_5minusItEEEE10hipError_tPvRmT2_T3_mT4_P12ihipStream_tbEUlmE_tEESB_NS0_8identityIvEEEESJ_SM_SN_mSO_SQ_bEUlT_E_NS1_11comp_targetILNS1_3genE10ELNS1_11target_archE1200ELNS1_3gpuE4ELNS1_3repE0EEENS1_30default_config_static_selectorELNS0_4arch9wavefront6targetE1EEEvT1_
; %bb.0:
	.section	.rodata,"a",@progbits
	.p2align	6, 0x0
	.amdhsa_kernel _ZN7rocprim17ROCPRIM_400000_NS6detail17trampoline_kernelINS0_14default_configENS1_25transform_config_selectorItLb0EEEZNS1_14transform_implILb0ES3_S5_NS0_18transform_iteratorINS0_17counting_iteratorImlEEZNS1_24adjacent_difference_implIS3_Lb1ELb0EPtN6thrust23THRUST_200600_302600_NS16discard_iteratorINSD_11use_defaultEEENSD_5minusItEEEE10hipError_tPvRmT2_T3_mT4_P12ihipStream_tbEUlmE_tEESB_NS0_8identityIvEEEESJ_SM_SN_mSO_SQ_bEUlT_E_NS1_11comp_targetILNS1_3genE10ELNS1_11target_archE1200ELNS1_3gpuE4ELNS1_3repE0EEENS1_30default_config_static_selectorELNS0_4arch9wavefront6targetE1EEEvT1_
		.amdhsa_group_segment_fixed_size 0
		.amdhsa_private_segment_fixed_size 0
		.amdhsa_kernarg_size 56
		.amdhsa_user_sgpr_count 6
		.amdhsa_user_sgpr_private_segment_buffer 1
		.amdhsa_user_sgpr_dispatch_ptr 0
		.amdhsa_user_sgpr_queue_ptr 0
		.amdhsa_user_sgpr_kernarg_segment_ptr 1
		.amdhsa_user_sgpr_dispatch_id 0
		.amdhsa_user_sgpr_flat_scratch_init 0
		.amdhsa_user_sgpr_kernarg_preload_length 0
		.amdhsa_user_sgpr_kernarg_preload_offset 0
		.amdhsa_user_sgpr_private_segment_size 0
		.amdhsa_uses_dynamic_stack 0
		.amdhsa_system_sgpr_private_segment_wavefront_offset 0
		.amdhsa_system_sgpr_workgroup_id_x 1
		.amdhsa_system_sgpr_workgroup_id_y 0
		.amdhsa_system_sgpr_workgroup_id_z 0
		.amdhsa_system_sgpr_workgroup_info 0
		.amdhsa_system_vgpr_workitem_id 0
		.amdhsa_next_free_vgpr 1
		.amdhsa_next_free_sgpr 0
		.amdhsa_accum_offset 4
		.amdhsa_reserve_vcc 0
		.amdhsa_reserve_flat_scratch 0
		.amdhsa_float_round_mode_32 0
		.amdhsa_float_round_mode_16_64 0
		.amdhsa_float_denorm_mode_32 3
		.amdhsa_float_denorm_mode_16_64 3
		.amdhsa_dx10_clamp 1
		.amdhsa_ieee_mode 1
		.amdhsa_fp16_overflow 0
		.amdhsa_tg_split 0
		.amdhsa_exception_fp_ieee_invalid_op 0
		.amdhsa_exception_fp_denorm_src 0
		.amdhsa_exception_fp_ieee_div_zero 0
		.amdhsa_exception_fp_ieee_overflow 0
		.amdhsa_exception_fp_ieee_underflow 0
		.amdhsa_exception_fp_ieee_inexact 0
		.amdhsa_exception_int_div_zero 0
	.end_amdhsa_kernel
	.section	.text._ZN7rocprim17ROCPRIM_400000_NS6detail17trampoline_kernelINS0_14default_configENS1_25transform_config_selectorItLb0EEEZNS1_14transform_implILb0ES3_S5_NS0_18transform_iteratorINS0_17counting_iteratorImlEEZNS1_24adjacent_difference_implIS3_Lb1ELb0EPtN6thrust23THRUST_200600_302600_NS16discard_iteratorINSD_11use_defaultEEENSD_5minusItEEEE10hipError_tPvRmT2_T3_mT4_P12ihipStream_tbEUlmE_tEESB_NS0_8identityIvEEEESJ_SM_SN_mSO_SQ_bEUlT_E_NS1_11comp_targetILNS1_3genE10ELNS1_11target_archE1200ELNS1_3gpuE4ELNS1_3repE0EEENS1_30default_config_static_selectorELNS0_4arch9wavefront6targetE1EEEvT1_,"axG",@progbits,_ZN7rocprim17ROCPRIM_400000_NS6detail17trampoline_kernelINS0_14default_configENS1_25transform_config_selectorItLb0EEEZNS1_14transform_implILb0ES3_S5_NS0_18transform_iteratorINS0_17counting_iteratorImlEEZNS1_24adjacent_difference_implIS3_Lb1ELb0EPtN6thrust23THRUST_200600_302600_NS16discard_iteratorINSD_11use_defaultEEENSD_5minusItEEEE10hipError_tPvRmT2_T3_mT4_P12ihipStream_tbEUlmE_tEESB_NS0_8identityIvEEEESJ_SM_SN_mSO_SQ_bEUlT_E_NS1_11comp_targetILNS1_3genE10ELNS1_11target_archE1200ELNS1_3gpuE4ELNS1_3repE0EEENS1_30default_config_static_selectorELNS0_4arch9wavefront6targetE1EEEvT1_,comdat
.Lfunc_end723:
	.size	_ZN7rocprim17ROCPRIM_400000_NS6detail17trampoline_kernelINS0_14default_configENS1_25transform_config_selectorItLb0EEEZNS1_14transform_implILb0ES3_S5_NS0_18transform_iteratorINS0_17counting_iteratorImlEEZNS1_24adjacent_difference_implIS3_Lb1ELb0EPtN6thrust23THRUST_200600_302600_NS16discard_iteratorINSD_11use_defaultEEENSD_5minusItEEEE10hipError_tPvRmT2_T3_mT4_P12ihipStream_tbEUlmE_tEESB_NS0_8identityIvEEEESJ_SM_SN_mSO_SQ_bEUlT_E_NS1_11comp_targetILNS1_3genE10ELNS1_11target_archE1200ELNS1_3gpuE4ELNS1_3repE0EEENS1_30default_config_static_selectorELNS0_4arch9wavefront6targetE1EEEvT1_, .Lfunc_end723-_ZN7rocprim17ROCPRIM_400000_NS6detail17trampoline_kernelINS0_14default_configENS1_25transform_config_selectorItLb0EEEZNS1_14transform_implILb0ES3_S5_NS0_18transform_iteratorINS0_17counting_iteratorImlEEZNS1_24adjacent_difference_implIS3_Lb1ELb0EPtN6thrust23THRUST_200600_302600_NS16discard_iteratorINSD_11use_defaultEEENSD_5minusItEEEE10hipError_tPvRmT2_T3_mT4_P12ihipStream_tbEUlmE_tEESB_NS0_8identityIvEEEESJ_SM_SN_mSO_SQ_bEUlT_E_NS1_11comp_targetILNS1_3genE10ELNS1_11target_archE1200ELNS1_3gpuE4ELNS1_3repE0EEENS1_30default_config_static_selectorELNS0_4arch9wavefront6targetE1EEEvT1_
                                        ; -- End function
	.section	.AMDGPU.csdata,"",@progbits
; Kernel info:
; codeLenInByte = 0
; NumSgprs: 4
; NumVgprs: 0
; NumAgprs: 0
; TotalNumVgprs: 0
; ScratchSize: 0
; MemoryBound: 0
; FloatMode: 240
; IeeeMode: 1
; LDSByteSize: 0 bytes/workgroup (compile time only)
; SGPRBlocks: 0
; VGPRBlocks: 0
; NumSGPRsForWavesPerEU: 4
; NumVGPRsForWavesPerEU: 1
; AccumOffset: 4
; Occupancy: 8
; WaveLimiterHint : 0
; COMPUTE_PGM_RSRC2:SCRATCH_EN: 0
; COMPUTE_PGM_RSRC2:USER_SGPR: 6
; COMPUTE_PGM_RSRC2:TRAP_HANDLER: 0
; COMPUTE_PGM_RSRC2:TGID_X_EN: 1
; COMPUTE_PGM_RSRC2:TGID_Y_EN: 0
; COMPUTE_PGM_RSRC2:TGID_Z_EN: 0
; COMPUTE_PGM_RSRC2:TIDIG_COMP_CNT: 0
; COMPUTE_PGM_RSRC3_GFX90A:ACCUM_OFFSET: 0
; COMPUTE_PGM_RSRC3_GFX90A:TG_SPLIT: 0
	.section	.text._ZN7rocprim17ROCPRIM_400000_NS6detail17trampoline_kernelINS0_14default_configENS1_25transform_config_selectorItLb0EEEZNS1_14transform_implILb0ES3_S5_NS0_18transform_iteratorINS0_17counting_iteratorImlEEZNS1_24adjacent_difference_implIS3_Lb1ELb0EPtN6thrust23THRUST_200600_302600_NS16discard_iteratorINSD_11use_defaultEEENSD_5minusItEEEE10hipError_tPvRmT2_T3_mT4_P12ihipStream_tbEUlmE_tEESB_NS0_8identityIvEEEESJ_SM_SN_mSO_SQ_bEUlT_E_NS1_11comp_targetILNS1_3genE9ELNS1_11target_archE1100ELNS1_3gpuE3ELNS1_3repE0EEENS1_30default_config_static_selectorELNS0_4arch9wavefront6targetE1EEEvT1_,"axG",@progbits,_ZN7rocprim17ROCPRIM_400000_NS6detail17trampoline_kernelINS0_14default_configENS1_25transform_config_selectorItLb0EEEZNS1_14transform_implILb0ES3_S5_NS0_18transform_iteratorINS0_17counting_iteratorImlEEZNS1_24adjacent_difference_implIS3_Lb1ELb0EPtN6thrust23THRUST_200600_302600_NS16discard_iteratorINSD_11use_defaultEEENSD_5minusItEEEE10hipError_tPvRmT2_T3_mT4_P12ihipStream_tbEUlmE_tEESB_NS0_8identityIvEEEESJ_SM_SN_mSO_SQ_bEUlT_E_NS1_11comp_targetILNS1_3genE9ELNS1_11target_archE1100ELNS1_3gpuE3ELNS1_3repE0EEENS1_30default_config_static_selectorELNS0_4arch9wavefront6targetE1EEEvT1_,comdat
	.protected	_ZN7rocprim17ROCPRIM_400000_NS6detail17trampoline_kernelINS0_14default_configENS1_25transform_config_selectorItLb0EEEZNS1_14transform_implILb0ES3_S5_NS0_18transform_iteratorINS0_17counting_iteratorImlEEZNS1_24adjacent_difference_implIS3_Lb1ELb0EPtN6thrust23THRUST_200600_302600_NS16discard_iteratorINSD_11use_defaultEEENSD_5minusItEEEE10hipError_tPvRmT2_T3_mT4_P12ihipStream_tbEUlmE_tEESB_NS0_8identityIvEEEESJ_SM_SN_mSO_SQ_bEUlT_E_NS1_11comp_targetILNS1_3genE9ELNS1_11target_archE1100ELNS1_3gpuE3ELNS1_3repE0EEENS1_30default_config_static_selectorELNS0_4arch9wavefront6targetE1EEEvT1_ ; -- Begin function _ZN7rocprim17ROCPRIM_400000_NS6detail17trampoline_kernelINS0_14default_configENS1_25transform_config_selectorItLb0EEEZNS1_14transform_implILb0ES3_S5_NS0_18transform_iteratorINS0_17counting_iteratorImlEEZNS1_24adjacent_difference_implIS3_Lb1ELb0EPtN6thrust23THRUST_200600_302600_NS16discard_iteratorINSD_11use_defaultEEENSD_5minusItEEEE10hipError_tPvRmT2_T3_mT4_P12ihipStream_tbEUlmE_tEESB_NS0_8identityIvEEEESJ_SM_SN_mSO_SQ_bEUlT_E_NS1_11comp_targetILNS1_3genE9ELNS1_11target_archE1100ELNS1_3gpuE3ELNS1_3repE0EEENS1_30default_config_static_selectorELNS0_4arch9wavefront6targetE1EEEvT1_
	.globl	_ZN7rocprim17ROCPRIM_400000_NS6detail17trampoline_kernelINS0_14default_configENS1_25transform_config_selectorItLb0EEEZNS1_14transform_implILb0ES3_S5_NS0_18transform_iteratorINS0_17counting_iteratorImlEEZNS1_24adjacent_difference_implIS3_Lb1ELb0EPtN6thrust23THRUST_200600_302600_NS16discard_iteratorINSD_11use_defaultEEENSD_5minusItEEEE10hipError_tPvRmT2_T3_mT4_P12ihipStream_tbEUlmE_tEESB_NS0_8identityIvEEEESJ_SM_SN_mSO_SQ_bEUlT_E_NS1_11comp_targetILNS1_3genE9ELNS1_11target_archE1100ELNS1_3gpuE3ELNS1_3repE0EEENS1_30default_config_static_selectorELNS0_4arch9wavefront6targetE1EEEvT1_
	.p2align	8
	.type	_ZN7rocprim17ROCPRIM_400000_NS6detail17trampoline_kernelINS0_14default_configENS1_25transform_config_selectorItLb0EEEZNS1_14transform_implILb0ES3_S5_NS0_18transform_iteratorINS0_17counting_iteratorImlEEZNS1_24adjacent_difference_implIS3_Lb1ELb0EPtN6thrust23THRUST_200600_302600_NS16discard_iteratorINSD_11use_defaultEEENSD_5minusItEEEE10hipError_tPvRmT2_T3_mT4_P12ihipStream_tbEUlmE_tEESB_NS0_8identityIvEEEESJ_SM_SN_mSO_SQ_bEUlT_E_NS1_11comp_targetILNS1_3genE9ELNS1_11target_archE1100ELNS1_3gpuE3ELNS1_3repE0EEENS1_30default_config_static_selectorELNS0_4arch9wavefront6targetE1EEEvT1_,@function
_ZN7rocprim17ROCPRIM_400000_NS6detail17trampoline_kernelINS0_14default_configENS1_25transform_config_selectorItLb0EEEZNS1_14transform_implILb0ES3_S5_NS0_18transform_iteratorINS0_17counting_iteratorImlEEZNS1_24adjacent_difference_implIS3_Lb1ELb0EPtN6thrust23THRUST_200600_302600_NS16discard_iteratorINSD_11use_defaultEEENSD_5minusItEEEE10hipError_tPvRmT2_T3_mT4_P12ihipStream_tbEUlmE_tEESB_NS0_8identityIvEEEESJ_SM_SN_mSO_SQ_bEUlT_E_NS1_11comp_targetILNS1_3genE9ELNS1_11target_archE1100ELNS1_3gpuE3ELNS1_3repE0EEENS1_30default_config_static_selectorELNS0_4arch9wavefront6targetE1EEEvT1_: ; @_ZN7rocprim17ROCPRIM_400000_NS6detail17trampoline_kernelINS0_14default_configENS1_25transform_config_selectorItLb0EEEZNS1_14transform_implILb0ES3_S5_NS0_18transform_iteratorINS0_17counting_iteratorImlEEZNS1_24adjacent_difference_implIS3_Lb1ELb0EPtN6thrust23THRUST_200600_302600_NS16discard_iteratorINSD_11use_defaultEEENSD_5minusItEEEE10hipError_tPvRmT2_T3_mT4_P12ihipStream_tbEUlmE_tEESB_NS0_8identityIvEEEESJ_SM_SN_mSO_SQ_bEUlT_E_NS1_11comp_targetILNS1_3genE9ELNS1_11target_archE1100ELNS1_3gpuE3ELNS1_3repE0EEENS1_30default_config_static_selectorELNS0_4arch9wavefront6targetE1EEEvT1_
; %bb.0:
	.section	.rodata,"a",@progbits
	.p2align	6, 0x0
	.amdhsa_kernel _ZN7rocprim17ROCPRIM_400000_NS6detail17trampoline_kernelINS0_14default_configENS1_25transform_config_selectorItLb0EEEZNS1_14transform_implILb0ES3_S5_NS0_18transform_iteratorINS0_17counting_iteratorImlEEZNS1_24adjacent_difference_implIS3_Lb1ELb0EPtN6thrust23THRUST_200600_302600_NS16discard_iteratorINSD_11use_defaultEEENSD_5minusItEEEE10hipError_tPvRmT2_T3_mT4_P12ihipStream_tbEUlmE_tEESB_NS0_8identityIvEEEESJ_SM_SN_mSO_SQ_bEUlT_E_NS1_11comp_targetILNS1_3genE9ELNS1_11target_archE1100ELNS1_3gpuE3ELNS1_3repE0EEENS1_30default_config_static_selectorELNS0_4arch9wavefront6targetE1EEEvT1_
		.amdhsa_group_segment_fixed_size 0
		.amdhsa_private_segment_fixed_size 0
		.amdhsa_kernarg_size 56
		.amdhsa_user_sgpr_count 6
		.amdhsa_user_sgpr_private_segment_buffer 1
		.amdhsa_user_sgpr_dispatch_ptr 0
		.amdhsa_user_sgpr_queue_ptr 0
		.amdhsa_user_sgpr_kernarg_segment_ptr 1
		.amdhsa_user_sgpr_dispatch_id 0
		.amdhsa_user_sgpr_flat_scratch_init 0
		.amdhsa_user_sgpr_kernarg_preload_length 0
		.amdhsa_user_sgpr_kernarg_preload_offset 0
		.amdhsa_user_sgpr_private_segment_size 0
		.amdhsa_uses_dynamic_stack 0
		.amdhsa_system_sgpr_private_segment_wavefront_offset 0
		.amdhsa_system_sgpr_workgroup_id_x 1
		.amdhsa_system_sgpr_workgroup_id_y 0
		.amdhsa_system_sgpr_workgroup_id_z 0
		.amdhsa_system_sgpr_workgroup_info 0
		.amdhsa_system_vgpr_workitem_id 0
		.amdhsa_next_free_vgpr 1
		.amdhsa_next_free_sgpr 0
		.amdhsa_accum_offset 4
		.amdhsa_reserve_vcc 0
		.amdhsa_reserve_flat_scratch 0
		.amdhsa_float_round_mode_32 0
		.amdhsa_float_round_mode_16_64 0
		.amdhsa_float_denorm_mode_32 3
		.amdhsa_float_denorm_mode_16_64 3
		.amdhsa_dx10_clamp 1
		.amdhsa_ieee_mode 1
		.amdhsa_fp16_overflow 0
		.amdhsa_tg_split 0
		.amdhsa_exception_fp_ieee_invalid_op 0
		.amdhsa_exception_fp_denorm_src 0
		.amdhsa_exception_fp_ieee_div_zero 0
		.amdhsa_exception_fp_ieee_overflow 0
		.amdhsa_exception_fp_ieee_underflow 0
		.amdhsa_exception_fp_ieee_inexact 0
		.amdhsa_exception_int_div_zero 0
	.end_amdhsa_kernel
	.section	.text._ZN7rocprim17ROCPRIM_400000_NS6detail17trampoline_kernelINS0_14default_configENS1_25transform_config_selectorItLb0EEEZNS1_14transform_implILb0ES3_S5_NS0_18transform_iteratorINS0_17counting_iteratorImlEEZNS1_24adjacent_difference_implIS3_Lb1ELb0EPtN6thrust23THRUST_200600_302600_NS16discard_iteratorINSD_11use_defaultEEENSD_5minusItEEEE10hipError_tPvRmT2_T3_mT4_P12ihipStream_tbEUlmE_tEESB_NS0_8identityIvEEEESJ_SM_SN_mSO_SQ_bEUlT_E_NS1_11comp_targetILNS1_3genE9ELNS1_11target_archE1100ELNS1_3gpuE3ELNS1_3repE0EEENS1_30default_config_static_selectorELNS0_4arch9wavefront6targetE1EEEvT1_,"axG",@progbits,_ZN7rocprim17ROCPRIM_400000_NS6detail17trampoline_kernelINS0_14default_configENS1_25transform_config_selectorItLb0EEEZNS1_14transform_implILb0ES3_S5_NS0_18transform_iteratorINS0_17counting_iteratorImlEEZNS1_24adjacent_difference_implIS3_Lb1ELb0EPtN6thrust23THRUST_200600_302600_NS16discard_iteratorINSD_11use_defaultEEENSD_5minusItEEEE10hipError_tPvRmT2_T3_mT4_P12ihipStream_tbEUlmE_tEESB_NS0_8identityIvEEEESJ_SM_SN_mSO_SQ_bEUlT_E_NS1_11comp_targetILNS1_3genE9ELNS1_11target_archE1100ELNS1_3gpuE3ELNS1_3repE0EEENS1_30default_config_static_selectorELNS0_4arch9wavefront6targetE1EEEvT1_,comdat
.Lfunc_end724:
	.size	_ZN7rocprim17ROCPRIM_400000_NS6detail17trampoline_kernelINS0_14default_configENS1_25transform_config_selectorItLb0EEEZNS1_14transform_implILb0ES3_S5_NS0_18transform_iteratorINS0_17counting_iteratorImlEEZNS1_24adjacent_difference_implIS3_Lb1ELb0EPtN6thrust23THRUST_200600_302600_NS16discard_iteratorINSD_11use_defaultEEENSD_5minusItEEEE10hipError_tPvRmT2_T3_mT4_P12ihipStream_tbEUlmE_tEESB_NS0_8identityIvEEEESJ_SM_SN_mSO_SQ_bEUlT_E_NS1_11comp_targetILNS1_3genE9ELNS1_11target_archE1100ELNS1_3gpuE3ELNS1_3repE0EEENS1_30default_config_static_selectorELNS0_4arch9wavefront6targetE1EEEvT1_, .Lfunc_end724-_ZN7rocprim17ROCPRIM_400000_NS6detail17trampoline_kernelINS0_14default_configENS1_25transform_config_selectorItLb0EEEZNS1_14transform_implILb0ES3_S5_NS0_18transform_iteratorINS0_17counting_iteratorImlEEZNS1_24adjacent_difference_implIS3_Lb1ELb0EPtN6thrust23THRUST_200600_302600_NS16discard_iteratorINSD_11use_defaultEEENSD_5minusItEEEE10hipError_tPvRmT2_T3_mT4_P12ihipStream_tbEUlmE_tEESB_NS0_8identityIvEEEESJ_SM_SN_mSO_SQ_bEUlT_E_NS1_11comp_targetILNS1_3genE9ELNS1_11target_archE1100ELNS1_3gpuE3ELNS1_3repE0EEENS1_30default_config_static_selectorELNS0_4arch9wavefront6targetE1EEEvT1_
                                        ; -- End function
	.section	.AMDGPU.csdata,"",@progbits
; Kernel info:
; codeLenInByte = 0
; NumSgprs: 4
; NumVgprs: 0
; NumAgprs: 0
; TotalNumVgprs: 0
; ScratchSize: 0
; MemoryBound: 0
; FloatMode: 240
; IeeeMode: 1
; LDSByteSize: 0 bytes/workgroup (compile time only)
; SGPRBlocks: 0
; VGPRBlocks: 0
; NumSGPRsForWavesPerEU: 4
; NumVGPRsForWavesPerEU: 1
; AccumOffset: 4
; Occupancy: 8
; WaveLimiterHint : 0
; COMPUTE_PGM_RSRC2:SCRATCH_EN: 0
; COMPUTE_PGM_RSRC2:USER_SGPR: 6
; COMPUTE_PGM_RSRC2:TRAP_HANDLER: 0
; COMPUTE_PGM_RSRC2:TGID_X_EN: 1
; COMPUTE_PGM_RSRC2:TGID_Y_EN: 0
; COMPUTE_PGM_RSRC2:TGID_Z_EN: 0
; COMPUTE_PGM_RSRC2:TIDIG_COMP_CNT: 0
; COMPUTE_PGM_RSRC3_GFX90A:ACCUM_OFFSET: 0
; COMPUTE_PGM_RSRC3_GFX90A:TG_SPLIT: 0
	.section	.text._ZN7rocprim17ROCPRIM_400000_NS6detail17trampoline_kernelINS0_14default_configENS1_25transform_config_selectorItLb0EEEZNS1_14transform_implILb0ES3_S5_NS0_18transform_iteratorINS0_17counting_iteratorImlEEZNS1_24adjacent_difference_implIS3_Lb1ELb0EPtN6thrust23THRUST_200600_302600_NS16discard_iteratorINSD_11use_defaultEEENSD_5minusItEEEE10hipError_tPvRmT2_T3_mT4_P12ihipStream_tbEUlmE_tEESB_NS0_8identityIvEEEESJ_SM_SN_mSO_SQ_bEUlT_E_NS1_11comp_targetILNS1_3genE8ELNS1_11target_archE1030ELNS1_3gpuE2ELNS1_3repE0EEENS1_30default_config_static_selectorELNS0_4arch9wavefront6targetE1EEEvT1_,"axG",@progbits,_ZN7rocprim17ROCPRIM_400000_NS6detail17trampoline_kernelINS0_14default_configENS1_25transform_config_selectorItLb0EEEZNS1_14transform_implILb0ES3_S5_NS0_18transform_iteratorINS0_17counting_iteratorImlEEZNS1_24adjacent_difference_implIS3_Lb1ELb0EPtN6thrust23THRUST_200600_302600_NS16discard_iteratorINSD_11use_defaultEEENSD_5minusItEEEE10hipError_tPvRmT2_T3_mT4_P12ihipStream_tbEUlmE_tEESB_NS0_8identityIvEEEESJ_SM_SN_mSO_SQ_bEUlT_E_NS1_11comp_targetILNS1_3genE8ELNS1_11target_archE1030ELNS1_3gpuE2ELNS1_3repE0EEENS1_30default_config_static_selectorELNS0_4arch9wavefront6targetE1EEEvT1_,comdat
	.protected	_ZN7rocprim17ROCPRIM_400000_NS6detail17trampoline_kernelINS0_14default_configENS1_25transform_config_selectorItLb0EEEZNS1_14transform_implILb0ES3_S5_NS0_18transform_iteratorINS0_17counting_iteratorImlEEZNS1_24adjacent_difference_implIS3_Lb1ELb0EPtN6thrust23THRUST_200600_302600_NS16discard_iteratorINSD_11use_defaultEEENSD_5minusItEEEE10hipError_tPvRmT2_T3_mT4_P12ihipStream_tbEUlmE_tEESB_NS0_8identityIvEEEESJ_SM_SN_mSO_SQ_bEUlT_E_NS1_11comp_targetILNS1_3genE8ELNS1_11target_archE1030ELNS1_3gpuE2ELNS1_3repE0EEENS1_30default_config_static_selectorELNS0_4arch9wavefront6targetE1EEEvT1_ ; -- Begin function _ZN7rocprim17ROCPRIM_400000_NS6detail17trampoline_kernelINS0_14default_configENS1_25transform_config_selectorItLb0EEEZNS1_14transform_implILb0ES3_S5_NS0_18transform_iteratorINS0_17counting_iteratorImlEEZNS1_24adjacent_difference_implIS3_Lb1ELb0EPtN6thrust23THRUST_200600_302600_NS16discard_iteratorINSD_11use_defaultEEENSD_5minusItEEEE10hipError_tPvRmT2_T3_mT4_P12ihipStream_tbEUlmE_tEESB_NS0_8identityIvEEEESJ_SM_SN_mSO_SQ_bEUlT_E_NS1_11comp_targetILNS1_3genE8ELNS1_11target_archE1030ELNS1_3gpuE2ELNS1_3repE0EEENS1_30default_config_static_selectorELNS0_4arch9wavefront6targetE1EEEvT1_
	.globl	_ZN7rocprim17ROCPRIM_400000_NS6detail17trampoline_kernelINS0_14default_configENS1_25transform_config_selectorItLb0EEEZNS1_14transform_implILb0ES3_S5_NS0_18transform_iteratorINS0_17counting_iteratorImlEEZNS1_24adjacent_difference_implIS3_Lb1ELb0EPtN6thrust23THRUST_200600_302600_NS16discard_iteratorINSD_11use_defaultEEENSD_5minusItEEEE10hipError_tPvRmT2_T3_mT4_P12ihipStream_tbEUlmE_tEESB_NS0_8identityIvEEEESJ_SM_SN_mSO_SQ_bEUlT_E_NS1_11comp_targetILNS1_3genE8ELNS1_11target_archE1030ELNS1_3gpuE2ELNS1_3repE0EEENS1_30default_config_static_selectorELNS0_4arch9wavefront6targetE1EEEvT1_
	.p2align	8
	.type	_ZN7rocprim17ROCPRIM_400000_NS6detail17trampoline_kernelINS0_14default_configENS1_25transform_config_selectorItLb0EEEZNS1_14transform_implILb0ES3_S5_NS0_18transform_iteratorINS0_17counting_iteratorImlEEZNS1_24adjacent_difference_implIS3_Lb1ELb0EPtN6thrust23THRUST_200600_302600_NS16discard_iteratorINSD_11use_defaultEEENSD_5minusItEEEE10hipError_tPvRmT2_T3_mT4_P12ihipStream_tbEUlmE_tEESB_NS0_8identityIvEEEESJ_SM_SN_mSO_SQ_bEUlT_E_NS1_11comp_targetILNS1_3genE8ELNS1_11target_archE1030ELNS1_3gpuE2ELNS1_3repE0EEENS1_30default_config_static_selectorELNS0_4arch9wavefront6targetE1EEEvT1_,@function
_ZN7rocprim17ROCPRIM_400000_NS6detail17trampoline_kernelINS0_14default_configENS1_25transform_config_selectorItLb0EEEZNS1_14transform_implILb0ES3_S5_NS0_18transform_iteratorINS0_17counting_iteratorImlEEZNS1_24adjacent_difference_implIS3_Lb1ELb0EPtN6thrust23THRUST_200600_302600_NS16discard_iteratorINSD_11use_defaultEEENSD_5minusItEEEE10hipError_tPvRmT2_T3_mT4_P12ihipStream_tbEUlmE_tEESB_NS0_8identityIvEEEESJ_SM_SN_mSO_SQ_bEUlT_E_NS1_11comp_targetILNS1_3genE8ELNS1_11target_archE1030ELNS1_3gpuE2ELNS1_3repE0EEENS1_30default_config_static_selectorELNS0_4arch9wavefront6targetE1EEEvT1_: ; @_ZN7rocprim17ROCPRIM_400000_NS6detail17trampoline_kernelINS0_14default_configENS1_25transform_config_selectorItLb0EEEZNS1_14transform_implILb0ES3_S5_NS0_18transform_iteratorINS0_17counting_iteratorImlEEZNS1_24adjacent_difference_implIS3_Lb1ELb0EPtN6thrust23THRUST_200600_302600_NS16discard_iteratorINSD_11use_defaultEEENSD_5minusItEEEE10hipError_tPvRmT2_T3_mT4_P12ihipStream_tbEUlmE_tEESB_NS0_8identityIvEEEESJ_SM_SN_mSO_SQ_bEUlT_E_NS1_11comp_targetILNS1_3genE8ELNS1_11target_archE1030ELNS1_3gpuE2ELNS1_3repE0EEENS1_30default_config_static_selectorELNS0_4arch9wavefront6targetE1EEEvT1_
; %bb.0:
	.section	.rodata,"a",@progbits
	.p2align	6, 0x0
	.amdhsa_kernel _ZN7rocprim17ROCPRIM_400000_NS6detail17trampoline_kernelINS0_14default_configENS1_25transform_config_selectorItLb0EEEZNS1_14transform_implILb0ES3_S5_NS0_18transform_iteratorINS0_17counting_iteratorImlEEZNS1_24adjacent_difference_implIS3_Lb1ELb0EPtN6thrust23THRUST_200600_302600_NS16discard_iteratorINSD_11use_defaultEEENSD_5minusItEEEE10hipError_tPvRmT2_T3_mT4_P12ihipStream_tbEUlmE_tEESB_NS0_8identityIvEEEESJ_SM_SN_mSO_SQ_bEUlT_E_NS1_11comp_targetILNS1_3genE8ELNS1_11target_archE1030ELNS1_3gpuE2ELNS1_3repE0EEENS1_30default_config_static_selectorELNS0_4arch9wavefront6targetE1EEEvT1_
		.amdhsa_group_segment_fixed_size 0
		.amdhsa_private_segment_fixed_size 0
		.amdhsa_kernarg_size 56
		.amdhsa_user_sgpr_count 6
		.amdhsa_user_sgpr_private_segment_buffer 1
		.amdhsa_user_sgpr_dispatch_ptr 0
		.amdhsa_user_sgpr_queue_ptr 0
		.amdhsa_user_sgpr_kernarg_segment_ptr 1
		.amdhsa_user_sgpr_dispatch_id 0
		.amdhsa_user_sgpr_flat_scratch_init 0
		.amdhsa_user_sgpr_kernarg_preload_length 0
		.amdhsa_user_sgpr_kernarg_preload_offset 0
		.amdhsa_user_sgpr_private_segment_size 0
		.amdhsa_uses_dynamic_stack 0
		.amdhsa_system_sgpr_private_segment_wavefront_offset 0
		.amdhsa_system_sgpr_workgroup_id_x 1
		.amdhsa_system_sgpr_workgroup_id_y 0
		.amdhsa_system_sgpr_workgroup_id_z 0
		.amdhsa_system_sgpr_workgroup_info 0
		.amdhsa_system_vgpr_workitem_id 0
		.amdhsa_next_free_vgpr 1
		.amdhsa_next_free_sgpr 0
		.amdhsa_accum_offset 4
		.amdhsa_reserve_vcc 0
		.amdhsa_reserve_flat_scratch 0
		.amdhsa_float_round_mode_32 0
		.amdhsa_float_round_mode_16_64 0
		.amdhsa_float_denorm_mode_32 3
		.amdhsa_float_denorm_mode_16_64 3
		.amdhsa_dx10_clamp 1
		.amdhsa_ieee_mode 1
		.amdhsa_fp16_overflow 0
		.amdhsa_tg_split 0
		.amdhsa_exception_fp_ieee_invalid_op 0
		.amdhsa_exception_fp_denorm_src 0
		.amdhsa_exception_fp_ieee_div_zero 0
		.amdhsa_exception_fp_ieee_overflow 0
		.amdhsa_exception_fp_ieee_underflow 0
		.amdhsa_exception_fp_ieee_inexact 0
		.amdhsa_exception_int_div_zero 0
	.end_amdhsa_kernel
	.section	.text._ZN7rocprim17ROCPRIM_400000_NS6detail17trampoline_kernelINS0_14default_configENS1_25transform_config_selectorItLb0EEEZNS1_14transform_implILb0ES3_S5_NS0_18transform_iteratorINS0_17counting_iteratorImlEEZNS1_24adjacent_difference_implIS3_Lb1ELb0EPtN6thrust23THRUST_200600_302600_NS16discard_iteratorINSD_11use_defaultEEENSD_5minusItEEEE10hipError_tPvRmT2_T3_mT4_P12ihipStream_tbEUlmE_tEESB_NS0_8identityIvEEEESJ_SM_SN_mSO_SQ_bEUlT_E_NS1_11comp_targetILNS1_3genE8ELNS1_11target_archE1030ELNS1_3gpuE2ELNS1_3repE0EEENS1_30default_config_static_selectorELNS0_4arch9wavefront6targetE1EEEvT1_,"axG",@progbits,_ZN7rocprim17ROCPRIM_400000_NS6detail17trampoline_kernelINS0_14default_configENS1_25transform_config_selectorItLb0EEEZNS1_14transform_implILb0ES3_S5_NS0_18transform_iteratorINS0_17counting_iteratorImlEEZNS1_24adjacent_difference_implIS3_Lb1ELb0EPtN6thrust23THRUST_200600_302600_NS16discard_iteratorINSD_11use_defaultEEENSD_5minusItEEEE10hipError_tPvRmT2_T3_mT4_P12ihipStream_tbEUlmE_tEESB_NS0_8identityIvEEEESJ_SM_SN_mSO_SQ_bEUlT_E_NS1_11comp_targetILNS1_3genE8ELNS1_11target_archE1030ELNS1_3gpuE2ELNS1_3repE0EEENS1_30default_config_static_selectorELNS0_4arch9wavefront6targetE1EEEvT1_,comdat
.Lfunc_end725:
	.size	_ZN7rocprim17ROCPRIM_400000_NS6detail17trampoline_kernelINS0_14default_configENS1_25transform_config_selectorItLb0EEEZNS1_14transform_implILb0ES3_S5_NS0_18transform_iteratorINS0_17counting_iteratorImlEEZNS1_24adjacent_difference_implIS3_Lb1ELb0EPtN6thrust23THRUST_200600_302600_NS16discard_iteratorINSD_11use_defaultEEENSD_5minusItEEEE10hipError_tPvRmT2_T3_mT4_P12ihipStream_tbEUlmE_tEESB_NS0_8identityIvEEEESJ_SM_SN_mSO_SQ_bEUlT_E_NS1_11comp_targetILNS1_3genE8ELNS1_11target_archE1030ELNS1_3gpuE2ELNS1_3repE0EEENS1_30default_config_static_selectorELNS0_4arch9wavefront6targetE1EEEvT1_, .Lfunc_end725-_ZN7rocprim17ROCPRIM_400000_NS6detail17trampoline_kernelINS0_14default_configENS1_25transform_config_selectorItLb0EEEZNS1_14transform_implILb0ES3_S5_NS0_18transform_iteratorINS0_17counting_iteratorImlEEZNS1_24adjacent_difference_implIS3_Lb1ELb0EPtN6thrust23THRUST_200600_302600_NS16discard_iteratorINSD_11use_defaultEEENSD_5minusItEEEE10hipError_tPvRmT2_T3_mT4_P12ihipStream_tbEUlmE_tEESB_NS0_8identityIvEEEESJ_SM_SN_mSO_SQ_bEUlT_E_NS1_11comp_targetILNS1_3genE8ELNS1_11target_archE1030ELNS1_3gpuE2ELNS1_3repE0EEENS1_30default_config_static_selectorELNS0_4arch9wavefront6targetE1EEEvT1_
                                        ; -- End function
	.section	.AMDGPU.csdata,"",@progbits
; Kernel info:
; codeLenInByte = 0
; NumSgprs: 4
; NumVgprs: 0
; NumAgprs: 0
; TotalNumVgprs: 0
; ScratchSize: 0
; MemoryBound: 0
; FloatMode: 240
; IeeeMode: 1
; LDSByteSize: 0 bytes/workgroup (compile time only)
; SGPRBlocks: 0
; VGPRBlocks: 0
; NumSGPRsForWavesPerEU: 4
; NumVGPRsForWavesPerEU: 1
; AccumOffset: 4
; Occupancy: 8
; WaveLimiterHint : 0
; COMPUTE_PGM_RSRC2:SCRATCH_EN: 0
; COMPUTE_PGM_RSRC2:USER_SGPR: 6
; COMPUTE_PGM_RSRC2:TRAP_HANDLER: 0
; COMPUTE_PGM_RSRC2:TGID_X_EN: 1
; COMPUTE_PGM_RSRC2:TGID_Y_EN: 0
; COMPUTE_PGM_RSRC2:TGID_Z_EN: 0
; COMPUTE_PGM_RSRC2:TIDIG_COMP_CNT: 0
; COMPUTE_PGM_RSRC3_GFX90A:ACCUM_OFFSET: 0
; COMPUTE_PGM_RSRC3_GFX90A:TG_SPLIT: 0
	.section	.text._ZN7rocprim17ROCPRIM_400000_NS6detail17trampoline_kernelINS0_14default_configENS1_35adjacent_difference_config_selectorILb1EtEEZNS1_24adjacent_difference_implIS3_Lb1ELb0EPtN6thrust23THRUST_200600_302600_NS16discard_iteratorINS9_11use_defaultEEENS9_5minusItEEEE10hipError_tPvRmT2_T3_mT4_P12ihipStream_tbEUlT_E_NS1_11comp_targetILNS1_3genE0ELNS1_11target_archE4294967295ELNS1_3gpuE0ELNS1_3repE0EEENS1_30default_config_static_selectorELNS0_4arch9wavefront6targetE1EEEvT1_,"axG",@progbits,_ZN7rocprim17ROCPRIM_400000_NS6detail17trampoline_kernelINS0_14default_configENS1_35adjacent_difference_config_selectorILb1EtEEZNS1_24adjacent_difference_implIS3_Lb1ELb0EPtN6thrust23THRUST_200600_302600_NS16discard_iteratorINS9_11use_defaultEEENS9_5minusItEEEE10hipError_tPvRmT2_T3_mT4_P12ihipStream_tbEUlT_E_NS1_11comp_targetILNS1_3genE0ELNS1_11target_archE4294967295ELNS1_3gpuE0ELNS1_3repE0EEENS1_30default_config_static_selectorELNS0_4arch9wavefront6targetE1EEEvT1_,comdat
	.protected	_ZN7rocprim17ROCPRIM_400000_NS6detail17trampoline_kernelINS0_14default_configENS1_35adjacent_difference_config_selectorILb1EtEEZNS1_24adjacent_difference_implIS3_Lb1ELb0EPtN6thrust23THRUST_200600_302600_NS16discard_iteratorINS9_11use_defaultEEENS9_5minusItEEEE10hipError_tPvRmT2_T3_mT4_P12ihipStream_tbEUlT_E_NS1_11comp_targetILNS1_3genE0ELNS1_11target_archE4294967295ELNS1_3gpuE0ELNS1_3repE0EEENS1_30default_config_static_selectorELNS0_4arch9wavefront6targetE1EEEvT1_ ; -- Begin function _ZN7rocprim17ROCPRIM_400000_NS6detail17trampoline_kernelINS0_14default_configENS1_35adjacent_difference_config_selectorILb1EtEEZNS1_24adjacent_difference_implIS3_Lb1ELb0EPtN6thrust23THRUST_200600_302600_NS16discard_iteratorINS9_11use_defaultEEENS9_5minusItEEEE10hipError_tPvRmT2_T3_mT4_P12ihipStream_tbEUlT_E_NS1_11comp_targetILNS1_3genE0ELNS1_11target_archE4294967295ELNS1_3gpuE0ELNS1_3repE0EEENS1_30default_config_static_selectorELNS0_4arch9wavefront6targetE1EEEvT1_
	.globl	_ZN7rocprim17ROCPRIM_400000_NS6detail17trampoline_kernelINS0_14default_configENS1_35adjacent_difference_config_selectorILb1EtEEZNS1_24adjacent_difference_implIS3_Lb1ELb0EPtN6thrust23THRUST_200600_302600_NS16discard_iteratorINS9_11use_defaultEEENS9_5minusItEEEE10hipError_tPvRmT2_T3_mT4_P12ihipStream_tbEUlT_E_NS1_11comp_targetILNS1_3genE0ELNS1_11target_archE4294967295ELNS1_3gpuE0ELNS1_3repE0EEENS1_30default_config_static_selectorELNS0_4arch9wavefront6targetE1EEEvT1_
	.p2align	8
	.type	_ZN7rocprim17ROCPRIM_400000_NS6detail17trampoline_kernelINS0_14default_configENS1_35adjacent_difference_config_selectorILb1EtEEZNS1_24adjacent_difference_implIS3_Lb1ELb0EPtN6thrust23THRUST_200600_302600_NS16discard_iteratorINS9_11use_defaultEEENS9_5minusItEEEE10hipError_tPvRmT2_T3_mT4_P12ihipStream_tbEUlT_E_NS1_11comp_targetILNS1_3genE0ELNS1_11target_archE4294967295ELNS1_3gpuE0ELNS1_3repE0EEENS1_30default_config_static_selectorELNS0_4arch9wavefront6targetE1EEEvT1_,@function
_ZN7rocprim17ROCPRIM_400000_NS6detail17trampoline_kernelINS0_14default_configENS1_35adjacent_difference_config_selectorILb1EtEEZNS1_24adjacent_difference_implIS3_Lb1ELb0EPtN6thrust23THRUST_200600_302600_NS16discard_iteratorINS9_11use_defaultEEENS9_5minusItEEEE10hipError_tPvRmT2_T3_mT4_P12ihipStream_tbEUlT_E_NS1_11comp_targetILNS1_3genE0ELNS1_11target_archE4294967295ELNS1_3gpuE0ELNS1_3repE0EEENS1_30default_config_static_selectorELNS0_4arch9wavefront6targetE1EEEvT1_: ; @_ZN7rocprim17ROCPRIM_400000_NS6detail17trampoline_kernelINS0_14default_configENS1_35adjacent_difference_config_selectorILb1EtEEZNS1_24adjacent_difference_implIS3_Lb1ELb0EPtN6thrust23THRUST_200600_302600_NS16discard_iteratorINS9_11use_defaultEEENS9_5minusItEEEE10hipError_tPvRmT2_T3_mT4_P12ihipStream_tbEUlT_E_NS1_11comp_targetILNS1_3genE0ELNS1_11target_archE4294967295ELNS1_3gpuE0ELNS1_3repE0EEENS1_30default_config_static_selectorELNS0_4arch9wavefront6targetE1EEEvT1_
; %bb.0:
	.section	.rodata,"a",@progbits
	.p2align	6, 0x0
	.amdhsa_kernel _ZN7rocprim17ROCPRIM_400000_NS6detail17trampoline_kernelINS0_14default_configENS1_35adjacent_difference_config_selectorILb1EtEEZNS1_24adjacent_difference_implIS3_Lb1ELb0EPtN6thrust23THRUST_200600_302600_NS16discard_iteratorINS9_11use_defaultEEENS9_5minusItEEEE10hipError_tPvRmT2_T3_mT4_P12ihipStream_tbEUlT_E_NS1_11comp_targetILNS1_3genE0ELNS1_11target_archE4294967295ELNS1_3gpuE0ELNS1_3repE0EEENS1_30default_config_static_selectorELNS0_4arch9wavefront6targetE1EEEvT1_
		.amdhsa_group_segment_fixed_size 0
		.amdhsa_private_segment_fixed_size 0
		.amdhsa_kernarg_size 64
		.amdhsa_user_sgpr_count 6
		.amdhsa_user_sgpr_private_segment_buffer 1
		.amdhsa_user_sgpr_dispatch_ptr 0
		.amdhsa_user_sgpr_queue_ptr 0
		.amdhsa_user_sgpr_kernarg_segment_ptr 1
		.amdhsa_user_sgpr_dispatch_id 0
		.amdhsa_user_sgpr_flat_scratch_init 0
		.amdhsa_user_sgpr_kernarg_preload_length 0
		.amdhsa_user_sgpr_kernarg_preload_offset 0
		.amdhsa_user_sgpr_private_segment_size 0
		.amdhsa_uses_dynamic_stack 0
		.amdhsa_system_sgpr_private_segment_wavefront_offset 0
		.amdhsa_system_sgpr_workgroup_id_x 1
		.amdhsa_system_sgpr_workgroup_id_y 0
		.amdhsa_system_sgpr_workgroup_id_z 0
		.amdhsa_system_sgpr_workgroup_info 0
		.amdhsa_system_vgpr_workitem_id 0
		.amdhsa_next_free_vgpr 1
		.amdhsa_next_free_sgpr 0
		.amdhsa_accum_offset 4
		.amdhsa_reserve_vcc 0
		.amdhsa_reserve_flat_scratch 0
		.amdhsa_float_round_mode_32 0
		.amdhsa_float_round_mode_16_64 0
		.amdhsa_float_denorm_mode_32 3
		.amdhsa_float_denorm_mode_16_64 3
		.amdhsa_dx10_clamp 1
		.amdhsa_ieee_mode 1
		.amdhsa_fp16_overflow 0
		.amdhsa_tg_split 0
		.amdhsa_exception_fp_ieee_invalid_op 0
		.amdhsa_exception_fp_denorm_src 0
		.amdhsa_exception_fp_ieee_div_zero 0
		.amdhsa_exception_fp_ieee_overflow 0
		.amdhsa_exception_fp_ieee_underflow 0
		.amdhsa_exception_fp_ieee_inexact 0
		.amdhsa_exception_int_div_zero 0
	.end_amdhsa_kernel
	.section	.text._ZN7rocprim17ROCPRIM_400000_NS6detail17trampoline_kernelINS0_14default_configENS1_35adjacent_difference_config_selectorILb1EtEEZNS1_24adjacent_difference_implIS3_Lb1ELb0EPtN6thrust23THRUST_200600_302600_NS16discard_iteratorINS9_11use_defaultEEENS9_5minusItEEEE10hipError_tPvRmT2_T3_mT4_P12ihipStream_tbEUlT_E_NS1_11comp_targetILNS1_3genE0ELNS1_11target_archE4294967295ELNS1_3gpuE0ELNS1_3repE0EEENS1_30default_config_static_selectorELNS0_4arch9wavefront6targetE1EEEvT1_,"axG",@progbits,_ZN7rocprim17ROCPRIM_400000_NS6detail17trampoline_kernelINS0_14default_configENS1_35adjacent_difference_config_selectorILb1EtEEZNS1_24adjacent_difference_implIS3_Lb1ELb0EPtN6thrust23THRUST_200600_302600_NS16discard_iteratorINS9_11use_defaultEEENS9_5minusItEEEE10hipError_tPvRmT2_T3_mT4_P12ihipStream_tbEUlT_E_NS1_11comp_targetILNS1_3genE0ELNS1_11target_archE4294967295ELNS1_3gpuE0ELNS1_3repE0EEENS1_30default_config_static_selectorELNS0_4arch9wavefront6targetE1EEEvT1_,comdat
.Lfunc_end726:
	.size	_ZN7rocprim17ROCPRIM_400000_NS6detail17trampoline_kernelINS0_14default_configENS1_35adjacent_difference_config_selectorILb1EtEEZNS1_24adjacent_difference_implIS3_Lb1ELb0EPtN6thrust23THRUST_200600_302600_NS16discard_iteratorINS9_11use_defaultEEENS9_5minusItEEEE10hipError_tPvRmT2_T3_mT4_P12ihipStream_tbEUlT_E_NS1_11comp_targetILNS1_3genE0ELNS1_11target_archE4294967295ELNS1_3gpuE0ELNS1_3repE0EEENS1_30default_config_static_selectorELNS0_4arch9wavefront6targetE1EEEvT1_, .Lfunc_end726-_ZN7rocprim17ROCPRIM_400000_NS6detail17trampoline_kernelINS0_14default_configENS1_35adjacent_difference_config_selectorILb1EtEEZNS1_24adjacent_difference_implIS3_Lb1ELb0EPtN6thrust23THRUST_200600_302600_NS16discard_iteratorINS9_11use_defaultEEENS9_5minusItEEEE10hipError_tPvRmT2_T3_mT4_P12ihipStream_tbEUlT_E_NS1_11comp_targetILNS1_3genE0ELNS1_11target_archE4294967295ELNS1_3gpuE0ELNS1_3repE0EEENS1_30default_config_static_selectorELNS0_4arch9wavefront6targetE1EEEvT1_
                                        ; -- End function
	.section	.AMDGPU.csdata,"",@progbits
; Kernel info:
; codeLenInByte = 0
; NumSgprs: 4
; NumVgprs: 0
; NumAgprs: 0
; TotalNumVgprs: 0
; ScratchSize: 0
; MemoryBound: 0
; FloatMode: 240
; IeeeMode: 1
; LDSByteSize: 0 bytes/workgroup (compile time only)
; SGPRBlocks: 0
; VGPRBlocks: 0
; NumSGPRsForWavesPerEU: 4
; NumVGPRsForWavesPerEU: 1
; AccumOffset: 4
; Occupancy: 8
; WaveLimiterHint : 0
; COMPUTE_PGM_RSRC2:SCRATCH_EN: 0
; COMPUTE_PGM_RSRC2:USER_SGPR: 6
; COMPUTE_PGM_RSRC2:TRAP_HANDLER: 0
; COMPUTE_PGM_RSRC2:TGID_X_EN: 1
; COMPUTE_PGM_RSRC2:TGID_Y_EN: 0
; COMPUTE_PGM_RSRC2:TGID_Z_EN: 0
; COMPUTE_PGM_RSRC2:TIDIG_COMP_CNT: 0
; COMPUTE_PGM_RSRC3_GFX90A:ACCUM_OFFSET: 0
; COMPUTE_PGM_RSRC3_GFX90A:TG_SPLIT: 0
	.section	.text._ZN7rocprim17ROCPRIM_400000_NS6detail17trampoline_kernelINS0_14default_configENS1_35adjacent_difference_config_selectorILb1EtEEZNS1_24adjacent_difference_implIS3_Lb1ELb0EPtN6thrust23THRUST_200600_302600_NS16discard_iteratorINS9_11use_defaultEEENS9_5minusItEEEE10hipError_tPvRmT2_T3_mT4_P12ihipStream_tbEUlT_E_NS1_11comp_targetILNS1_3genE10ELNS1_11target_archE1201ELNS1_3gpuE5ELNS1_3repE0EEENS1_30default_config_static_selectorELNS0_4arch9wavefront6targetE1EEEvT1_,"axG",@progbits,_ZN7rocprim17ROCPRIM_400000_NS6detail17trampoline_kernelINS0_14default_configENS1_35adjacent_difference_config_selectorILb1EtEEZNS1_24adjacent_difference_implIS3_Lb1ELb0EPtN6thrust23THRUST_200600_302600_NS16discard_iteratorINS9_11use_defaultEEENS9_5minusItEEEE10hipError_tPvRmT2_T3_mT4_P12ihipStream_tbEUlT_E_NS1_11comp_targetILNS1_3genE10ELNS1_11target_archE1201ELNS1_3gpuE5ELNS1_3repE0EEENS1_30default_config_static_selectorELNS0_4arch9wavefront6targetE1EEEvT1_,comdat
	.protected	_ZN7rocprim17ROCPRIM_400000_NS6detail17trampoline_kernelINS0_14default_configENS1_35adjacent_difference_config_selectorILb1EtEEZNS1_24adjacent_difference_implIS3_Lb1ELb0EPtN6thrust23THRUST_200600_302600_NS16discard_iteratorINS9_11use_defaultEEENS9_5minusItEEEE10hipError_tPvRmT2_T3_mT4_P12ihipStream_tbEUlT_E_NS1_11comp_targetILNS1_3genE10ELNS1_11target_archE1201ELNS1_3gpuE5ELNS1_3repE0EEENS1_30default_config_static_selectorELNS0_4arch9wavefront6targetE1EEEvT1_ ; -- Begin function _ZN7rocprim17ROCPRIM_400000_NS6detail17trampoline_kernelINS0_14default_configENS1_35adjacent_difference_config_selectorILb1EtEEZNS1_24adjacent_difference_implIS3_Lb1ELb0EPtN6thrust23THRUST_200600_302600_NS16discard_iteratorINS9_11use_defaultEEENS9_5minusItEEEE10hipError_tPvRmT2_T3_mT4_P12ihipStream_tbEUlT_E_NS1_11comp_targetILNS1_3genE10ELNS1_11target_archE1201ELNS1_3gpuE5ELNS1_3repE0EEENS1_30default_config_static_selectorELNS0_4arch9wavefront6targetE1EEEvT1_
	.globl	_ZN7rocprim17ROCPRIM_400000_NS6detail17trampoline_kernelINS0_14default_configENS1_35adjacent_difference_config_selectorILb1EtEEZNS1_24adjacent_difference_implIS3_Lb1ELb0EPtN6thrust23THRUST_200600_302600_NS16discard_iteratorINS9_11use_defaultEEENS9_5minusItEEEE10hipError_tPvRmT2_T3_mT4_P12ihipStream_tbEUlT_E_NS1_11comp_targetILNS1_3genE10ELNS1_11target_archE1201ELNS1_3gpuE5ELNS1_3repE0EEENS1_30default_config_static_selectorELNS0_4arch9wavefront6targetE1EEEvT1_
	.p2align	8
	.type	_ZN7rocprim17ROCPRIM_400000_NS6detail17trampoline_kernelINS0_14default_configENS1_35adjacent_difference_config_selectorILb1EtEEZNS1_24adjacent_difference_implIS3_Lb1ELb0EPtN6thrust23THRUST_200600_302600_NS16discard_iteratorINS9_11use_defaultEEENS9_5minusItEEEE10hipError_tPvRmT2_T3_mT4_P12ihipStream_tbEUlT_E_NS1_11comp_targetILNS1_3genE10ELNS1_11target_archE1201ELNS1_3gpuE5ELNS1_3repE0EEENS1_30default_config_static_selectorELNS0_4arch9wavefront6targetE1EEEvT1_,@function
_ZN7rocprim17ROCPRIM_400000_NS6detail17trampoline_kernelINS0_14default_configENS1_35adjacent_difference_config_selectorILb1EtEEZNS1_24adjacent_difference_implIS3_Lb1ELb0EPtN6thrust23THRUST_200600_302600_NS16discard_iteratorINS9_11use_defaultEEENS9_5minusItEEEE10hipError_tPvRmT2_T3_mT4_P12ihipStream_tbEUlT_E_NS1_11comp_targetILNS1_3genE10ELNS1_11target_archE1201ELNS1_3gpuE5ELNS1_3repE0EEENS1_30default_config_static_selectorELNS0_4arch9wavefront6targetE1EEEvT1_: ; @_ZN7rocprim17ROCPRIM_400000_NS6detail17trampoline_kernelINS0_14default_configENS1_35adjacent_difference_config_selectorILb1EtEEZNS1_24adjacent_difference_implIS3_Lb1ELb0EPtN6thrust23THRUST_200600_302600_NS16discard_iteratorINS9_11use_defaultEEENS9_5minusItEEEE10hipError_tPvRmT2_T3_mT4_P12ihipStream_tbEUlT_E_NS1_11comp_targetILNS1_3genE10ELNS1_11target_archE1201ELNS1_3gpuE5ELNS1_3repE0EEENS1_30default_config_static_selectorELNS0_4arch9wavefront6targetE1EEEvT1_
; %bb.0:
	.section	.rodata,"a",@progbits
	.p2align	6, 0x0
	.amdhsa_kernel _ZN7rocprim17ROCPRIM_400000_NS6detail17trampoline_kernelINS0_14default_configENS1_35adjacent_difference_config_selectorILb1EtEEZNS1_24adjacent_difference_implIS3_Lb1ELb0EPtN6thrust23THRUST_200600_302600_NS16discard_iteratorINS9_11use_defaultEEENS9_5minusItEEEE10hipError_tPvRmT2_T3_mT4_P12ihipStream_tbEUlT_E_NS1_11comp_targetILNS1_3genE10ELNS1_11target_archE1201ELNS1_3gpuE5ELNS1_3repE0EEENS1_30default_config_static_selectorELNS0_4arch9wavefront6targetE1EEEvT1_
		.amdhsa_group_segment_fixed_size 0
		.amdhsa_private_segment_fixed_size 0
		.amdhsa_kernarg_size 64
		.amdhsa_user_sgpr_count 6
		.amdhsa_user_sgpr_private_segment_buffer 1
		.amdhsa_user_sgpr_dispatch_ptr 0
		.amdhsa_user_sgpr_queue_ptr 0
		.amdhsa_user_sgpr_kernarg_segment_ptr 1
		.amdhsa_user_sgpr_dispatch_id 0
		.amdhsa_user_sgpr_flat_scratch_init 0
		.amdhsa_user_sgpr_kernarg_preload_length 0
		.amdhsa_user_sgpr_kernarg_preload_offset 0
		.amdhsa_user_sgpr_private_segment_size 0
		.amdhsa_uses_dynamic_stack 0
		.amdhsa_system_sgpr_private_segment_wavefront_offset 0
		.amdhsa_system_sgpr_workgroup_id_x 1
		.amdhsa_system_sgpr_workgroup_id_y 0
		.amdhsa_system_sgpr_workgroup_id_z 0
		.amdhsa_system_sgpr_workgroup_info 0
		.amdhsa_system_vgpr_workitem_id 0
		.amdhsa_next_free_vgpr 1
		.amdhsa_next_free_sgpr 0
		.amdhsa_accum_offset 4
		.amdhsa_reserve_vcc 0
		.amdhsa_reserve_flat_scratch 0
		.amdhsa_float_round_mode_32 0
		.amdhsa_float_round_mode_16_64 0
		.amdhsa_float_denorm_mode_32 3
		.amdhsa_float_denorm_mode_16_64 3
		.amdhsa_dx10_clamp 1
		.amdhsa_ieee_mode 1
		.amdhsa_fp16_overflow 0
		.amdhsa_tg_split 0
		.amdhsa_exception_fp_ieee_invalid_op 0
		.amdhsa_exception_fp_denorm_src 0
		.amdhsa_exception_fp_ieee_div_zero 0
		.amdhsa_exception_fp_ieee_overflow 0
		.amdhsa_exception_fp_ieee_underflow 0
		.amdhsa_exception_fp_ieee_inexact 0
		.amdhsa_exception_int_div_zero 0
	.end_amdhsa_kernel
	.section	.text._ZN7rocprim17ROCPRIM_400000_NS6detail17trampoline_kernelINS0_14default_configENS1_35adjacent_difference_config_selectorILb1EtEEZNS1_24adjacent_difference_implIS3_Lb1ELb0EPtN6thrust23THRUST_200600_302600_NS16discard_iteratorINS9_11use_defaultEEENS9_5minusItEEEE10hipError_tPvRmT2_T3_mT4_P12ihipStream_tbEUlT_E_NS1_11comp_targetILNS1_3genE10ELNS1_11target_archE1201ELNS1_3gpuE5ELNS1_3repE0EEENS1_30default_config_static_selectorELNS0_4arch9wavefront6targetE1EEEvT1_,"axG",@progbits,_ZN7rocprim17ROCPRIM_400000_NS6detail17trampoline_kernelINS0_14default_configENS1_35adjacent_difference_config_selectorILb1EtEEZNS1_24adjacent_difference_implIS3_Lb1ELb0EPtN6thrust23THRUST_200600_302600_NS16discard_iteratorINS9_11use_defaultEEENS9_5minusItEEEE10hipError_tPvRmT2_T3_mT4_P12ihipStream_tbEUlT_E_NS1_11comp_targetILNS1_3genE10ELNS1_11target_archE1201ELNS1_3gpuE5ELNS1_3repE0EEENS1_30default_config_static_selectorELNS0_4arch9wavefront6targetE1EEEvT1_,comdat
.Lfunc_end727:
	.size	_ZN7rocprim17ROCPRIM_400000_NS6detail17trampoline_kernelINS0_14default_configENS1_35adjacent_difference_config_selectorILb1EtEEZNS1_24adjacent_difference_implIS3_Lb1ELb0EPtN6thrust23THRUST_200600_302600_NS16discard_iteratorINS9_11use_defaultEEENS9_5minusItEEEE10hipError_tPvRmT2_T3_mT4_P12ihipStream_tbEUlT_E_NS1_11comp_targetILNS1_3genE10ELNS1_11target_archE1201ELNS1_3gpuE5ELNS1_3repE0EEENS1_30default_config_static_selectorELNS0_4arch9wavefront6targetE1EEEvT1_, .Lfunc_end727-_ZN7rocprim17ROCPRIM_400000_NS6detail17trampoline_kernelINS0_14default_configENS1_35adjacent_difference_config_selectorILb1EtEEZNS1_24adjacent_difference_implIS3_Lb1ELb0EPtN6thrust23THRUST_200600_302600_NS16discard_iteratorINS9_11use_defaultEEENS9_5minusItEEEE10hipError_tPvRmT2_T3_mT4_P12ihipStream_tbEUlT_E_NS1_11comp_targetILNS1_3genE10ELNS1_11target_archE1201ELNS1_3gpuE5ELNS1_3repE0EEENS1_30default_config_static_selectorELNS0_4arch9wavefront6targetE1EEEvT1_
                                        ; -- End function
	.section	.AMDGPU.csdata,"",@progbits
; Kernel info:
; codeLenInByte = 0
; NumSgprs: 4
; NumVgprs: 0
; NumAgprs: 0
; TotalNumVgprs: 0
; ScratchSize: 0
; MemoryBound: 0
; FloatMode: 240
; IeeeMode: 1
; LDSByteSize: 0 bytes/workgroup (compile time only)
; SGPRBlocks: 0
; VGPRBlocks: 0
; NumSGPRsForWavesPerEU: 4
; NumVGPRsForWavesPerEU: 1
; AccumOffset: 4
; Occupancy: 8
; WaveLimiterHint : 0
; COMPUTE_PGM_RSRC2:SCRATCH_EN: 0
; COMPUTE_PGM_RSRC2:USER_SGPR: 6
; COMPUTE_PGM_RSRC2:TRAP_HANDLER: 0
; COMPUTE_PGM_RSRC2:TGID_X_EN: 1
; COMPUTE_PGM_RSRC2:TGID_Y_EN: 0
; COMPUTE_PGM_RSRC2:TGID_Z_EN: 0
; COMPUTE_PGM_RSRC2:TIDIG_COMP_CNT: 0
; COMPUTE_PGM_RSRC3_GFX90A:ACCUM_OFFSET: 0
; COMPUTE_PGM_RSRC3_GFX90A:TG_SPLIT: 0
	.section	.text._ZN7rocprim17ROCPRIM_400000_NS6detail17trampoline_kernelINS0_14default_configENS1_35adjacent_difference_config_selectorILb1EtEEZNS1_24adjacent_difference_implIS3_Lb1ELb0EPtN6thrust23THRUST_200600_302600_NS16discard_iteratorINS9_11use_defaultEEENS9_5minusItEEEE10hipError_tPvRmT2_T3_mT4_P12ihipStream_tbEUlT_E_NS1_11comp_targetILNS1_3genE5ELNS1_11target_archE942ELNS1_3gpuE9ELNS1_3repE0EEENS1_30default_config_static_selectorELNS0_4arch9wavefront6targetE1EEEvT1_,"axG",@progbits,_ZN7rocprim17ROCPRIM_400000_NS6detail17trampoline_kernelINS0_14default_configENS1_35adjacent_difference_config_selectorILb1EtEEZNS1_24adjacent_difference_implIS3_Lb1ELb0EPtN6thrust23THRUST_200600_302600_NS16discard_iteratorINS9_11use_defaultEEENS9_5minusItEEEE10hipError_tPvRmT2_T3_mT4_P12ihipStream_tbEUlT_E_NS1_11comp_targetILNS1_3genE5ELNS1_11target_archE942ELNS1_3gpuE9ELNS1_3repE0EEENS1_30default_config_static_selectorELNS0_4arch9wavefront6targetE1EEEvT1_,comdat
	.protected	_ZN7rocprim17ROCPRIM_400000_NS6detail17trampoline_kernelINS0_14default_configENS1_35adjacent_difference_config_selectorILb1EtEEZNS1_24adjacent_difference_implIS3_Lb1ELb0EPtN6thrust23THRUST_200600_302600_NS16discard_iteratorINS9_11use_defaultEEENS9_5minusItEEEE10hipError_tPvRmT2_T3_mT4_P12ihipStream_tbEUlT_E_NS1_11comp_targetILNS1_3genE5ELNS1_11target_archE942ELNS1_3gpuE9ELNS1_3repE0EEENS1_30default_config_static_selectorELNS0_4arch9wavefront6targetE1EEEvT1_ ; -- Begin function _ZN7rocprim17ROCPRIM_400000_NS6detail17trampoline_kernelINS0_14default_configENS1_35adjacent_difference_config_selectorILb1EtEEZNS1_24adjacent_difference_implIS3_Lb1ELb0EPtN6thrust23THRUST_200600_302600_NS16discard_iteratorINS9_11use_defaultEEENS9_5minusItEEEE10hipError_tPvRmT2_T3_mT4_P12ihipStream_tbEUlT_E_NS1_11comp_targetILNS1_3genE5ELNS1_11target_archE942ELNS1_3gpuE9ELNS1_3repE0EEENS1_30default_config_static_selectorELNS0_4arch9wavefront6targetE1EEEvT1_
	.globl	_ZN7rocprim17ROCPRIM_400000_NS6detail17trampoline_kernelINS0_14default_configENS1_35adjacent_difference_config_selectorILb1EtEEZNS1_24adjacent_difference_implIS3_Lb1ELb0EPtN6thrust23THRUST_200600_302600_NS16discard_iteratorINS9_11use_defaultEEENS9_5minusItEEEE10hipError_tPvRmT2_T3_mT4_P12ihipStream_tbEUlT_E_NS1_11comp_targetILNS1_3genE5ELNS1_11target_archE942ELNS1_3gpuE9ELNS1_3repE0EEENS1_30default_config_static_selectorELNS0_4arch9wavefront6targetE1EEEvT1_
	.p2align	8
	.type	_ZN7rocprim17ROCPRIM_400000_NS6detail17trampoline_kernelINS0_14default_configENS1_35adjacent_difference_config_selectorILb1EtEEZNS1_24adjacent_difference_implIS3_Lb1ELb0EPtN6thrust23THRUST_200600_302600_NS16discard_iteratorINS9_11use_defaultEEENS9_5minusItEEEE10hipError_tPvRmT2_T3_mT4_P12ihipStream_tbEUlT_E_NS1_11comp_targetILNS1_3genE5ELNS1_11target_archE942ELNS1_3gpuE9ELNS1_3repE0EEENS1_30default_config_static_selectorELNS0_4arch9wavefront6targetE1EEEvT1_,@function
_ZN7rocprim17ROCPRIM_400000_NS6detail17trampoline_kernelINS0_14default_configENS1_35adjacent_difference_config_selectorILb1EtEEZNS1_24adjacent_difference_implIS3_Lb1ELb0EPtN6thrust23THRUST_200600_302600_NS16discard_iteratorINS9_11use_defaultEEENS9_5minusItEEEE10hipError_tPvRmT2_T3_mT4_P12ihipStream_tbEUlT_E_NS1_11comp_targetILNS1_3genE5ELNS1_11target_archE942ELNS1_3gpuE9ELNS1_3repE0EEENS1_30default_config_static_selectorELNS0_4arch9wavefront6targetE1EEEvT1_: ; @_ZN7rocprim17ROCPRIM_400000_NS6detail17trampoline_kernelINS0_14default_configENS1_35adjacent_difference_config_selectorILb1EtEEZNS1_24adjacent_difference_implIS3_Lb1ELb0EPtN6thrust23THRUST_200600_302600_NS16discard_iteratorINS9_11use_defaultEEENS9_5minusItEEEE10hipError_tPvRmT2_T3_mT4_P12ihipStream_tbEUlT_E_NS1_11comp_targetILNS1_3genE5ELNS1_11target_archE942ELNS1_3gpuE9ELNS1_3repE0EEENS1_30default_config_static_selectorELNS0_4arch9wavefront6targetE1EEEvT1_
; %bb.0:
	.section	.rodata,"a",@progbits
	.p2align	6, 0x0
	.amdhsa_kernel _ZN7rocprim17ROCPRIM_400000_NS6detail17trampoline_kernelINS0_14default_configENS1_35adjacent_difference_config_selectorILb1EtEEZNS1_24adjacent_difference_implIS3_Lb1ELb0EPtN6thrust23THRUST_200600_302600_NS16discard_iteratorINS9_11use_defaultEEENS9_5minusItEEEE10hipError_tPvRmT2_T3_mT4_P12ihipStream_tbEUlT_E_NS1_11comp_targetILNS1_3genE5ELNS1_11target_archE942ELNS1_3gpuE9ELNS1_3repE0EEENS1_30default_config_static_selectorELNS0_4arch9wavefront6targetE1EEEvT1_
		.amdhsa_group_segment_fixed_size 0
		.amdhsa_private_segment_fixed_size 0
		.amdhsa_kernarg_size 64
		.amdhsa_user_sgpr_count 6
		.amdhsa_user_sgpr_private_segment_buffer 1
		.amdhsa_user_sgpr_dispatch_ptr 0
		.amdhsa_user_sgpr_queue_ptr 0
		.amdhsa_user_sgpr_kernarg_segment_ptr 1
		.amdhsa_user_sgpr_dispatch_id 0
		.amdhsa_user_sgpr_flat_scratch_init 0
		.amdhsa_user_sgpr_kernarg_preload_length 0
		.amdhsa_user_sgpr_kernarg_preload_offset 0
		.amdhsa_user_sgpr_private_segment_size 0
		.amdhsa_uses_dynamic_stack 0
		.amdhsa_system_sgpr_private_segment_wavefront_offset 0
		.amdhsa_system_sgpr_workgroup_id_x 1
		.amdhsa_system_sgpr_workgroup_id_y 0
		.amdhsa_system_sgpr_workgroup_id_z 0
		.amdhsa_system_sgpr_workgroup_info 0
		.amdhsa_system_vgpr_workitem_id 0
		.amdhsa_next_free_vgpr 1
		.amdhsa_next_free_sgpr 0
		.amdhsa_accum_offset 4
		.amdhsa_reserve_vcc 0
		.amdhsa_reserve_flat_scratch 0
		.amdhsa_float_round_mode_32 0
		.amdhsa_float_round_mode_16_64 0
		.amdhsa_float_denorm_mode_32 3
		.amdhsa_float_denorm_mode_16_64 3
		.amdhsa_dx10_clamp 1
		.amdhsa_ieee_mode 1
		.amdhsa_fp16_overflow 0
		.amdhsa_tg_split 0
		.amdhsa_exception_fp_ieee_invalid_op 0
		.amdhsa_exception_fp_denorm_src 0
		.amdhsa_exception_fp_ieee_div_zero 0
		.amdhsa_exception_fp_ieee_overflow 0
		.amdhsa_exception_fp_ieee_underflow 0
		.amdhsa_exception_fp_ieee_inexact 0
		.amdhsa_exception_int_div_zero 0
	.end_amdhsa_kernel
	.section	.text._ZN7rocprim17ROCPRIM_400000_NS6detail17trampoline_kernelINS0_14default_configENS1_35adjacent_difference_config_selectorILb1EtEEZNS1_24adjacent_difference_implIS3_Lb1ELb0EPtN6thrust23THRUST_200600_302600_NS16discard_iteratorINS9_11use_defaultEEENS9_5minusItEEEE10hipError_tPvRmT2_T3_mT4_P12ihipStream_tbEUlT_E_NS1_11comp_targetILNS1_3genE5ELNS1_11target_archE942ELNS1_3gpuE9ELNS1_3repE0EEENS1_30default_config_static_selectorELNS0_4arch9wavefront6targetE1EEEvT1_,"axG",@progbits,_ZN7rocprim17ROCPRIM_400000_NS6detail17trampoline_kernelINS0_14default_configENS1_35adjacent_difference_config_selectorILb1EtEEZNS1_24adjacent_difference_implIS3_Lb1ELb0EPtN6thrust23THRUST_200600_302600_NS16discard_iteratorINS9_11use_defaultEEENS9_5minusItEEEE10hipError_tPvRmT2_T3_mT4_P12ihipStream_tbEUlT_E_NS1_11comp_targetILNS1_3genE5ELNS1_11target_archE942ELNS1_3gpuE9ELNS1_3repE0EEENS1_30default_config_static_selectorELNS0_4arch9wavefront6targetE1EEEvT1_,comdat
.Lfunc_end728:
	.size	_ZN7rocprim17ROCPRIM_400000_NS6detail17trampoline_kernelINS0_14default_configENS1_35adjacent_difference_config_selectorILb1EtEEZNS1_24adjacent_difference_implIS3_Lb1ELb0EPtN6thrust23THRUST_200600_302600_NS16discard_iteratorINS9_11use_defaultEEENS9_5minusItEEEE10hipError_tPvRmT2_T3_mT4_P12ihipStream_tbEUlT_E_NS1_11comp_targetILNS1_3genE5ELNS1_11target_archE942ELNS1_3gpuE9ELNS1_3repE0EEENS1_30default_config_static_selectorELNS0_4arch9wavefront6targetE1EEEvT1_, .Lfunc_end728-_ZN7rocprim17ROCPRIM_400000_NS6detail17trampoline_kernelINS0_14default_configENS1_35adjacent_difference_config_selectorILb1EtEEZNS1_24adjacent_difference_implIS3_Lb1ELb0EPtN6thrust23THRUST_200600_302600_NS16discard_iteratorINS9_11use_defaultEEENS9_5minusItEEEE10hipError_tPvRmT2_T3_mT4_P12ihipStream_tbEUlT_E_NS1_11comp_targetILNS1_3genE5ELNS1_11target_archE942ELNS1_3gpuE9ELNS1_3repE0EEENS1_30default_config_static_selectorELNS0_4arch9wavefront6targetE1EEEvT1_
                                        ; -- End function
	.section	.AMDGPU.csdata,"",@progbits
; Kernel info:
; codeLenInByte = 0
; NumSgprs: 4
; NumVgprs: 0
; NumAgprs: 0
; TotalNumVgprs: 0
; ScratchSize: 0
; MemoryBound: 0
; FloatMode: 240
; IeeeMode: 1
; LDSByteSize: 0 bytes/workgroup (compile time only)
; SGPRBlocks: 0
; VGPRBlocks: 0
; NumSGPRsForWavesPerEU: 4
; NumVGPRsForWavesPerEU: 1
; AccumOffset: 4
; Occupancy: 8
; WaveLimiterHint : 0
; COMPUTE_PGM_RSRC2:SCRATCH_EN: 0
; COMPUTE_PGM_RSRC2:USER_SGPR: 6
; COMPUTE_PGM_RSRC2:TRAP_HANDLER: 0
; COMPUTE_PGM_RSRC2:TGID_X_EN: 1
; COMPUTE_PGM_RSRC2:TGID_Y_EN: 0
; COMPUTE_PGM_RSRC2:TGID_Z_EN: 0
; COMPUTE_PGM_RSRC2:TIDIG_COMP_CNT: 0
; COMPUTE_PGM_RSRC3_GFX90A:ACCUM_OFFSET: 0
; COMPUTE_PGM_RSRC3_GFX90A:TG_SPLIT: 0
	.section	.text._ZN7rocprim17ROCPRIM_400000_NS6detail17trampoline_kernelINS0_14default_configENS1_35adjacent_difference_config_selectorILb1EtEEZNS1_24adjacent_difference_implIS3_Lb1ELb0EPtN6thrust23THRUST_200600_302600_NS16discard_iteratorINS9_11use_defaultEEENS9_5minusItEEEE10hipError_tPvRmT2_T3_mT4_P12ihipStream_tbEUlT_E_NS1_11comp_targetILNS1_3genE4ELNS1_11target_archE910ELNS1_3gpuE8ELNS1_3repE0EEENS1_30default_config_static_selectorELNS0_4arch9wavefront6targetE1EEEvT1_,"axG",@progbits,_ZN7rocprim17ROCPRIM_400000_NS6detail17trampoline_kernelINS0_14default_configENS1_35adjacent_difference_config_selectorILb1EtEEZNS1_24adjacent_difference_implIS3_Lb1ELb0EPtN6thrust23THRUST_200600_302600_NS16discard_iteratorINS9_11use_defaultEEENS9_5minusItEEEE10hipError_tPvRmT2_T3_mT4_P12ihipStream_tbEUlT_E_NS1_11comp_targetILNS1_3genE4ELNS1_11target_archE910ELNS1_3gpuE8ELNS1_3repE0EEENS1_30default_config_static_selectorELNS0_4arch9wavefront6targetE1EEEvT1_,comdat
	.protected	_ZN7rocprim17ROCPRIM_400000_NS6detail17trampoline_kernelINS0_14default_configENS1_35adjacent_difference_config_selectorILb1EtEEZNS1_24adjacent_difference_implIS3_Lb1ELb0EPtN6thrust23THRUST_200600_302600_NS16discard_iteratorINS9_11use_defaultEEENS9_5minusItEEEE10hipError_tPvRmT2_T3_mT4_P12ihipStream_tbEUlT_E_NS1_11comp_targetILNS1_3genE4ELNS1_11target_archE910ELNS1_3gpuE8ELNS1_3repE0EEENS1_30default_config_static_selectorELNS0_4arch9wavefront6targetE1EEEvT1_ ; -- Begin function _ZN7rocprim17ROCPRIM_400000_NS6detail17trampoline_kernelINS0_14default_configENS1_35adjacent_difference_config_selectorILb1EtEEZNS1_24adjacent_difference_implIS3_Lb1ELb0EPtN6thrust23THRUST_200600_302600_NS16discard_iteratorINS9_11use_defaultEEENS9_5minusItEEEE10hipError_tPvRmT2_T3_mT4_P12ihipStream_tbEUlT_E_NS1_11comp_targetILNS1_3genE4ELNS1_11target_archE910ELNS1_3gpuE8ELNS1_3repE0EEENS1_30default_config_static_selectorELNS0_4arch9wavefront6targetE1EEEvT1_
	.globl	_ZN7rocprim17ROCPRIM_400000_NS6detail17trampoline_kernelINS0_14default_configENS1_35adjacent_difference_config_selectorILb1EtEEZNS1_24adjacent_difference_implIS3_Lb1ELb0EPtN6thrust23THRUST_200600_302600_NS16discard_iteratorINS9_11use_defaultEEENS9_5minusItEEEE10hipError_tPvRmT2_T3_mT4_P12ihipStream_tbEUlT_E_NS1_11comp_targetILNS1_3genE4ELNS1_11target_archE910ELNS1_3gpuE8ELNS1_3repE0EEENS1_30default_config_static_selectorELNS0_4arch9wavefront6targetE1EEEvT1_
	.p2align	8
	.type	_ZN7rocprim17ROCPRIM_400000_NS6detail17trampoline_kernelINS0_14default_configENS1_35adjacent_difference_config_selectorILb1EtEEZNS1_24adjacent_difference_implIS3_Lb1ELb0EPtN6thrust23THRUST_200600_302600_NS16discard_iteratorINS9_11use_defaultEEENS9_5minusItEEEE10hipError_tPvRmT2_T3_mT4_P12ihipStream_tbEUlT_E_NS1_11comp_targetILNS1_3genE4ELNS1_11target_archE910ELNS1_3gpuE8ELNS1_3repE0EEENS1_30default_config_static_selectorELNS0_4arch9wavefront6targetE1EEEvT1_,@function
_ZN7rocprim17ROCPRIM_400000_NS6detail17trampoline_kernelINS0_14default_configENS1_35adjacent_difference_config_selectorILb1EtEEZNS1_24adjacent_difference_implIS3_Lb1ELb0EPtN6thrust23THRUST_200600_302600_NS16discard_iteratorINS9_11use_defaultEEENS9_5minusItEEEE10hipError_tPvRmT2_T3_mT4_P12ihipStream_tbEUlT_E_NS1_11comp_targetILNS1_3genE4ELNS1_11target_archE910ELNS1_3gpuE8ELNS1_3repE0EEENS1_30default_config_static_selectorELNS0_4arch9wavefront6targetE1EEEvT1_: ; @_ZN7rocprim17ROCPRIM_400000_NS6detail17trampoline_kernelINS0_14default_configENS1_35adjacent_difference_config_selectorILb1EtEEZNS1_24adjacent_difference_implIS3_Lb1ELb0EPtN6thrust23THRUST_200600_302600_NS16discard_iteratorINS9_11use_defaultEEENS9_5minusItEEEE10hipError_tPvRmT2_T3_mT4_P12ihipStream_tbEUlT_E_NS1_11comp_targetILNS1_3genE4ELNS1_11target_archE910ELNS1_3gpuE8ELNS1_3repE0EEENS1_30default_config_static_selectorELNS0_4arch9wavefront6targetE1EEEvT1_
; %bb.0:
	s_load_dwordx4 s[0:3], s[4:5], 0x0
	s_load_dwordx2 s[12:13], s[4:5], 0x20
	s_load_dwordx4 s[8:11], s[4:5], 0x30
	s_mul_i32 s4, s6, 0x440
	s_mov_b32 s7, 0
	s_waitcnt lgkmcnt(0)
	s_lshl_b64 s[2:3], s[2:3], 1
	s_add_u32 s18, s0, s2
	s_addc_u32 s19, s1, s3
	s_mov_b32 s0, 0xfc3c3710
	s_add_u32 s0, 0x10c, s0
	s_addc_u32 s3, 0, 0
	v_add_co_u32_e64 v1, s[0:1], s0, 2.0
	s_cmp_lg_u64 s[0:1], 0
	s_addc_u32 s0, s3, 0x3c3c3b
	v_readfirstlane_b32 s3, v1
	s_mul_hi_u32 s14, s3, 0xfffffbc0
	s_mul_i32 s1, s0, 0xfffffbc0
	s_sub_i32 s14, s14, s3
	s_add_i32 s14, s14, s1
	s_mul_i32 s16, s3, 0xfffffbc0
	s_mul_hi_u32 s1, s3, s14
	s_mul_i32 s15, s3, s14
	s_mul_hi_u32 s3, s3, s16
	s_add_u32 s3, s3, s15
	s_addc_u32 s1, 0, s1
	s_mul_hi_u32 s17, s0, s16
	s_mul_i32 s16, s0, s16
	s_add_u32 s3, s3, s16
	s_mul_hi_u32 s15, s0, s14
	s_addc_u32 s1, s1, s17
	s_addc_u32 s3, s15, 0
	s_mul_i32 s14, s0, s14
	s_add_u32 s1, s1, s14
	s_addc_u32 s3, 0, s3
	v_add_co_u32_e32 v1, vcc, s1, v1
	s_cmp_lg_u64 vcc, 0
	s_addc_u32 s0, s0, s3
	v_readfirstlane_b32 s14, v1
	s_mul_i32 s3, s12, s0
	s_mul_hi_u32 s15, s12, s14
	s_mul_hi_u32 s1, s12, s0
	s_add_u32 s3, s15, s3
	s_addc_u32 s1, 0, s1
	s_mul_hi_u32 s16, s13, s14
	s_mul_i32 s14, s13, s14
	s_add_u32 s3, s3, s14
	s_mul_hi_u32 s15, s13, s0
	s_addc_u32 s1, s1, s16
	s_addc_u32 s3, s15, 0
	s_mul_i32 s0, s13, s0
	s_add_u32 s0, s1, s0
	s_addc_u32 s1, 0, s3
	s_add_u32 s3, s0, 1
	s_addc_u32 s14, s1, 0
	s_add_u32 s15, s0, 2
	s_mul_i32 s17, s1, 0x440
	s_mul_hi_u32 s20, s0, 0x440
	s_addc_u32 s16, s1, 0
	s_add_i32 s20, s20, s17
	s_mul_i32 s17, s0, 0x440
	v_mov_b32_e32 v1, s17
	v_sub_co_u32_e32 v1, vcc, s12, v1
	s_movk_i32 s2, 0x440
	s_cmp_lg_u64 vcc, 0
	s_subb_u32 s17, s13, s20
	v_subrev_co_u32_e32 v2, vcc, s2, v1
	s_cmp_lg_u64 vcc, 0
	s_subb_u32 s2, s17, 0
	v_readfirstlane_b32 s20, v2
	s_cmpk_gt_u32 s20, 0x43f
	s_cselect_b32 s20, -1, 0
	s_cmp_eq_u32 s2, 0
	s_cselect_b32 s2, s20, -1
	s_cmp_lg_u32 s2, 0
	s_cselect_b32 s2, s15, s3
	s_cselect_b32 s3, s16, s14
	v_readfirstlane_b32 s14, v1
	s_cmpk_gt_u32 s14, 0x43f
	s_cselect_b32 s14, -1, 0
	s_cmp_eq_u32 s17, 0
	s_cselect_b32 s14, s14, -1
	s_cmp_lg_u32 s14, 0
	s_cselect_b32 s3, s3, s1
	s_cselect_b32 s2, s2, s0
	s_mul_i32 s0, s3, 0x440
	s_mul_hi_u32 s1, s2, 0x440
	s_add_i32 s1, s1, s0
	s_mul_i32 s0, s2, 0x440
	s_sub_u32 s0, s12, s0
	s_subb_u32 s1, s13, s1
	s_cmp_lg_u64 s[0:1], 0
	s_cselect_b64 s[0:1], -1, 0
	v_cndmask_b32_e64 v1, 0, 1, s[0:1]
	v_mov_b32_e32 v2, s3
	v_add_co_u32_e32 v10, vcc, s2, v1
	v_addc_co_u32_e32 v11, vcc, 0, v2, vcc
	s_add_u32 s2, s10, s6
	v_add_co_u32_e32 v14, vcc, -1, v10
	s_addc_u32 s3, s11, 0
	v_addc_co_u32_e32 v15, vcc, -1, v11, vcc
	v_cmp_ge_u64_e64 s[0:1], s[2:3], v[14:15]
	s_movk_i32 s5, 0xfbc0
	s_mov_b64 s[14:15], -1
	s_and_b64 vcc, exec, s[0:1]
	s_cbranch_vccz .LBB729_36
; %bb.1:
	v_mul_lo_u32 v1, v14, s5
	s_mov_b32 s5, s7
	s_lshl_b64 s[14:15], s[4:5], 1
	v_add_u32_e32 v2, s12, v1
	s_add_u32 s14, s18, s14
	s_addc_u32 s15, s19, s15
	v_cmp_lt_u32_e32 vcc, v0, v2
                                        ; implicit-def: $vgpr1
	s_and_saveexec_b64 s[16:17], vcc
	s_cbranch_execz .LBB729_3
; %bb.2:
	v_lshlrev_b32_e32 v1, 1, v0
	global_load_ushort v1, v1, s[14:15]
.LBB729_3:
	s_or_b64 exec, exec, s[16:17]
	v_or_b32_e32 v3, 64, v0
	v_cmp_lt_u32_e32 vcc, v3, v2
                                        ; implicit-def: $vgpr3
	s_and_saveexec_b64 s[16:17], vcc
	s_cbranch_execz .LBB729_5
; %bb.4:
	v_lshlrev_b32_e32 v3, 1, v0
	global_load_ushort v3, v3, s[14:15] offset:128
.LBB729_5:
	s_or_b64 exec, exec, s[16:17]
	v_or_b32_e32 v4, 0x80, v0
	v_cmp_lt_u32_e32 vcc, v4, v2
                                        ; implicit-def: $vgpr4
	s_and_saveexec_b64 s[16:17], vcc
	s_cbranch_execz .LBB729_7
; %bb.6:
	v_lshlrev_b32_e32 v4, 1, v0
	global_load_ushort v4, v4, s[14:15] offset:256
.LBB729_7:
	s_or_b64 exec, exec, s[16:17]
	v_or_b32_e32 v5, 0xc0, v0
	v_cmp_lt_u32_e32 vcc, v5, v2
                                        ; implicit-def: $vgpr5
	s_and_saveexec_b64 s[16:17], vcc
	s_cbranch_execz .LBB729_9
; %bb.8:
	v_lshlrev_b32_e32 v5, 1, v0
	global_load_ushort v5, v5, s[14:15] offset:384
.LBB729_9:
	s_or_b64 exec, exec, s[16:17]
	v_or_b32_e32 v6, 0x100, v0
	v_cmp_lt_u32_e32 vcc, v6, v2
                                        ; implicit-def: $vgpr6
	s_and_saveexec_b64 s[16:17], vcc
	s_cbranch_execz .LBB729_11
; %bb.10:
	v_lshlrev_b32_e32 v6, 1, v0
	global_load_ushort v6, v6, s[14:15] offset:512
.LBB729_11:
	s_or_b64 exec, exec, s[16:17]
	v_or_b32_e32 v7, 0x140, v0
	v_cmp_lt_u32_e32 vcc, v7, v2
                                        ; implicit-def: $vgpr7
	s_and_saveexec_b64 s[16:17], vcc
	s_cbranch_execz .LBB729_13
; %bb.12:
	v_lshlrev_b32_e32 v7, 1, v0
	global_load_ushort v7, v7, s[14:15] offset:640
.LBB729_13:
	s_or_b64 exec, exec, s[16:17]
	v_or_b32_e32 v8, 0x180, v0
	v_cmp_lt_u32_e32 vcc, v8, v2
                                        ; implicit-def: $vgpr8
	s_and_saveexec_b64 s[16:17], vcc
	s_cbranch_execz .LBB729_15
; %bb.14:
	v_lshlrev_b32_e32 v8, 1, v0
	global_load_ushort v8, v8, s[14:15] offset:768
.LBB729_15:
	s_or_b64 exec, exec, s[16:17]
	v_or_b32_e32 v9, 0x1c0, v0
	v_cmp_lt_u32_e32 vcc, v9, v2
                                        ; implicit-def: $vgpr9
	s_and_saveexec_b64 s[16:17], vcc
	s_cbranch_execz .LBB729_17
; %bb.16:
	v_lshlrev_b32_e32 v9, 1, v0
	global_load_ushort v9, v9, s[14:15] offset:896
.LBB729_17:
	s_or_b64 exec, exec, s[16:17]
	v_or_b32_e32 v12, 0x200, v0
	v_cmp_lt_u32_e32 vcc, v12, v2
                                        ; implicit-def: $vgpr12
	s_and_saveexec_b64 s[16:17], vcc
	s_cbranch_execz .LBB729_19
; %bb.18:
	v_lshlrev_b32_e32 v12, 1, v0
	global_load_ushort v12, v12, s[14:15] offset:1024
.LBB729_19:
	s_or_b64 exec, exec, s[16:17]
	v_or_b32_e32 v13, 0x240, v0
	v_cmp_lt_u32_e32 vcc, v13, v2
                                        ; implicit-def: $vgpr13
	s_and_saveexec_b64 s[16:17], vcc
	s_cbranch_execz .LBB729_21
; %bb.20:
	v_lshlrev_b32_e32 v13, 1, v0
	global_load_ushort v13, v13, s[14:15] offset:1152
.LBB729_21:
	s_or_b64 exec, exec, s[16:17]
	v_or_b32_e32 v16, 0x280, v0
	v_cmp_lt_u32_e32 vcc, v16, v2
                                        ; implicit-def: $vgpr16
	s_and_saveexec_b64 s[16:17], vcc
	s_cbranch_execz .LBB729_23
; %bb.22:
	v_lshlrev_b32_e32 v16, 1, v0
	global_load_ushort v16, v16, s[14:15] offset:1280
.LBB729_23:
	s_or_b64 exec, exec, s[16:17]
	v_or_b32_e32 v17, 0x2c0, v0
	v_cmp_lt_u32_e32 vcc, v17, v2
                                        ; implicit-def: $vgpr17
	s_and_saveexec_b64 s[16:17], vcc
	s_cbranch_execz .LBB729_25
; %bb.24:
	v_lshlrev_b32_e32 v17, 1, v0
	global_load_ushort v17, v17, s[14:15] offset:1408
.LBB729_25:
	s_or_b64 exec, exec, s[16:17]
	v_or_b32_e32 v18, 0x300, v0
	v_cmp_lt_u32_e32 vcc, v18, v2
                                        ; implicit-def: $vgpr18
	s_and_saveexec_b64 s[16:17], vcc
	s_cbranch_execz .LBB729_27
; %bb.26:
	v_lshlrev_b32_e32 v18, 1, v0
	global_load_ushort v18, v18, s[14:15] offset:1536
.LBB729_27:
	s_or_b64 exec, exec, s[16:17]
	v_or_b32_e32 v19, 0x340, v0
	v_cmp_lt_u32_e32 vcc, v19, v2
                                        ; implicit-def: $vgpr19
	s_and_saveexec_b64 s[16:17], vcc
	s_cbranch_execz .LBB729_29
; %bb.28:
	v_lshlrev_b32_e32 v19, 1, v0
	global_load_ushort v19, v19, s[14:15] offset:1664
.LBB729_29:
	s_or_b64 exec, exec, s[16:17]
	v_or_b32_e32 v20, 0x380, v0
	v_cmp_lt_u32_e32 vcc, v20, v2
                                        ; implicit-def: $vgpr20
	s_and_saveexec_b64 s[16:17], vcc
	s_cbranch_execz .LBB729_31
; %bb.30:
	v_lshlrev_b32_e32 v20, 1, v0
	global_load_ushort v20, v20, s[14:15] offset:1792
.LBB729_31:
	s_or_b64 exec, exec, s[16:17]
	v_or_b32_e32 v21, 0x3c0, v0
	v_cmp_lt_u32_e32 vcc, v21, v2
                                        ; implicit-def: $vgpr21
	s_and_saveexec_b64 s[16:17], vcc
	s_cbranch_execz .LBB729_33
; %bb.32:
	v_lshlrev_b32_e32 v21, 1, v0
	global_load_ushort v21, v21, s[14:15] offset:1920
.LBB729_33:
	s_or_b64 exec, exec, s[16:17]
	v_or_b32_e32 v22, 0x400, v0
	v_cmp_lt_u32_e32 vcc, v22, v2
                                        ; implicit-def: $vgpr2
	s_and_saveexec_b64 s[16:17], vcc
	s_cbranch_execz .LBB729_35
; %bb.34:
	v_lshlrev_b32_e32 v2, 1, v0
	global_load_ushort v2, v2, s[14:15] offset:2048
.LBB729_35:
	s_or_b64 exec, exec, s[16:17]
	v_lshlrev_b32_e32 v22, 1, v0
	s_mov_b64 s[14:15], 0
	s_waitcnt vmcnt(0)
	ds_write_b16 v22, v1
	ds_write_b16 v22, v3 offset:128
	ds_write_b16 v22, v4 offset:256
	;; [unrolled: 1-line block ×16, first 2 shown]
	s_waitcnt lgkmcnt(0)
	; wave barrier
.LBB729_36:
	s_and_b64 vcc, exec, s[14:15]
	v_lshlrev_b32_e32 v9, 1, v0
	s_cbranch_vccz .LBB729_38
; %bb.37:
	s_mov_b32 s5, 0
	s_lshl_b64 s[4:5], s[4:5], 1
	s_add_u32 s4, s18, s4
	s_addc_u32 s5, s19, s5
	global_load_ushort v1, v9, s[4:5]
	global_load_ushort v2, v9, s[4:5] offset:128
	global_load_ushort v3, v9, s[4:5] offset:256
	;; [unrolled: 1-line block ×16, first 2 shown]
	s_waitcnt vmcnt(16)
	ds_write_b16 v9, v1
	s_waitcnt vmcnt(15)
	ds_write_b16 v9, v2 offset:128
	s_waitcnt vmcnt(14)
	ds_write_b16 v9, v3 offset:256
	s_waitcnt vmcnt(13)
	ds_write_b16 v9, v4 offset:384
	s_waitcnt vmcnt(12)
	ds_write_b16 v9, v5 offset:512
	s_waitcnt vmcnt(11)
	ds_write_b16 v9, v6 offset:640
	s_waitcnt vmcnt(10)
	ds_write_b16 v9, v7 offset:768
	s_waitcnt vmcnt(9)
	ds_write_b16 v9, v8 offset:896
	s_waitcnt vmcnt(8)
	ds_write_b16 v9, v12 offset:1024
	s_waitcnt vmcnt(7)
	ds_write_b16 v9, v13 offset:1152
	s_waitcnt vmcnt(6)
	ds_write_b16 v9, v16 offset:1280
	s_waitcnt vmcnt(5)
	ds_write_b16 v9, v17 offset:1408
	s_waitcnt vmcnt(4)
	ds_write_b16 v9, v18 offset:1536
	s_waitcnt vmcnt(3)
	ds_write_b16 v9, v19 offset:1664
	s_waitcnt vmcnt(2)
	ds_write_b16 v9, v20 offset:1792
	s_waitcnt vmcnt(1)
	ds_write_b16 v9, v21 offset:1920
	s_waitcnt vmcnt(0)
	ds_write_b16 v9, v22 offset:2048
	s_waitcnt lgkmcnt(0)
	; wave barrier
.LBB729_38:
	v_mul_u32_u24_e32 v1, 17, v0
	v_lshlrev_b32_e32 v2, 1, v1
	s_waitcnt lgkmcnt(0)
	ds_read_b96 v[6:8], v2
	ds_read_b64 v[12:13], v2 offset:12
	ds_read_u16 v1, v2 offset:20
	ds_read_b96 v[2:4], v2 offset:22
	s_cmp_eq_u64 s[2:3], 0
	s_waitcnt lgkmcnt(3)
	v_alignbit_b32 v5, v8, v7, 16
	v_alignbit_b32 v7, v7, v6, 16
	v_lshrrev_b32_e32 v8, 16, v8
	s_waitcnt lgkmcnt(0)
	; wave barrier
	s_waitcnt lgkmcnt(0)
	s_cbranch_scc1 .LBB729_43
; %bb.39:
	s_lshl_b64 s[4:5], s[10:11], 1
	s_add_u32 s8, s8, s4
	s_addc_u32 s9, s9, s5
	s_lshl_b64 s[4:5], s[6:7], 1
	s_add_u32 s4, s8, s4
	s_addc_u32 s5, s9, s5
	v_mov_b32_e32 v16, 0
	global_load_ushort v24, v16, s[4:5] offset:-2
	v_cmp_eq_u64_e32 vcc, s[2:3], v[14:15]
	s_cbranch_vccnz .LBB729_44
; %bb.40:
	v_cmp_ne_u32_e32 vcc, 0, v0
	s_waitcnt vmcnt(0)
	v_mov_b32_e32 v14, v24
	ds_write_b16_d16_hi v9, v4
	s_waitcnt lgkmcnt(0)
	; wave barrier
	s_waitcnt lgkmcnt(0)
	s_and_saveexec_b64 s[4:5], vcc
	s_cbranch_execz .LBB729_42
; %bb.41:
	v_add_u32_e32 v14, -2, v9
	ds_read_u16 v14, v14
.LBB729_42:
	s_or_b64 exec, exec, s[4:5]
	s_mov_b32 s3, 0x5040100
	s_waitcnt lgkmcnt(0)
	v_sub_u16_e32 v16, v6, v14
	v_perm_b32 v18, v7, v6, s3
	v_alignbit_b32 v20, v5, v7, 16
	v_lshrrev_b32_e32 v17, 16, v5
	v_perm_b32 v21, v12, v8, s3
	v_alignbit_b32 v23, v13, v12, 16
	v_lshrrev_b32_e32 v15, 16, v13
	v_perm_b32 v19, v2, v1, s3
	v_alignbit_b32 v22, v3, v2, 16
	v_alignbit_b32 v14, v4, v3, 16
	s_branch .LBB729_48
.LBB729_43:
                                        ; implicit-def: $vgpr22
                                        ; implicit-def: $vgpr19
                                        ; implicit-def: $vgpr23
                                        ; implicit-def: $vgpr21
                                        ; implicit-def: $vgpr20
                                        ; implicit-def: $vgpr18
                                        ; implicit-def: $vgpr14
                                        ; implicit-def: $vgpr16
                                        ; implicit-def: $vgpr17
                                        ; implicit-def: $vgpr15
	s_branch .LBB729_49
.LBB729_44:
                                        ; implicit-def: $vgpr22
                                        ; implicit-def: $vgpr19
                                        ; implicit-def: $vgpr23
                                        ; implicit-def: $vgpr21
                                        ; implicit-def: $vgpr20
                                        ; implicit-def: $vgpr18
                                        ; implicit-def: $vgpr14
                                        ; implicit-def: $vgpr16
                                        ; implicit-def: $vgpr17
                                        ; implicit-def: $vgpr15
	s_cbranch_execz .LBB729_48
; %bb.45:
	v_mul_u32_u24_e32 v16, 17, v0
	v_cmp_ne_u32_e32 vcc, 0, v0
	ds_write_b16_d16_hi v9, v4
	s_waitcnt lgkmcnt(0)
	; wave barrier
	s_waitcnt lgkmcnt(0)
	s_and_saveexec_b64 s[4:5], vcc
	s_cbranch_execz .LBB729_47
; %bb.46:
	v_add_u32_e32 v14, -2, v9
	s_waitcnt vmcnt(0)
	ds_read_u16 v24, v14
.LBB729_47:
	s_or_b64 exec, exec, s[4:5]
	s_mulk_i32 s2, 0xfbc0
	s_add_i32 s2, s2, s12
	v_add_u32_e32 v14, 15, v16
	v_add_u32_e32 v15, 16, v16
	v_lshrrev_b32_e32 v17, 16, v3
	v_cmp_gt_u32_e32 vcc, s2, v14
	v_cndmask_b32_e32 v14, 0, v17, vcc
	v_cmp_gt_u32_e32 vcc, s2, v15
	v_cndmask_b32_e32 v15, 0, v4, vcc
	s_mov_b32 s3, 0x5040100
	v_perm_b32 v14, v15, v14, s3
	v_add_u32_e32 v15, 13, v16
	v_add_u32_e32 v17, 14, v16
	v_lshrrev_b32_e32 v20, 16, v2
	v_cmp_gt_u32_e32 vcc, s2, v15
	v_add_u32_e32 v18, 11, v16
	v_cndmask_b32_e32 v22, 0, v20, vcc
	v_cmp_gt_u32_e32 vcc, s2, v17
	v_add_u32_e32 v19, 12, v16
	v_cndmask_b32_e32 v25, 0, v3, vcc
	v_cmp_gt_u32_e32 vcc, s2, v18
	v_cndmask_b32_e32 v26, 0, v1, vcc
	v_cmp_gt_u32_e32 vcc, s2, v19
	v_add_u32_e32 v15, 10, v16
	v_cndmask_b32_e32 v19, 0, v2, vcc
	v_lshrrev_b32_e32 v17, 16, v13
	v_cmp_gt_u32_e32 vcc, s2, v15
	v_cndmask_b32_e32 v15, 0, v17, vcc
	v_add_u32_e32 v17, 8, v16
	v_add_u32_e32 v18, 9, v16
	v_lshrrev_b32_e32 v23, 16, v12
	v_cmp_gt_u32_e32 vcc, s2, v17
	v_add_u32_e32 v20, 6, v16
	v_cndmask_b32_e32 v23, 0, v23, vcc
	v_cmp_gt_u32_e32 vcc, s2, v18
	v_add_u32_e32 v21, 7, v16
	v_cndmask_b32_e32 v27, 0, v13, vcc
	v_cmp_gt_u32_e32 vcc, s2, v20
	v_cndmask_b32_e32 v28, 0, v8, vcc
	v_cmp_gt_u32_e32 vcc, s2, v21
	v_add_u32_e32 v17, 5, v16
	v_cndmask_b32_e32 v21, 0, v12, vcc
	v_lshrrev_b32_e32 v18, 16, v5
	v_cmp_gt_u32_e32 vcc, s2, v17
	v_cndmask_b32_e32 v17, 0, v18, vcc
	v_add_u32_e32 v18, 3, v16
	v_add_u32_e32 v20, 4, v16
	v_lshrrev_b32_e32 v31, 16, v7
	v_cmp_gt_u32_e32 vcc, s2, v18
	v_add_u32_e32 v29, 1, v16
	v_cndmask_b32_e32 v31, 0, v31, vcc
	v_cmp_gt_u32_e32 vcc, s2, v20
	v_add_u32_e32 v30, 2, v16
	v_cndmask_b32_e32 v20, 0, v5, vcc
	v_cmp_gt_u32_e32 vcc, s2, v29
	v_cndmask_b32_e32 v18, 0, v6, vcc
	v_cmp_gt_u32_e32 vcc, s2, v30
	;; [unrolled: 2-line block ×3, first 2 shown]
	s_waitcnt vmcnt(0) lgkmcnt(0)
	v_cndmask_b32_e32 v16, 0, v24, vcc
	v_sub_u16_e32 v16, v6, v16
	v_perm_b32 v18, v29, v18, s3
	v_perm_b32 v20, v20, v31, s3
	;; [unrolled: 1-line block ×6, first 2 shown]
.LBB729_48:
	s_cbranch_execnz .LBB729_58
.LBB729_49:
	v_cmp_eq_u64_e32 vcc, 1, v[10:11]
	v_cmp_ne_u32_e64 s[2:3], 0, v0
	s_cbranch_vccnz .LBB729_53
; %bb.50:
	s_mov_b32 s6, 0x5040100
	v_mov_b32_e32 v10, 0
	v_mov_b32_e32 v16, v6
	ds_write_b16_d16_hi v9, v4
	s_waitcnt lgkmcnt(0)
	; wave barrier
	s_waitcnt lgkmcnt(0)
	s_and_saveexec_b64 s[4:5], s[2:3]
	s_cbranch_execz .LBB729_52
; %bb.51:
	v_add_u32_e32 v10, -2, v9
	ds_read_u16 v10, v10
	s_waitcnt lgkmcnt(0)
	v_sub_u16_e32 v16, v6, v10
	v_mov_b32_e32 v10, v0
.LBB729_52:
	s_or_b64 exec, exec, s[4:5]
	v_perm_b32 v18, v7, v6, s6
	v_alignbit_b32 v20, v5, v7, 16
	v_lshrrev_b32_e32 v17, 16, v5
	v_perm_b32 v21, v12, v8, s6
	v_alignbit_b32 v23, v13, v12, 16
	v_lshrrev_b32_e32 v15, 16, v13
	v_perm_b32 v19, v2, v1, s6
	v_alignbit_b32 v22, v3, v2, 16
	v_alignbit_b32 v14, v4, v3, 16
	s_cbranch_execz .LBB729_54
	s_branch .LBB729_57
.LBB729_53:
                                        ; implicit-def: $vgpr22
                                        ; implicit-def: $vgpr19
                                        ; implicit-def: $vgpr23
                                        ; implicit-def: $vgpr21
                                        ; implicit-def: $vgpr20
                                        ; implicit-def: $vgpr18
                                        ; implicit-def: $vgpr14
                                        ; implicit-def: $vgpr16
                                        ; implicit-def: $vgpr17
                                        ; implicit-def: $vgpr15
                                        ; implicit-def: $vgpr10
.LBB729_54:
	v_mad_u32_u24 v10, v0, 17, 16
	v_mad_u32_u24 v11, v0, 17, 15
	v_cmp_gt_u32_e32 vcc, s12, v10
	v_cndmask_b32_e32 v10, 0, v4, vcc
	v_lshrrev_b32_e32 v15, 16, v3
	v_cmp_gt_u32_e32 vcc, s12, v11
	v_cndmask_b32_e32 v11, 0, v15, vcc
	v_mad_u32_u24 v15, v0, 17, 14
	v_mad_u32_u24 v17, v0, 17, 13
	v_cmp_gt_u32_e32 vcc, s12, v15
	v_mad_u32_u24 v18, v0, 17, 11
	v_lshrrev_b32_e32 v19, 16, v2
	v_cndmask_b32_e32 v16, 0, v3, vcc
	v_cmp_gt_u32_e32 vcc, s12, v17
	v_mad_u32_u24 v17, v0, 17, 9
	v_cndmask_b32_e32 v22, 0, v19, vcc
	v_cmp_gt_u32_e32 vcc, s12, v18
	v_mad_u32_u24 v18, v0, 17, 8
	v_cmp_gt_u32_e64 s[2:3], s12, v17
	v_mad_u32_u24 v20, v0, 17, 12
	v_cndmask_b32_e64 v23, 0, v13, s[2:3]
	v_cmp_gt_u32_e64 s[2:3], s12, v18
	v_mad_u32_u24 v18, v0, 17, 4
	v_cndmask_b32_e32 v19, 0, v1, vcc
	v_cmp_gt_u32_e32 vcc, s12, v20
	v_mad_u32_u24 v20, v0, 17, 6
	v_lshrrev_b32_e32 v21, 16, v12
	v_mad_u32_u24 v27, v0, 17, 3
	v_cmp_gt_u32_e64 s[4:5], s12, v18
	v_cndmask_b32_e64 v25, 0, v21, s[2:3]
	v_cmp_gt_u32_e64 s[2:3], s12, v20
	v_mad_u32_u24 v28, v0, 17, 1
	v_lshrrev_b32_e32 v30, 16, v7
	v_cndmask_b32_e64 v20, 0, v5, s[4:5]
	v_cmp_gt_u32_e64 s[4:5], s12, v27
	v_mad_u32_u24 v29, v0, 17, 2
	v_cndmask_b32_e64 v27, 0, v30, s[4:5]
	v_cmp_gt_u32_e64 s[4:5], s12, v28
	v_mul_u32_u24_e32 v14, 17, v0
	v_mad_u32_u24 v26, v0, 17, 7
	v_cndmask_b32_e64 v18, 0, v6, s[4:5]
	v_cmp_gt_u32_e64 s[4:5], s12, v29
	v_mad_u32_u24 v15, v0, 17, 10
	v_cndmask_b32_e64 v21, 0, v8, s[2:3]
	v_cmp_gt_u32_e64 s[2:3], s12, v26
	v_mad_u32_u24 v17, v0, 17, 5
	v_cndmask_b32_e64 v28, 0, v7, s[4:5]
	v_cmp_ne_u32_e64 s[4:5], 0, v0
	v_cmp_gt_u32_e64 s[6:7], s12, v14
	s_mov_b32 s8, 0x5040100
	s_waitcnt vmcnt(0)
	v_cndmask_b32_e32 v24, 0, v2, vcc
	v_cmp_gt_u32_e32 vcc, s12, v15
	v_lshrrev_b32_e32 v15, 16, v13
	v_cndmask_b32_e64 v26, 0, v12, s[2:3]
	v_cmp_gt_u32_e64 s[2:3], s12, v17
	v_lshrrev_b32_e32 v17, 16, v5
	s_and_b64 s[6:7], s[4:5], s[6:7]
	ds_write_b16_d16_hi v9, v4
	s_waitcnt lgkmcnt(0)
	; wave barrier
	s_waitcnt lgkmcnt(0)
	s_and_saveexec_b64 s[4:5], s[6:7]
	s_cbranch_execz .LBB729_56
; %bb.55:
	v_add_u32_e32 v9, -2, v9
	ds_read_u16 v9, v9
	s_waitcnt lgkmcnt(0)
	v_sub_u16_e32 v6, v6, v9
.LBB729_56:
	s_or_b64 exec, exec, s[4:5]
	v_perm_b32 v14, v10, v11, s8
	v_cndmask_b32_e32 v15, 0, v15, vcc
	v_cndmask_b32_e64 v17, 0, v17, s[2:3]
	v_perm_b32 v18, v28, v18, s8
	v_perm_b32 v20, v20, v27, s8
	;; [unrolled: 1-line block ×6, first 2 shown]
	v_mov_b32_e32 v16, v6
	v_mov_b32_e32 v10, v0
.LBB729_57:
	v_mov_b32_e32 v0, v10
.LBB729_58:
	v_pk_sub_i16 v5, v5, v20
	v_pk_sub_i16 v6, v7, v18
	v_sub_u16_e32 v7, v8, v17
	s_mov_b32 s2, 0x5040100
	v_mul_u32_u24_e32 v0, 34, v0
	v_alignbit_b32 v8, v7, v5, 16
	v_alignbit_b32 v7, v5, v6, 16
	v_perm_b32 v6, v6, v16, s2
	s_mov_b64 s[2:3], -1
	s_and_b64 vcc, exec, s[0:1]
	v_pk_sub_i16 v11, v13, v23
	v_pk_sub_i16 v10, v12, v21
	v_sub_u16_e32 v1, v1, v15
	v_pk_sub_i16 v3, v3, v22
	v_pk_sub_i16 v2, v2, v19
	;; [unrolled: 1-line block ×3, first 2 shown]
	s_waitcnt lgkmcnt(0)
	; wave barrier
	ds_write_b96 v0, v[6:8]
	ds_write_b64 v0, v[10:11] offset:12
	ds_write_b16 v0, v1 offset:20
	ds_write_b96 v0, v[2:4] offset:22
	s_waitcnt lgkmcnt(0)
	s_cbranch_vccnz .LBB729_61
; %bb.59:
	s_andn2_b64 vcc, exec, s[2:3]
	s_cbranch_vccz .LBB729_62
.LBB729_60:
	s_endpgm
.LBB729_61:
	; wave barrier
	s_cbranch_execnz .LBB729_60
.LBB729_62:
	; wave barrier
	s_endpgm
	.section	.rodata,"a",@progbits
	.p2align	6, 0x0
	.amdhsa_kernel _ZN7rocprim17ROCPRIM_400000_NS6detail17trampoline_kernelINS0_14default_configENS1_35adjacent_difference_config_selectorILb1EtEEZNS1_24adjacent_difference_implIS3_Lb1ELb0EPtN6thrust23THRUST_200600_302600_NS16discard_iteratorINS9_11use_defaultEEENS9_5minusItEEEE10hipError_tPvRmT2_T3_mT4_P12ihipStream_tbEUlT_E_NS1_11comp_targetILNS1_3genE4ELNS1_11target_archE910ELNS1_3gpuE8ELNS1_3repE0EEENS1_30default_config_static_selectorELNS0_4arch9wavefront6targetE1EEEvT1_
		.amdhsa_group_segment_fixed_size 2176
		.amdhsa_private_segment_fixed_size 0
		.amdhsa_kernarg_size 64
		.amdhsa_user_sgpr_count 6
		.amdhsa_user_sgpr_private_segment_buffer 1
		.amdhsa_user_sgpr_dispatch_ptr 0
		.amdhsa_user_sgpr_queue_ptr 0
		.amdhsa_user_sgpr_kernarg_segment_ptr 1
		.amdhsa_user_sgpr_dispatch_id 0
		.amdhsa_user_sgpr_flat_scratch_init 0
		.amdhsa_user_sgpr_kernarg_preload_length 0
		.amdhsa_user_sgpr_kernarg_preload_offset 0
		.amdhsa_user_sgpr_private_segment_size 0
		.amdhsa_uses_dynamic_stack 0
		.amdhsa_system_sgpr_private_segment_wavefront_offset 0
		.amdhsa_system_sgpr_workgroup_id_x 1
		.amdhsa_system_sgpr_workgroup_id_y 0
		.amdhsa_system_sgpr_workgroup_id_z 0
		.amdhsa_system_sgpr_workgroup_info 0
		.amdhsa_system_vgpr_workitem_id 0
		.amdhsa_next_free_vgpr 32
		.amdhsa_next_free_sgpr 21
		.amdhsa_accum_offset 32
		.amdhsa_reserve_vcc 1
		.amdhsa_reserve_flat_scratch 0
		.amdhsa_float_round_mode_32 0
		.amdhsa_float_round_mode_16_64 0
		.amdhsa_float_denorm_mode_32 3
		.amdhsa_float_denorm_mode_16_64 3
		.amdhsa_dx10_clamp 1
		.amdhsa_ieee_mode 1
		.amdhsa_fp16_overflow 0
		.amdhsa_tg_split 0
		.amdhsa_exception_fp_ieee_invalid_op 0
		.amdhsa_exception_fp_denorm_src 0
		.amdhsa_exception_fp_ieee_div_zero 0
		.amdhsa_exception_fp_ieee_overflow 0
		.amdhsa_exception_fp_ieee_underflow 0
		.amdhsa_exception_fp_ieee_inexact 0
		.amdhsa_exception_int_div_zero 0
	.end_amdhsa_kernel
	.section	.text._ZN7rocprim17ROCPRIM_400000_NS6detail17trampoline_kernelINS0_14default_configENS1_35adjacent_difference_config_selectorILb1EtEEZNS1_24adjacent_difference_implIS3_Lb1ELb0EPtN6thrust23THRUST_200600_302600_NS16discard_iteratorINS9_11use_defaultEEENS9_5minusItEEEE10hipError_tPvRmT2_T3_mT4_P12ihipStream_tbEUlT_E_NS1_11comp_targetILNS1_3genE4ELNS1_11target_archE910ELNS1_3gpuE8ELNS1_3repE0EEENS1_30default_config_static_selectorELNS0_4arch9wavefront6targetE1EEEvT1_,"axG",@progbits,_ZN7rocprim17ROCPRIM_400000_NS6detail17trampoline_kernelINS0_14default_configENS1_35adjacent_difference_config_selectorILb1EtEEZNS1_24adjacent_difference_implIS3_Lb1ELb0EPtN6thrust23THRUST_200600_302600_NS16discard_iteratorINS9_11use_defaultEEENS9_5minusItEEEE10hipError_tPvRmT2_T3_mT4_P12ihipStream_tbEUlT_E_NS1_11comp_targetILNS1_3genE4ELNS1_11target_archE910ELNS1_3gpuE8ELNS1_3repE0EEENS1_30default_config_static_selectorELNS0_4arch9wavefront6targetE1EEEvT1_,comdat
.Lfunc_end729:
	.size	_ZN7rocprim17ROCPRIM_400000_NS6detail17trampoline_kernelINS0_14default_configENS1_35adjacent_difference_config_selectorILb1EtEEZNS1_24adjacent_difference_implIS3_Lb1ELb0EPtN6thrust23THRUST_200600_302600_NS16discard_iteratorINS9_11use_defaultEEENS9_5minusItEEEE10hipError_tPvRmT2_T3_mT4_P12ihipStream_tbEUlT_E_NS1_11comp_targetILNS1_3genE4ELNS1_11target_archE910ELNS1_3gpuE8ELNS1_3repE0EEENS1_30default_config_static_selectorELNS0_4arch9wavefront6targetE1EEEvT1_, .Lfunc_end729-_ZN7rocprim17ROCPRIM_400000_NS6detail17trampoline_kernelINS0_14default_configENS1_35adjacent_difference_config_selectorILb1EtEEZNS1_24adjacent_difference_implIS3_Lb1ELb0EPtN6thrust23THRUST_200600_302600_NS16discard_iteratorINS9_11use_defaultEEENS9_5minusItEEEE10hipError_tPvRmT2_T3_mT4_P12ihipStream_tbEUlT_E_NS1_11comp_targetILNS1_3genE4ELNS1_11target_archE910ELNS1_3gpuE8ELNS1_3repE0EEENS1_30default_config_static_selectorELNS0_4arch9wavefront6targetE1EEEvT1_
                                        ; -- End function
	.section	.AMDGPU.csdata,"",@progbits
; Kernel info:
; codeLenInByte = 3116
; NumSgprs: 25
; NumVgprs: 32
; NumAgprs: 0
; TotalNumVgprs: 32
; ScratchSize: 0
; MemoryBound: 0
; FloatMode: 240
; IeeeMode: 1
; LDSByteSize: 2176 bytes/workgroup (compile time only)
; SGPRBlocks: 3
; VGPRBlocks: 3
; NumSGPRsForWavesPerEU: 25
; NumVGPRsForWavesPerEU: 32
; AccumOffset: 32
; Occupancy: 8
; WaveLimiterHint : 1
; COMPUTE_PGM_RSRC2:SCRATCH_EN: 0
; COMPUTE_PGM_RSRC2:USER_SGPR: 6
; COMPUTE_PGM_RSRC2:TRAP_HANDLER: 0
; COMPUTE_PGM_RSRC2:TGID_X_EN: 1
; COMPUTE_PGM_RSRC2:TGID_Y_EN: 0
; COMPUTE_PGM_RSRC2:TGID_Z_EN: 0
; COMPUTE_PGM_RSRC2:TIDIG_COMP_CNT: 0
; COMPUTE_PGM_RSRC3_GFX90A:ACCUM_OFFSET: 7
; COMPUTE_PGM_RSRC3_GFX90A:TG_SPLIT: 0
	.section	.text._ZN7rocprim17ROCPRIM_400000_NS6detail17trampoline_kernelINS0_14default_configENS1_35adjacent_difference_config_selectorILb1EtEEZNS1_24adjacent_difference_implIS3_Lb1ELb0EPtN6thrust23THRUST_200600_302600_NS16discard_iteratorINS9_11use_defaultEEENS9_5minusItEEEE10hipError_tPvRmT2_T3_mT4_P12ihipStream_tbEUlT_E_NS1_11comp_targetILNS1_3genE3ELNS1_11target_archE908ELNS1_3gpuE7ELNS1_3repE0EEENS1_30default_config_static_selectorELNS0_4arch9wavefront6targetE1EEEvT1_,"axG",@progbits,_ZN7rocprim17ROCPRIM_400000_NS6detail17trampoline_kernelINS0_14default_configENS1_35adjacent_difference_config_selectorILb1EtEEZNS1_24adjacent_difference_implIS3_Lb1ELb0EPtN6thrust23THRUST_200600_302600_NS16discard_iteratorINS9_11use_defaultEEENS9_5minusItEEEE10hipError_tPvRmT2_T3_mT4_P12ihipStream_tbEUlT_E_NS1_11comp_targetILNS1_3genE3ELNS1_11target_archE908ELNS1_3gpuE7ELNS1_3repE0EEENS1_30default_config_static_selectorELNS0_4arch9wavefront6targetE1EEEvT1_,comdat
	.protected	_ZN7rocprim17ROCPRIM_400000_NS6detail17trampoline_kernelINS0_14default_configENS1_35adjacent_difference_config_selectorILb1EtEEZNS1_24adjacent_difference_implIS3_Lb1ELb0EPtN6thrust23THRUST_200600_302600_NS16discard_iteratorINS9_11use_defaultEEENS9_5minusItEEEE10hipError_tPvRmT2_T3_mT4_P12ihipStream_tbEUlT_E_NS1_11comp_targetILNS1_3genE3ELNS1_11target_archE908ELNS1_3gpuE7ELNS1_3repE0EEENS1_30default_config_static_selectorELNS0_4arch9wavefront6targetE1EEEvT1_ ; -- Begin function _ZN7rocprim17ROCPRIM_400000_NS6detail17trampoline_kernelINS0_14default_configENS1_35adjacent_difference_config_selectorILb1EtEEZNS1_24adjacent_difference_implIS3_Lb1ELb0EPtN6thrust23THRUST_200600_302600_NS16discard_iteratorINS9_11use_defaultEEENS9_5minusItEEEE10hipError_tPvRmT2_T3_mT4_P12ihipStream_tbEUlT_E_NS1_11comp_targetILNS1_3genE3ELNS1_11target_archE908ELNS1_3gpuE7ELNS1_3repE0EEENS1_30default_config_static_selectorELNS0_4arch9wavefront6targetE1EEEvT1_
	.globl	_ZN7rocprim17ROCPRIM_400000_NS6detail17trampoline_kernelINS0_14default_configENS1_35adjacent_difference_config_selectorILb1EtEEZNS1_24adjacent_difference_implIS3_Lb1ELb0EPtN6thrust23THRUST_200600_302600_NS16discard_iteratorINS9_11use_defaultEEENS9_5minusItEEEE10hipError_tPvRmT2_T3_mT4_P12ihipStream_tbEUlT_E_NS1_11comp_targetILNS1_3genE3ELNS1_11target_archE908ELNS1_3gpuE7ELNS1_3repE0EEENS1_30default_config_static_selectorELNS0_4arch9wavefront6targetE1EEEvT1_
	.p2align	8
	.type	_ZN7rocprim17ROCPRIM_400000_NS6detail17trampoline_kernelINS0_14default_configENS1_35adjacent_difference_config_selectorILb1EtEEZNS1_24adjacent_difference_implIS3_Lb1ELb0EPtN6thrust23THRUST_200600_302600_NS16discard_iteratorINS9_11use_defaultEEENS9_5minusItEEEE10hipError_tPvRmT2_T3_mT4_P12ihipStream_tbEUlT_E_NS1_11comp_targetILNS1_3genE3ELNS1_11target_archE908ELNS1_3gpuE7ELNS1_3repE0EEENS1_30default_config_static_selectorELNS0_4arch9wavefront6targetE1EEEvT1_,@function
_ZN7rocprim17ROCPRIM_400000_NS6detail17trampoline_kernelINS0_14default_configENS1_35adjacent_difference_config_selectorILb1EtEEZNS1_24adjacent_difference_implIS3_Lb1ELb0EPtN6thrust23THRUST_200600_302600_NS16discard_iteratorINS9_11use_defaultEEENS9_5minusItEEEE10hipError_tPvRmT2_T3_mT4_P12ihipStream_tbEUlT_E_NS1_11comp_targetILNS1_3genE3ELNS1_11target_archE908ELNS1_3gpuE7ELNS1_3repE0EEENS1_30default_config_static_selectorELNS0_4arch9wavefront6targetE1EEEvT1_: ; @_ZN7rocprim17ROCPRIM_400000_NS6detail17trampoline_kernelINS0_14default_configENS1_35adjacent_difference_config_selectorILb1EtEEZNS1_24adjacent_difference_implIS3_Lb1ELb0EPtN6thrust23THRUST_200600_302600_NS16discard_iteratorINS9_11use_defaultEEENS9_5minusItEEEE10hipError_tPvRmT2_T3_mT4_P12ihipStream_tbEUlT_E_NS1_11comp_targetILNS1_3genE3ELNS1_11target_archE908ELNS1_3gpuE7ELNS1_3repE0EEENS1_30default_config_static_selectorELNS0_4arch9wavefront6targetE1EEEvT1_
; %bb.0:
	.section	.rodata,"a",@progbits
	.p2align	6, 0x0
	.amdhsa_kernel _ZN7rocprim17ROCPRIM_400000_NS6detail17trampoline_kernelINS0_14default_configENS1_35adjacent_difference_config_selectorILb1EtEEZNS1_24adjacent_difference_implIS3_Lb1ELb0EPtN6thrust23THRUST_200600_302600_NS16discard_iteratorINS9_11use_defaultEEENS9_5minusItEEEE10hipError_tPvRmT2_T3_mT4_P12ihipStream_tbEUlT_E_NS1_11comp_targetILNS1_3genE3ELNS1_11target_archE908ELNS1_3gpuE7ELNS1_3repE0EEENS1_30default_config_static_selectorELNS0_4arch9wavefront6targetE1EEEvT1_
		.amdhsa_group_segment_fixed_size 0
		.amdhsa_private_segment_fixed_size 0
		.amdhsa_kernarg_size 64
		.amdhsa_user_sgpr_count 6
		.amdhsa_user_sgpr_private_segment_buffer 1
		.amdhsa_user_sgpr_dispatch_ptr 0
		.amdhsa_user_sgpr_queue_ptr 0
		.amdhsa_user_sgpr_kernarg_segment_ptr 1
		.amdhsa_user_sgpr_dispatch_id 0
		.amdhsa_user_sgpr_flat_scratch_init 0
		.amdhsa_user_sgpr_kernarg_preload_length 0
		.amdhsa_user_sgpr_kernarg_preload_offset 0
		.amdhsa_user_sgpr_private_segment_size 0
		.amdhsa_uses_dynamic_stack 0
		.amdhsa_system_sgpr_private_segment_wavefront_offset 0
		.amdhsa_system_sgpr_workgroup_id_x 1
		.amdhsa_system_sgpr_workgroup_id_y 0
		.amdhsa_system_sgpr_workgroup_id_z 0
		.amdhsa_system_sgpr_workgroup_info 0
		.amdhsa_system_vgpr_workitem_id 0
		.amdhsa_next_free_vgpr 1
		.amdhsa_next_free_sgpr 0
		.amdhsa_accum_offset 4
		.amdhsa_reserve_vcc 0
		.amdhsa_reserve_flat_scratch 0
		.amdhsa_float_round_mode_32 0
		.amdhsa_float_round_mode_16_64 0
		.amdhsa_float_denorm_mode_32 3
		.amdhsa_float_denorm_mode_16_64 3
		.amdhsa_dx10_clamp 1
		.amdhsa_ieee_mode 1
		.amdhsa_fp16_overflow 0
		.amdhsa_tg_split 0
		.amdhsa_exception_fp_ieee_invalid_op 0
		.amdhsa_exception_fp_denorm_src 0
		.amdhsa_exception_fp_ieee_div_zero 0
		.amdhsa_exception_fp_ieee_overflow 0
		.amdhsa_exception_fp_ieee_underflow 0
		.amdhsa_exception_fp_ieee_inexact 0
		.amdhsa_exception_int_div_zero 0
	.end_amdhsa_kernel
	.section	.text._ZN7rocprim17ROCPRIM_400000_NS6detail17trampoline_kernelINS0_14default_configENS1_35adjacent_difference_config_selectorILb1EtEEZNS1_24adjacent_difference_implIS3_Lb1ELb0EPtN6thrust23THRUST_200600_302600_NS16discard_iteratorINS9_11use_defaultEEENS9_5minusItEEEE10hipError_tPvRmT2_T3_mT4_P12ihipStream_tbEUlT_E_NS1_11comp_targetILNS1_3genE3ELNS1_11target_archE908ELNS1_3gpuE7ELNS1_3repE0EEENS1_30default_config_static_selectorELNS0_4arch9wavefront6targetE1EEEvT1_,"axG",@progbits,_ZN7rocprim17ROCPRIM_400000_NS6detail17trampoline_kernelINS0_14default_configENS1_35adjacent_difference_config_selectorILb1EtEEZNS1_24adjacent_difference_implIS3_Lb1ELb0EPtN6thrust23THRUST_200600_302600_NS16discard_iteratorINS9_11use_defaultEEENS9_5minusItEEEE10hipError_tPvRmT2_T3_mT4_P12ihipStream_tbEUlT_E_NS1_11comp_targetILNS1_3genE3ELNS1_11target_archE908ELNS1_3gpuE7ELNS1_3repE0EEENS1_30default_config_static_selectorELNS0_4arch9wavefront6targetE1EEEvT1_,comdat
.Lfunc_end730:
	.size	_ZN7rocprim17ROCPRIM_400000_NS6detail17trampoline_kernelINS0_14default_configENS1_35adjacent_difference_config_selectorILb1EtEEZNS1_24adjacent_difference_implIS3_Lb1ELb0EPtN6thrust23THRUST_200600_302600_NS16discard_iteratorINS9_11use_defaultEEENS9_5minusItEEEE10hipError_tPvRmT2_T3_mT4_P12ihipStream_tbEUlT_E_NS1_11comp_targetILNS1_3genE3ELNS1_11target_archE908ELNS1_3gpuE7ELNS1_3repE0EEENS1_30default_config_static_selectorELNS0_4arch9wavefront6targetE1EEEvT1_, .Lfunc_end730-_ZN7rocprim17ROCPRIM_400000_NS6detail17trampoline_kernelINS0_14default_configENS1_35adjacent_difference_config_selectorILb1EtEEZNS1_24adjacent_difference_implIS3_Lb1ELb0EPtN6thrust23THRUST_200600_302600_NS16discard_iteratorINS9_11use_defaultEEENS9_5minusItEEEE10hipError_tPvRmT2_T3_mT4_P12ihipStream_tbEUlT_E_NS1_11comp_targetILNS1_3genE3ELNS1_11target_archE908ELNS1_3gpuE7ELNS1_3repE0EEENS1_30default_config_static_selectorELNS0_4arch9wavefront6targetE1EEEvT1_
                                        ; -- End function
	.section	.AMDGPU.csdata,"",@progbits
; Kernel info:
; codeLenInByte = 0
; NumSgprs: 4
; NumVgprs: 0
; NumAgprs: 0
; TotalNumVgprs: 0
; ScratchSize: 0
; MemoryBound: 0
; FloatMode: 240
; IeeeMode: 1
; LDSByteSize: 0 bytes/workgroup (compile time only)
; SGPRBlocks: 0
; VGPRBlocks: 0
; NumSGPRsForWavesPerEU: 4
; NumVGPRsForWavesPerEU: 1
; AccumOffset: 4
; Occupancy: 8
; WaveLimiterHint : 0
; COMPUTE_PGM_RSRC2:SCRATCH_EN: 0
; COMPUTE_PGM_RSRC2:USER_SGPR: 6
; COMPUTE_PGM_RSRC2:TRAP_HANDLER: 0
; COMPUTE_PGM_RSRC2:TGID_X_EN: 1
; COMPUTE_PGM_RSRC2:TGID_Y_EN: 0
; COMPUTE_PGM_RSRC2:TGID_Z_EN: 0
; COMPUTE_PGM_RSRC2:TIDIG_COMP_CNT: 0
; COMPUTE_PGM_RSRC3_GFX90A:ACCUM_OFFSET: 0
; COMPUTE_PGM_RSRC3_GFX90A:TG_SPLIT: 0
	.section	.text._ZN7rocprim17ROCPRIM_400000_NS6detail17trampoline_kernelINS0_14default_configENS1_35adjacent_difference_config_selectorILb1EtEEZNS1_24adjacent_difference_implIS3_Lb1ELb0EPtN6thrust23THRUST_200600_302600_NS16discard_iteratorINS9_11use_defaultEEENS9_5minusItEEEE10hipError_tPvRmT2_T3_mT4_P12ihipStream_tbEUlT_E_NS1_11comp_targetILNS1_3genE2ELNS1_11target_archE906ELNS1_3gpuE6ELNS1_3repE0EEENS1_30default_config_static_selectorELNS0_4arch9wavefront6targetE1EEEvT1_,"axG",@progbits,_ZN7rocprim17ROCPRIM_400000_NS6detail17trampoline_kernelINS0_14default_configENS1_35adjacent_difference_config_selectorILb1EtEEZNS1_24adjacent_difference_implIS3_Lb1ELb0EPtN6thrust23THRUST_200600_302600_NS16discard_iteratorINS9_11use_defaultEEENS9_5minusItEEEE10hipError_tPvRmT2_T3_mT4_P12ihipStream_tbEUlT_E_NS1_11comp_targetILNS1_3genE2ELNS1_11target_archE906ELNS1_3gpuE6ELNS1_3repE0EEENS1_30default_config_static_selectorELNS0_4arch9wavefront6targetE1EEEvT1_,comdat
	.protected	_ZN7rocprim17ROCPRIM_400000_NS6detail17trampoline_kernelINS0_14default_configENS1_35adjacent_difference_config_selectorILb1EtEEZNS1_24adjacent_difference_implIS3_Lb1ELb0EPtN6thrust23THRUST_200600_302600_NS16discard_iteratorINS9_11use_defaultEEENS9_5minusItEEEE10hipError_tPvRmT2_T3_mT4_P12ihipStream_tbEUlT_E_NS1_11comp_targetILNS1_3genE2ELNS1_11target_archE906ELNS1_3gpuE6ELNS1_3repE0EEENS1_30default_config_static_selectorELNS0_4arch9wavefront6targetE1EEEvT1_ ; -- Begin function _ZN7rocprim17ROCPRIM_400000_NS6detail17trampoline_kernelINS0_14default_configENS1_35adjacent_difference_config_selectorILb1EtEEZNS1_24adjacent_difference_implIS3_Lb1ELb0EPtN6thrust23THRUST_200600_302600_NS16discard_iteratorINS9_11use_defaultEEENS9_5minusItEEEE10hipError_tPvRmT2_T3_mT4_P12ihipStream_tbEUlT_E_NS1_11comp_targetILNS1_3genE2ELNS1_11target_archE906ELNS1_3gpuE6ELNS1_3repE0EEENS1_30default_config_static_selectorELNS0_4arch9wavefront6targetE1EEEvT1_
	.globl	_ZN7rocprim17ROCPRIM_400000_NS6detail17trampoline_kernelINS0_14default_configENS1_35adjacent_difference_config_selectorILb1EtEEZNS1_24adjacent_difference_implIS3_Lb1ELb0EPtN6thrust23THRUST_200600_302600_NS16discard_iteratorINS9_11use_defaultEEENS9_5minusItEEEE10hipError_tPvRmT2_T3_mT4_P12ihipStream_tbEUlT_E_NS1_11comp_targetILNS1_3genE2ELNS1_11target_archE906ELNS1_3gpuE6ELNS1_3repE0EEENS1_30default_config_static_selectorELNS0_4arch9wavefront6targetE1EEEvT1_
	.p2align	8
	.type	_ZN7rocprim17ROCPRIM_400000_NS6detail17trampoline_kernelINS0_14default_configENS1_35adjacent_difference_config_selectorILb1EtEEZNS1_24adjacent_difference_implIS3_Lb1ELb0EPtN6thrust23THRUST_200600_302600_NS16discard_iteratorINS9_11use_defaultEEENS9_5minusItEEEE10hipError_tPvRmT2_T3_mT4_P12ihipStream_tbEUlT_E_NS1_11comp_targetILNS1_3genE2ELNS1_11target_archE906ELNS1_3gpuE6ELNS1_3repE0EEENS1_30default_config_static_selectorELNS0_4arch9wavefront6targetE1EEEvT1_,@function
_ZN7rocprim17ROCPRIM_400000_NS6detail17trampoline_kernelINS0_14default_configENS1_35adjacent_difference_config_selectorILb1EtEEZNS1_24adjacent_difference_implIS3_Lb1ELb0EPtN6thrust23THRUST_200600_302600_NS16discard_iteratorINS9_11use_defaultEEENS9_5minusItEEEE10hipError_tPvRmT2_T3_mT4_P12ihipStream_tbEUlT_E_NS1_11comp_targetILNS1_3genE2ELNS1_11target_archE906ELNS1_3gpuE6ELNS1_3repE0EEENS1_30default_config_static_selectorELNS0_4arch9wavefront6targetE1EEEvT1_: ; @_ZN7rocprim17ROCPRIM_400000_NS6detail17trampoline_kernelINS0_14default_configENS1_35adjacent_difference_config_selectorILb1EtEEZNS1_24adjacent_difference_implIS3_Lb1ELb0EPtN6thrust23THRUST_200600_302600_NS16discard_iteratorINS9_11use_defaultEEENS9_5minusItEEEE10hipError_tPvRmT2_T3_mT4_P12ihipStream_tbEUlT_E_NS1_11comp_targetILNS1_3genE2ELNS1_11target_archE906ELNS1_3gpuE6ELNS1_3repE0EEENS1_30default_config_static_selectorELNS0_4arch9wavefront6targetE1EEEvT1_
; %bb.0:
	.section	.rodata,"a",@progbits
	.p2align	6, 0x0
	.amdhsa_kernel _ZN7rocprim17ROCPRIM_400000_NS6detail17trampoline_kernelINS0_14default_configENS1_35adjacent_difference_config_selectorILb1EtEEZNS1_24adjacent_difference_implIS3_Lb1ELb0EPtN6thrust23THRUST_200600_302600_NS16discard_iteratorINS9_11use_defaultEEENS9_5minusItEEEE10hipError_tPvRmT2_T3_mT4_P12ihipStream_tbEUlT_E_NS1_11comp_targetILNS1_3genE2ELNS1_11target_archE906ELNS1_3gpuE6ELNS1_3repE0EEENS1_30default_config_static_selectorELNS0_4arch9wavefront6targetE1EEEvT1_
		.amdhsa_group_segment_fixed_size 0
		.amdhsa_private_segment_fixed_size 0
		.amdhsa_kernarg_size 64
		.amdhsa_user_sgpr_count 6
		.amdhsa_user_sgpr_private_segment_buffer 1
		.amdhsa_user_sgpr_dispatch_ptr 0
		.amdhsa_user_sgpr_queue_ptr 0
		.amdhsa_user_sgpr_kernarg_segment_ptr 1
		.amdhsa_user_sgpr_dispatch_id 0
		.amdhsa_user_sgpr_flat_scratch_init 0
		.amdhsa_user_sgpr_kernarg_preload_length 0
		.amdhsa_user_sgpr_kernarg_preload_offset 0
		.amdhsa_user_sgpr_private_segment_size 0
		.amdhsa_uses_dynamic_stack 0
		.amdhsa_system_sgpr_private_segment_wavefront_offset 0
		.amdhsa_system_sgpr_workgroup_id_x 1
		.amdhsa_system_sgpr_workgroup_id_y 0
		.amdhsa_system_sgpr_workgroup_id_z 0
		.amdhsa_system_sgpr_workgroup_info 0
		.amdhsa_system_vgpr_workitem_id 0
		.amdhsa_next_free_vgpr 1
		.amdhsa_next_free_sgpr 0
		.amdhsa_accum_offset 4
		.amdhsa_reserve_vcc 0
		.amdhsa_reserve_flat_scratch 0
		.amdhsa_float_round_mode_32 0
		.amdhsa_float_round_mode_16_64 0
		.amdhsa_float_denorm_mode_32 3
		.amdhsa_float_denorm_mode_16_64 3
		.amdhsa_dx10_clamp 1
		.amdhsa_ieee_mode 1
		.amdhsa_fp16_overflow 0
		.amdhsa_tg_split 0
		.amdhsa_exception_fp_ieee_invalid_op 0
		.amdhsa_exception_fp_denorm_src 0
		.amdhsa_exception_fp_ieee_div_zero 0
		.amdhsa_exception_fp_ieee_overflow 0
		.amdhsa_exception_fp_ieee_underflow 0
		.amdhsa_exception_fp_ieee_inexact 0
		.amdhsa_exception_int_div_zero 0
	.end_amdhsa_kernel
	.section	.text._ZN7rocprim17ROCPRIM_400000_NS6detail17trampoline_kernelINS0_14default_configENS1_35adjacent_difference_config_selectorILb1EtEEZNS1_24adjacent_difference_implIS3_Lb1ELb0EPtN6thrust23THRUST_200600_302600_NS16discard_iteratorINS9_11use_defaultEEENS9_5minusItEEEE10hipError_tPvRmT2_T3_mT4_P12ihipStream_tbEUlT_E_NS1_11comp_targetILNS1_3genE2ELNS1_11target_archE906ELNS1_3gpuE6ELNS1_3repE0EEENS1_30default_config_static_selectorELNS0_4arch9wavefront6targetE1EEEvT1_,"axG",@progbits,_ZN7rocprim17ROCPRIM_400000_NS6detail17trampoline_kernelINS0_14default_configENS1_35adjacent_difference_config_selectorILb1EtEEZNS1_24adjacent_difference_implIS3_Lb1ELb0EPtN6thrust23THRUST_200600_302600_NS16discard_iteratorINS9_11use_defaultEEENS9_5minusItEEEE10hipError_tPvRmT2_T3_mT4_P12ihipStream_tbEUlT_E_NS1_11comp_targetILNS1_3genE2ELNS1_11target_archE906ELNS1_3gpuE6ELNS1_3repE0EEENS1_30default_config_static_selectorELNS0_4arch9wavefront6targetE1EEEvT1_,comdat
.Lfunc_end731:
	.size	_ZN7rocprim17ROCPRIM_400000_NS6detail17trampoline_kernelINS0_14default_configENS1_35adjacent_difference_config_selectorILb1EtEEZNS1_24adjacent_difference_implIS3_Lb1ELb0EPtN6thrust23THRUST_200600_302600_NS16discard_iteratorINS9_11use_defaultEEENS9_5minusItEEEE10hipError_tPvRmT2_T3_mT4_P12ihipStream_tbEUlT_E_NS1_11comp_targetILNS1_3genE2ELNS1_11target_archE906ELNS1_3gpuE6ELNS1_3repE0EEENS1_30default_config_static_selectorELNS0_4arch9wavefront6targetE1EEEvT1_, .Lfunc_end731-_ZN7rocprim17ROCPRIM_400000_NS6detail17trampoline_kernelINS0_14default_configENS1_35adjacent_difference_config_selectorILb1EtEEZNS1_24adjacent_difference_implIS3_Lb1ELb0EPtN6thrust23THRUST_200600_302600_NS16discard_iteratorINS9_11use_defaultEEENS9_5minusItEEEE10hipError_tPvRmT2_T3_mT4_P12ihipStream_tbEUlT_E_NS1_11comp_targetILNS1_3genE2ELNS1_11target_archE906ELNS1_3gpuE6ELNS1_3repE0EEENS1_30default_config_static_selectorELNS0_4arch9wavefront6targetE1EEEvT1_
                                        ; -- End function
	.section	.AMDGPU.csdata,"",@progbits
; Kernel info:
; codeLenInByte = 0
; NumSgprs: 4
; NumVgprs: 0
; NumAgprs: 0
; TotalNumVgprs: 0
; ScratchSize: 0
; MemoryBound: 0
; FloatMode: 240
; IeeeMode: 1
; LDSByteSize: 0 bytes/workgroup (compile time only)
; SGPRBlocks: 0
; VGPRBlocks: 0
; NumSGPRsForWavesPerEU: 4
; NumVGPRsForWavesPerEU: 1
; AccumOffset: 4
; Occupancy: 8
; WaveLimiterHint : 0
; COMPUTE_PGM_RSRC2:SCRATCH_EN: 0
; COMPUTE_PGM_RSRC2:USER_SGPR: 6
; COMPUTE_PGM_RSRC2:TRAP_HANDLER: 0
; COMPUTE_PGM_RSRC2:TGID_X_EN: 1
; COMPUTE_PGM_RSRC2:TGID_Y_EN: 0
; COMPUTE_PGM_RSRC2:TGID_Z_EN: 0
; COMPUTE_PGM_RSRC2:TIDIG_COMP_CNT: 0
; COMPUTE_PGM_RSRC3_GFX90A:ACCUM_OFFSET: 0
; COMPUTE_PGM_RSRC3_GFX90A:TG_SPLIT: 0
	.section	.text._ZN7rocprim17ROCPRIM_400000_NS6detail17trampoline_kernelINS0_14default_configENS1_35adjacent_difference_config_selectorILb1EtEEZNS1_24adjacent_difference_implIS3_Lb1ELb0EPtN6thrust23THRUST_200600_302600_NS16discard_iteratorINS9_11use_defaultEEENS9_5minusItEEEE10hipError_tPvRmT2_T3_mT4_P12ihipStream_tbEUlT_E_NS1_11comp_targetILNS1_3genE9ELNS1_11target_archE1100ELNS1_3gpuE3ELNS1_3repE0EEENS1_30default_config_static_selectorELNS0_4arch9wavefront6targetE1EEEvT1_,"axG",@progbits,_ZN7rocprim17ROCPRIM_400000_NS6detail17trampoline_kernelINS0_14default_configENS1_35adjacent_difference_config_selectorILb1EtEEZNS1_24adjacent_difference_implIS3_Lb1ELb0EPtN6thrust23THRUST_200600_302600_NS16discard_iteratorINS9_11use_defaultEEENS9_5minusItEEEE10hipError_tPvRmT2_T3_mT4_P12ihipStream_tbEUlT_E_NS1_11comp_targetILNS1_3genE9ELNS1_11target_archE1100ELNS1_3gpuE3ELNS1_3repE0EEENS1_30default_config_static_selectorELNS0_4arch9wavefront6targetE1EEEvT1_,comdat
	.protected	_ZN7rocprim17ROCPRIM_400000_NS6detail17trampoline_kernelINS0_14default_configENS1_35adjacent_difference_config_selectorILb1EtEEZNS1_24adjacent_difference_implIS3_Lb1ELb0EPtN6thrust23THRUST_200600_302600_NS16discard_iteratorINS9_11use_defaultEEENS9_5minusItEEEE10hipError_tPvRmT2_T3_mT4_P12ihipStream_tbEUlT_E_NS1_11comp_targetILNS1_3genE9ELNS1_11target_archE1100ELNS1_3gpuE3ELNS1_3repE0EEENS1_30default_config_static_selectorELNS0_4arch9wavefront6targetE1EEEvT1_ ; -- Begin function _ZN7rocprim17ROCPRIM_400000_NS6detail17trampoline_kernelINS0_14default_configENS1_35adjacent_difference_config_selectorILb1EtEEZNS1_24adjacent_difference_implIS3_Lb1ELb0EPtN6thrust23THRUST_200600_302600_NS16discard_iteratorINS9_11use_defaultEEENS9_5minusItEEEE10hipError_tPvRmT2_T3_mT4_P12ihipStream_tbEUlT_E_NS1_11comp_targetILNS1_3genE9ELNS1_11target_archE1100ELNS1_3gpuE3ELNS1_3repE0EEENS1_30default_config_static_selectorELNS0_4arch9wavefront6targetE1EEEvT1_
	.globl	_ZN7rocprim17ROCPRIM_400000_NS6detail17trampoline_kernelINS0_14default_configENS1_35adjacent_difference_config_selectorILb1EtEEZNS1_24adjacent_difference_implIS3_Lb1ELb0EPtN6thrust23THRUST_200600_302600_NS16discard_iteratorINS9_11use_defaultEEENS9_5minusItEEEE10hipError_tPvRmT2_T3_mT4_P12ihipStream_tbEUlT_E_NS1_11comp_targetILNS1_3genE9ELNS1_11target_archE1100ELNS1_3gpuE3ELNS1_3repE0EEENS1_30default_config_static_selectorELNS0_4arch9wavefront6targetE1EEEvT1_
	.p2align	8
	.type	_ZN7rocprim17ROCPRIM_400000_NS6detail17trampoline_kernelINS0_14default_configENS1_35adjacent_difference_config_selectorILb1EtEEZNS1_24adjacent_difference_implIS3_Lb1ELb0EPtN6thrust23THRUST_200600_302600_NS16discard_iteratorINS9_11use_defaultEEENS9_5minusItEEEE10hipError_tPvRmT2_T3_mT4_P12ihipStream_tbEUlT_E_NS1_11comp_targetILNS1_3genE9ELNS1_11target_archE1100ELNS1_3gpuE3ELNS1_3repE0EEENS1_30default_config_static_selectorELNS0_4arch9wavefront6targetE1EEEvT1_,@function
_ZN7rocprim17ROCPRIM_400000_NS6detail17trampoline_kernelINS0_14default_configENS1_35adjacent_difference_config_selectorILb1EtEEZNS1_24adjacent_difference_implIS3_Lb1ELb0EPtN6thrust23THRUST_200600_302600_NS16discard_iteratorINS9_11use_defaultEEENS9_5minusItEEEE10hipError_tPvRmT2_T3_mT4_P12ihipStream_tbEUlT_E_NS1_11comp_targetILNS1_3genE9ELNS1_11target_archE1100ELNS1_3gpuE3ELNS1_3repE0EEENS1_30default_config_static_selectorELNS0_4arch9wavefront6targetE1EEEvT1_: ; @_ZN7rocprim17ROCPRIM_400000_NS6detail17trampoline_kernelINS0_14default_configENS1_35adjacent_difference_config_selectorILb1EtEEZNS1_24adjacent_difference_implIS3_Lb1ELb0EPtN6thrust23THRUST_200600_302600_NS16discard_iteratorINS9_11use_defaultEEENS9_5minusItEEEE10hipError_tPvRmT2_T3_mT4_P12ihipStream_tbEUlT_E_NS1_11comp_targetILNS1_3genE9ELNS1_11target_archE1100ELNS1_3gpuE3ELNS1_3repE0EEENS1_30default_config_static_selectorELNS0_4arch9wavefront6targetE1EEEvT1_
; %bb.0:
	.section	.rodata,"a",@progbits
	.p2align	6, 0x0
	.amdhsa_kernel _ZN7rocprim17ROCPRIM_400000_NS6detail17trampoline_kernelINS0_14default_configENS1_35adjacent_difference_config_selectorILb1EtEEZNS1_24adjacent_difference_implIS3_Lb1ELb0EPtN6thrust23THRUST_200600_302600_NS16discard_iteratorINS9_11use_defaultEEENS9_5minusItEEEE10hipError_tPvRmT2_T3_mT4_P12ihipStream_tbEUlT_E_NS1_11comp_targetILNS1_3genE9ELNS1_11target_archE1100ELNS1_3gpuE3ELNS1_3repE0EEENS1_30default_config_static_selectorELNS0_4arch9wavefront6targetE1EEEvT1_
		.amdhsa_group_segment_fixed_size 0
		.amdhsa_private_segment_fixed_size 0
		.amdhsa_kernarg_size 64
		.amdhsa_user_sgpr_count 6
		.amdhsa_user_sgpr_private_segment_buffer 1
		.amdhsa_user_sgpr_dispatch_ptr 0
		.amdhsa_user_sgpr_queue_ptr 0
		.amdhsa_user_sgpr_kernarg_segment_ptr 1
		.amdhsa_user_sgpr_dispatch_id 0
		.amdhsa_user_sgpr_flat_scratch_init 0
		.amdhsa_user_sgpr_kernarg_preload_length 0
		.amdhsa_user_sgpr_kernarg_preload_offset 0
		.amdhsa_user_sgpr_private_segment_size 0
		.amdhsa_uses_dynamic_stack 0
		.amdhsa_system_sgpr_private_segment_wavefront_offset 0
		.amdhsa_system_sgpr_workgroup_id_x 1
		.amdhsa_system_sgpr_workgroup_id_y 0
		.amdhsa_system_sgpr_workgroup_id_z 0
		.amdhsa_system_sgpr_workgroup_info 0
		.amdhsa_system_vgpr_workitem_id 0
		.amdhsa_next_free_vgpr 1
		.amdhsa_next_free_sgpr 0
		.amdhsa_accum_offset 4
		.amdhsa_reserve_vcc 0
		.amdhsa_reserve_flat_scratch 0
		.amdhsa_float_round_mode_32 0
		.amdhsa_float_round_mode_16_64 0
		.amdhsa_float_denorm_mode_32 3
		.amdhsa_float_denorm_mode_16_64 3
		.amdhsa_dx10_clamp 1
		.amdhsa_ieee_mode 1
		.amdhsa_fp16_overflow 0
		.amdhsa_tg_split 0
		.amdhsa_exception_fp_ieee_invalid_op 0
		.amdhsa_exception_fp_denorm_src 0
		.amdhsa_exception_fp_ieee_div_zero 0
		.amdhsa_exception_fp_ieee_overflow 0
		.amdhsa_exception_fp_ieee_underflow 0
		.amdhsa_exception_fp_ieee_inexact 0
		.amdhsa_exception_int_div_zero 0
	.end_amdhsa_kernel
	.section	.text._ZN7rocprim17ROCPRIM_400000_NS6detail17trampoline_kernelINS0_14default_configENS1_35adjacent_difference_config_selectorILb1EtEEZNS1_24adjacent_difference_implIS3_Lb1ELb0EPtN6thrust23THRUST_200600_302600_NS16discard_iteratorINS9_11use_defaultEEENS9_5minusItEEEE10hipError_tPvRmT2_T3_mT4_P12ihipStream_tbEUlT_E_NS1_11comp_targetILNS1_3genE9ELNS1_11target_archE1100ELNS1_3gpuE3ELNS1_3repE0EEENS1_30default_config_static_selectorELNS0_4arch9wavefront6targetE1EEEvT1_,"axG",@progbits,_ZN7rocprim17ROCPRIM_400000_NS6detail17trampoline_kernelINS0_14default_configENS1_35adjacent_difference_config_selectorILb1EtEEZNS1_24adjacent_difference_implIS3_Lb1ELb0EPtN6thrust23THRUST_200600_302600_NS16discard_iteratorINS9_11use_defaultEEENS9_5minusItEEEE10hipError_tPvRmT2_T3_mT4_P12ihipStream_tbEUlT_E_NS1_11comp_targetILNS1_3genE9ELNS1_11target_archE1100ELNS1_3gpuE3ELNS1_3repE0EEENS1_30default_config_static_selectorELNS0_4arch9wavefront6targetE1EEEvT1_,comdat
.Lfunc_end732:
	.size	_ZN7rocprim17ROCPRIM_400000_NS6detail17trampoline_kernelINS0_14default_configENS1_35adjacent_difference_config_selectorILb1EtEEZNS1_24adjacent_difference_implIS3_Lb1ELb0EPtN6thrust23THRUST_200600_302600_NS16discard_iteratorINS9_11use_defaultEEENS9_5minusItEEEE10hipError_tPvRmT2_T3_mT4_P12ihipStream_tbEUlT_E_NS1_11comp_targetILNS1_3genE9ELNS1_11target_archE1100ELNS1_3gpuE3ELNS1_3repE0EEENS1_30default_config_static_selectorELNS0_4arch9wavefront6targetE1EEEvT1_, .Lfunc_end732-_ZN7rocprim17ROCPRIM_400000_NS6detail17trampoline_kernelINS0_14default_configENS1_35adjacent_difference_config_selectorILb1EtEEZNS1_24adjacent_difference_implIS3_Lb1ELb0EPtN6thrust23THRUST_200600_302600_NS16discard_iteratorINS9_11use_defaultEEENS9_5minusItEEEE10hipError_tPvRmT2_T3_mT4_P12ihipStream_tbEUlT_E_NS1_11comp_targetILNS1_3genE9ELNS1_11target_archE1100ELNS1_3gpuE3ELNS1_3repE0EEENS1_30default_config_static_selectorELNS0_4arch9wavefront6targetE1EEEvT1_
                                        ; -- End function
	.section	.AMDGPU.csdata,"",@progbits
; Kernel info:
; codeLenInByte = 0
; NumSgprs: 4
; NumVgprs: 0
; NumAgprs: 0
; TotalNumVgprs: 0
; ScratchSize: 0
; MemoryBound: 0
; FloatMode: 240
; IeeeMode: 1
; LDSByteSize: 0 bytes/workgroup (compile time only)
; SGPRBlocks: 0
; VGPRBlocks: 0
; NumSGPRsForWavesPerEU: 4
; NumVGPRsForWavesPerEU: 1
; AccumOffset: 4
; Occupancy: 8
; WaveLimiterHint : 0
; COMPUTE_PGM_RSRC2:SCRATCH_EN: 0
; COMPUTE_PGM_RSRC2:USER_SGPR: 6
; COMPUTE_PGM_RSRC2:TRAP_HANDLER: 0
; COMPUTE_PGM_RSRC2:TGID_X_EN: 1
; COMPUTE_PGM_RSRC2:TGID_Y_EN: 0
; COMPUTE_PGM_RSRC2:TGID_Z_EN: 0
; COMPUTE_PGM_RSRC2:TIDIG_COMP_CNT: 0
; COMPUTE_PGM_RSRC3_GFX90A:ACCUM_OFFSET: 0
; COMPUTE_PGM_RSRC3_GFX90A:TG_SPLIT: 0
	.section	.text._ZN7rocprim17ROCPRIM_400000_NS6detail17trampoline_kernelINS0_14default_configENS1_35adjacent_difference_config_selectorILb1EtEEZNS1_24adjacent_difference_implIS3_Lb1ELb0EPtN6thrust23THRUST_200600_302600_NS16discard_iteratorINS9_11use_defaultEEENS9_5minusItEEEE10hipError_tPvRmT2_T3_mT4_P12ihipStream_tbEUlT_E_NS1_11comp_targetILNS1_3genE8ELNS1_11target_archE1030ELNS1_3gpuE2ELNS1_3repE0EEENS1_30default_config_static_selectorELNS0_4arch9wavefront6targetE1EEEvT1_,"axG",@progbits,_ZN7rocprim17ROCPRIM_400000_NS6detail17trampoline_kernelINS0_14default_configENS1_35adjacent_difference_config_selectorILb1EtEEZNS1_24adjacent_difference_implIS3_Lb1ELb0EPtN6thrust23THRUST_200600_302600_NS16discard_iteratorINS9_11use_defaultEEENS9_5minusItEEEE10hipError_tPvRmT2_T3_mT4_P12ihipStream_tbEUlT_E_NS1_11comp_targetILNS1_3genE8ELNS1_11target_archE1030ELNS1_3gpuE2ELNS1_3repE0EEENS1_30default_config_static_selectorELNS0_4arch9wavefront6targetE1EEEvT1_,comdat
	.protected	_ZN7rocprim17ROCPRIM_400000_NS6detail17trampoline_kernelINS0_14default_configENS1_35adjacent_difference_config_selectorILb1EtEEZNS1_24adjacent_difference_implIS3_Lb1ELb0EPtN6thrust23THRUST_200600_302600_NS16discard_iteratorINS9_11use_defaultEEENS9_5minusItEEEE10hipError_tPvRmT2_T3_mT4_P12ihipStream_tbEUlT_E_NS1_11comp_targetILNS1_3genE8ELNS1_11target_archE1030ELNS1_3gpuE2ELNS1_3repE0EEENS1_30default_config_static_selectorELNS0_4arch9wavefront6targetE1EEEvT1_ ; -- Begin function _ZN7rocprim17ROCPRIM_400000_NS6detail17trampoline_kernelINS0_14default_configENS1_35adjacent_difference_config_selectorILb1EtEEZNS1_24adjacent_difference_implIS3_Lb1ELb0EPtN6thrust23THRUST_200600_302600_NS16discard_iteratorINS9_11use_defaultEEENS9_5minusItEEEE10hipError_tPvRmT2_T3_mT4_P12ihipStream_tbEUlT_E_NS1_11comp_targetILNS1_3genE8ELNS1_11target_archE1030ELNS1_3gpuE2ELNS1_3repE0EEENS1_30default_config_static_selectorELNS0_4arch9wavefront6targetE1EEEvT1_
	.globl	_ZN7rocprim17ROCPRIM_400000_NS6detail17trampoline_kernelINS0_14default_configENS1_35adjacent_difference_config_selectorILb1EtEEZNS1_24adjacent_difference_implIS3_Lb1ELb0EPtN6thrust23THRUST_200600_302600_NS16discard_iteratorINS9_11use_defaultEEENS9_5minusItEEEE10hipError_tPvRmT2_T3_mT4_P12ihipStream_tbEUlT_E_NS1_11comp_targetILNS1_3genE8ELNS1_11target_archE1030ELNS1_3gpuE2ELNS1_3repE0EEENS1_30default_config_static_selectorELNS0_4arch9wavefront6targetE1EEEvT1_
	.p2align	8
	.type	_ZN7rocprim17ROCPRIM_400000_NS6detail17trampoline_kernelINS0_14default_configENS1_35adjacent_difference_config_selectorILb1EtEEZNS1_24adjacent_difference_implIS3_Lb1ELb0EPtN6thrust23THRUST_200600_302600_NS16discard_iteratorINS9_11use_defaultEEENS9_5minusItEEEE10hipError_tPvRmT2_T3_mT4_P12ihipStream_tbEUlT_E_NS1_11comp_targetILNS1_3genE8ELNS1_11target_archE1030ELNS1_3gpuE2ELNS1_3repE0EEENS1_30default_config_static_selectorELNS0_4arch9wavefront6targetE1EEEvT1_,@function
_ZN7rocprim17ROCPRIM_400000_NS6detail17trampoline_kernelINS0_14default_configENS1_35adjacent_difference_config_selectorILb1EtEEZNS1_24adjacent_difference_implIS3_Lb1ELb0EPtN6thrust23THRUST_200600_302600_NS16discard_iteratorINS9_11use_defaultEEENS9_5minusItEEEE10hipError_tPvRmT2_T3_mT4_P12ihipStream_tbEUlT_E_NS1_11comp_targetILNS1_3genE8ELNS1_11target_archE1030ELNS1_3gpuE2ELNS1_3repE0EEENS1_30default_config_static_selectorELNS0_4arch9wavefront6targetE1EEEvT1_: ; @_ZN7rocprim17ROCPRIM_400000_NS6detail17trampoline_kernelINS0_14default_configENS1_35adjacent_difference_config_selectorILb1EtEEZNS1_24adjacent_difference_implIS3_Lb1ELb0EPtN6thrust23THRUST_200600_302600_NS16discard_iteratorINS9_11use_defaultEEENS9_5minusItEEEE10hipError_tPvRmT2_T3_mT4_P12ihipStream_tbEUlT_E_NS1_11comp_targetILNS1_3genE8ELNS1_11target_archE1030ELNS1_3gpuE2ELNS1_3repE0EEENS1_30default_config_static_selectorELNS0_4arch9wavefront6targetE1EEEvT1_
; %bb.0:
	.section	.rodata,"a",@progbits
	.p2align	6, 0x0
	.amdhsa_kernel _ZN7rocprim17ROCPRIM_400000_NS6detail17trampoline_kernelINS0_14default_configENS1_35adjacent_difference_config_selectorILb1EtEEZNS1_24adjacent_difference_implIS3_Lb1ELb0EPtN6thrust23THRUST_200600_302600_NS16discard_iteratorINS9_11use_defaultEEENS9_5minusItEEEE10hipError_tPvRmT2_T3_mT4_P12ihipStream_tbEUlT_E_NS1_11comp_targetILNS1_3genE8ELNS1_11target_archE1030ELNS1_3gpuE2ELNS1_3repE0EEENS1_30default_config_static_selectorELNS0_4arch9wavefront6targetE1EEEvT1_
		.amdhsa_group_segment_fixed_size 0
		.amdhsa_private_segment_fixed_size 0
		.amdhsa_kernarg_size 64
		.amdhsa_user_sgpr_count 6
		.amdhsa_user_sgpr_private_segment_buffer 1
		.amdhsa_user_sgpr_dispatch_ptr 0
		.amdhsa_user_sgpr_queue_ptr 0
		.amdhsa_user_sgpr_kernarg_segment_ptr 1
		.amdhsa_user_sgpr_dispatch_id 0
		.amdhsa_user_sgpr_flat_scratch_init 0
		.amdhsa_user_sgpr_kernarg_preload_length 0
		.amdhsa_user_sgpr_kernarg_preload_offset 0
		.amdhsa_user_sgpr_private_segment_size 0
		.amdhsa_uses_dynamic_stack 0
		.amdhsa_system_sgpr_private_segment_wavefront_offset 0
		.amdhsa_system_sgpr_workgroup_id_x 1
		.amdhsa_system_sgpr_workgroup_id_y 0
		.amdhsa_system_sgpr_workgroup_id_z 0
		.amdhsa_system_sgpr_workgroup_info 0
		.amdhsa_system_vgpr_workitem_id 0
		.amdhsa_next_free_vgpr 1
		.amdhsa_next_free_sgpr 0
		.amdhsa_accum_offset 4
		.amdhsa_reserve_vcc 0
		.amdhsa_reserve_flat_scratch 0
		.amdhsa_float_round_mode_32 0
		.amdhsa_float_round_mode_16_64 0
		.amdhsa_float_denorm_mode_32 3
		.amdhsa_float_denorm_mode_16_64 3
		.amdhsa_dx10_clamp 1
		.amdhsa_ieee_mode 1
		.amdhsa_fp16_overflow 0
		.amdhsa_tg_split 0
		.amdhsa_exception_fp_ieee_invalid_op 0
		.amdhsa_exception_fp_denorm_src 0
		.amdhsa_exception_fp_ieee_div_zero 0
		.amdhsa_exception_fp_ieee_overflow 0
		.amdhsa_exception_fp_ieee_underflow 0
		.amdhsa_exception_fp_ieee_inexact 0
		.amdhsa_exception_int_div_zero 0
	.end_amdhsa_kernel
	.section	.text._ZN7rocprim17ROCPRIM_400000_NS6detail17trampoline_kernelINS0_14default_configENS1_35adjacent_difference_config_selectorILb1EtEEZNS1_24adjacent_difference_implIS3_Lb1ELb0EPtN6thrust23THRUST_200600_302600_NS16discard_iteratorINS9_11use_defaultEEENS9_5minusItEEEE10hipError_tPvRmT2_T3_mT4_P12ihipStream_tbEUlT_E_NS1_11comp_targetILNS1_3genE8ELNS1_11target_archE1030ELNS1_3gpuE2ELNS1_3repE0EEENS1_30default_config_static_selectorELNS0_4arch9wavefront6targetE1EEEvT1_,"axG",@progbits,_ZN7rocprim17ROCPRIM_400000_NS6detail17trampoline_kernelINS0_14default_configENS1_35adjacent_difference_config_selectorILb1EtEEZNS1_24adjacent_difference_implIS3_Lb1ELb0EPtN6thrust23THRUST_200600_302600_NS16discard_iteratorINS9_11use_defaultEEENS9_5minusItEEEE10hipError_tPvRmT2_T3_mT4_P12ihipStream_tbEUlT_E_NS1_11comp_targetILNS1_3genE8ELNS1_11target_archE1030ELNS1_3gpuE2ELNS1_3repE0EEENS1_30default_config_static_selectorELNS0_4arch9wavefront6targetE1EEEvT1_,comdat
.Lfunc_end733:
	.size	_ZN7rocprim17ROCPRIM_400000_NS6detail17trampoline_kernelINS0_14default_configENS1_35adjacent_difference_config_selectorILb1EtEEZNS1_24adjacent_difference_implIS3_Lb1ELb0EPtN6thrust23THRUST_200600_302600_NS16discard_iteratorINS9_11use_defaultEEENS9_5minusItEEEE10hipError_tPvRmT2_T3_mT4_P12ihipStream_tbEUlT_E_NS1_11comp_targetILNS1_3genE8ELNS1_11target_archE1030ELNS1_3gpuE2ELNS1_3repE0EEENS1_30default_config_static_selectorELNS0_4arch9wavefront6targetE1EEEvT1_, .Lfunc_end733-_ZN7rocprim17ROCPRIM_400000_NS6detail17trampoline_kernelINS0_14default_configENS1_35adjacent_difference_config_selectorILb1EtEEZNS1_24adjacent_difference_implIS3_Lb1ELb0EPtN6thrust23THRUST_200600_302600_NS16discard_iteratorINS9_11use_defaultEEENS9_5minusItEEEE10hipError_tPvRmT2_T3_mT4_P12ihipStream_tbEUlT_E_NS1_11comp_targetILNS1_3genE8ELNS1_11target_archE1030ELNS1_3gpuE2ELNS1_3repE0EEENS1_30default_config_static_selectorELNS0_4arch9wavefront6targetE1EEEvT1_
                                        ; -- End function
	.section	.AMDGPU.csdata,"",@progbits
; Kernel info:
; codeLenInByte = 0
; NumSgprs: 4
; NumVgprs: 0
; NumAgprs: 0
; TotalNumVgprs: 0
; ScratchSize: 0
; MemoryBound: 0
; FloatMode: 240
; IeeeMode: 1
; LDSByteSize: 0 bytes/workgroup (compile time only)
; SGPRBlocks: 0
; VGPRBlocks: 0
; NumSGPRsForWavesPerEU: 4
; NumVGPRsForWavesPerEU: 1
; AccumOffset: 4
; Occupancy: 8
; WaveLimiterHint : 0
; COMPUTE_PGM_RSRC2:SCRATCH_EN: 0
; COMPUTE_PGM_RSRC2:USER_SGPR: 6
; COMPUTE_PGM_RSRC2:TRAP_HANDLER: 0
; COMPUTE_PGM_RSRC2:TGID_X_EN: 1
; COMPUTE_PGM_RSRC2:TGID_Y_EN: 0
; COMPUTE_PGM_RSRC2:TGID_Z_EN: 0
; COMPUTE_PGM_RSRC2:TIDIG_COMP_CNT: 0
; COMPUTE_PGM_RSRC3_GFX90A:ACCUM_OFFSET: 0
; COMPUTE_PGM_RSRC3_GFX90A:TG_SPLIT: 0
	.section	.text._ZN7rocprim17ROCPRIM_400000_NS6detail17trampoline_kernelINS0_14default_configENS1_25transform_config_selectorIiLb0EEEZNS1_14transform_implILb0ES3_S5_NS0_18transform_iteratorINS0_17counting_iteratorImlEEZNS1_24adjacent_difference_implIS3_Lb1ELb0EPiN6thrust23THRUST_200600_302600_NS16discard_iteratorINSD_11use_defaultEEENSD_5minusIiEEEE10hipError_tPvRmT2_T3_mT4_P12ihipStream_tbEUlmE_iEESB_NS0_8identityIvEEEESJ_SM_SN_mSO_SQ_bEUlT_E_NS1_11comp_targetILNS1_3genE0ELNS1_11target_archE4294967295ELNS1_3gpuE0ELNS1_3repE0EEENS1_30default_config_static_selectorELNS0_4arch9wavefront6targetE1EEEvT1_,"axG",@progbits,_ZN7rocprim17ROCPRIM_400000_NS6detail17trampoline_kernelINS0_14default_configENS1_25transform_config_selectorIiLb0EEEZNS1_14transform_implILb0ES3_S5_NS0_18transform_iteratorINS0_17counting_iteratorImlEEZNS1_24adjacent_difference_implIS3_Lb1ELb0EPiN6thrust23THRUST_200600_302600_NS16discard_iteratorINSD_11use_defaultEEENSD_5minusIiEEEE10hipError_tPvRmT2_T3_mT4_P12ihipStream_tbEUlmE_iEESB_NS0_8identityIvEEEESJ_SM_SN_mSO_SQ_bEUlT_E_NS1_11comp_targetILNS1_3genE0ELNS1_11target_archE4294967295ELNS1_3gpuE0ELNS1_3repE0EEENS1_30default_config_static_selectorELNS0_4arch9wavefront6targetE1EEEvT1_,comdat
	.protected	_ZN7rocprim17ROCPRIM_400000_NS6detail17trampoline_kernelINS0_14default_configENS1_25transform_config_selectorIiLb0EEEZNS1_14transform_implILb0ES3_S5_NS0_18transform_iteratorINS0_17counting_iteratorImlEEZNS1_24adjacent_difference_implIS3_Lb1ELb0EPiN6thrust23THRUST_200600_302600_NS16discard_iteratorINSD_11use_defaultEEENSD_5minusIiEEEE10hipError_tPvRmT2_T3_mT4_P12ihipStream_tbEUlmE_iEESB_NS0_8identityIvEEEESJ_SM_SN_mSO_SQ_bEUlT_E_NS1_11comp_targetILNS1_3genE0ELNS1_11target_archE4294967295ELNS1_3gpuE0ELNS1_3repE0EEENS1_30default_config_static_selectorELNS0_4arch9wavefront6targetE1EEEvT1_ ; -- Begin function _ZN7rocprim17ROCPRIM_400000_NS6detail17trampoline_kernelINS0_14default_configENS1_25transform_config_selectorIiLb0EEEZNS1_14transform_implILb0ES3_S5_NS0_18transform_iteratorINS0_17counting_iteratorImlEEZNS1_24adjacent_difference_implIS3_Lb1ELb0EPiN6thrust23THRUST_200600_302600_NS16discard_iteratorINSD_11use_defaultEEENSD_5minusIiEEEE10hipError_tPvRmT2_T3_mT4_P12ihipStream_tbEUlmE_iEESB_NS0_8identityIvEEEESJ_SM_SN_mSO_SQ_bEUlT_E_NS1_11comp_targetILNS1_3genE0ELNS1_11target_archE4294967295ELNS1_3gpuE0ELNS1_3repE0EEENS1_30default_config_static_selectorELNS0_4arch9wavefront6targetE1EEEvT1_
	.globl	_ZN7rocprim17ROCPRIM_400000_NS6detail17trampoline_kernelINS0_14default_configENS1_25transform_config_selectorIiLb0EEEZNS1_14transform_implILb0ES3_S5_NS0_18transform_iteratorINS0_17counting_iteratorImlEEZNS1_24adjacent_difference_implIS3_Lb1ELb0EPiN6thrust23THRUST_200600_302600_NS16discard_iteratorINSD_11use_defaultEEENSD_5minusIiEEEE10hipError_tPvRmT2_T3_mT4_P12ihipStream_tbEUlmE_iEESB_NS0_8identityIvEEEESJ_SM_SN_mSO_SQ_bEUlT_E_NS1_11comp_targetILNS1_3genE0ELNS1_11target_archE4294967295ELNS1_3gpuE0ELNS1_3repE0EEENS1_30default_config_static_selectorELNS0_4arch9wavefront6targetE1EEEvT1_
	.p2align	8
	.type	_ZN7rocprim17ROCPRIM_400000_NS6detail17trampoline_kernelINS0_14default_configENS1_25transform_config_selectorIiLb0EEEZNS1_14transform_implILb0ES3_S5_NS0_18transform_iteratorINS0_17counting_iteratorImlEEZNS1_24adjacent_difference_implIS3_Lb1ELb0EPiN6thrust23THRUST_200600_302600_NS16discard_iteratorINSD_11use_defaultEEENSD_5minusIiEEEE10hipError_tPvRmT2_T3_mT4_P12ihipStream_tbEUlmE_iEESB_NS0_8identityIvEEEESJ_SM_SN_mSO_SQ_bEUlT_E_NS1_11comp_targetILNS1_3genE0ELNS1_11target_archE4294967295ELNS1_3gpuE0ELNS1_3repE0EEENS1_30default_config_static_selectorELNS0_4arch9wavefront6targetE1EEEvT1_,@function
_ZN7rocprim17ROCPRIM_400000_NS6detail17trampoline_kernelINS0_14default_configENS1_25transform_config_selectorIiLb0EEEZNS1_14transform_implILb0ES3_S5_NS0_18transform_iteratorINS0_17counting_iteratorImlEEZNS1_24adjacent_difference_implIS3_Lb1ELb0EPiN6thrust23THRUST_200600_302600_NS16discard_iteratorINSD_11use_defaultEEENSD_5minusIiEEEE10hipError_tPvRmT2_T3_mT4_P12ihipStream_tbEUlmE_iEESB_NS0_8identityIvEEEESJ_SM_SN_mSO_SQ_bEUlT_E_NS1_11comp_targetILNS1_3genE0ELNS1_11target_archE4294967295ELNS1_3gpuE0ELNS1_3repE0EEENS1_30default_config_static_selectorELNS0_4arch9wavefront6targetE1EEEvT1_: ; @_ZN7rocprim17ROCPRIM_400000_NS6detail17trampoline_kernelINS0_14default_configENS1_25transform_config_selectorIiLb0EEEZNS1_14transform_implILb0ES3_S5_NS0_18transform_iteratorINS0_17counting_iteratorImlEEZNS1_24adjacent_difference_implIS3_Lb1ELb0EPiN6thrust23THRUST_200600_302600_NS16discard_iteratorINSD_11use_defaultEEENSD_5minusIiEEEE10hipError_tPvRmT2_T3_mT4_P12ihipStream_tbEUlmE_iEESB_NS0_8identityIvEEEESJ_SM_SN_mSO_SQ_bEUlT_E_NS1_11comp_targetILNS1_3genE0ELNS1_11target_archE4294967295ELNS1_3gpuE0ELNS1_3repE0EEENS1_30default_config_static_selectorELNS0_4arch9wavefront6targetE1EEEvT1_
; %bb.0:
	.section	.rodata,"a",@progbits
	.p2align	6, 0x0
	.amdhsa_kernel _ZN7rocprim17ROCPRIM_400000_NS6detail17trampoline_kernelINS0_14default_configENS1_25transform_config_selectorIiLb0EEEZNS1_14transform_implILb0ES3_S5_NS0_18transform_iteratorINS0_17counting_iteratorImlEEZNS1_24adjacent_difference_implIS3_Lb1ELb0EPiN6thrust23THRUST_200600_302600_NS16discard_iteratorINSD_11use_defaultEEENSD_5minusIiEEEE10hipError_tPvRmT2_T3_mT4_P12ihipStream_tbEUlmE_iEESB_NS0_8identityIvEEEESJ_SM_SN_mSO_SQ_bEUlT_E_NS1_11comp_targetILNS1_3genE0ELNS1_11target_archE4294967295ELNS1_3gpuE0ELNS1_3repE0EEENS1_30default_config_static_selectorELNS0_4arch9wavefront6targetE1EEEvT1_
		.amdhsa_group_segment_fixed_size 0
		.amdhsa_private_segment_fixed_size 0
		.amdhsa_kernarg_size 56
		.amdhsa_user_sgpr_count 6
		.amdhsa_user_sgpr_private_segment_buffer 1
		.amdhsa_user_sgpr_dispatch_ptr 0
		.amdhsa_user_sgpr_queue_ptr 0
		.amdhsa_user_sgpr_kernarg_segment_ptr 1
		.amdhsa_user_sgpr_dispatch_id 0
		.amdhsa_user_sgpr_flat_scratch_init 0
		.amdhsa_user_sgpr_kernarg_preload_length 0
		.amdhsa_user_sgpr_kernarg_preload_offset 0
		.amdhsa_user_sgpr_private_segment_size 0
		.amdhsa_uses_dynamic_stack 0
		.amdhsa_system_sgpr_private_segment_wavefront_offset 0
		.amdhsa_system_sgpr_workgroup_id_x 1
		.amdhsa_system_sgpr_workgroup_id_y 0
		.amdhsa_system_sgpr_workgroup_id_z 0
		.amdhsa_system_sgpr_workgroup_info 0
		.amdhsa_system_vgpr_workitem_id 0
		.amdhsa_next_free_vgpr 1
		.amdhsa_next_free_sgpr 0
		.amdhsa_accum_offset 4
		.amdhsa_reserve_vcc 0
		.amdhsa_reserve_flat_scratch 0
		.amdhsa_float_round_mode_32 0
		.amdhsa_float_round_mode_16_64 0
		.amdhsa_float_denorm_mode_32 3
		.amdhsa_float_denorm_mode_16_64 3
		.amdhsa_dx10_clamp 1
		.amdhsa_ieee_mode 1
		.amdhsa_fp16_overflow 0
		.amdhsa_tg_split 0
		.amdhsa_exception_fp_ieee_invalid_op 0
		.amdhsa_exception_fp_denorm_src 0
		.amdhsa_exception_fp_ieee_div_zero 0
		.amdhsa_exception_fp_ieee_overflow 0
		.amdhsa_exception_fp_ieee_underflow 0
		.amdhsa_exception_fp_ieee_inexact 0
		.amdhsa_exception_int_div_zero 0
	.end_amdhsa_kernel
	.section	.text._ZN7rocprim17ROCPRIM_400000_NS6detail17trampoline_kernelINS0_14default_configENS1_25transform_config_selectorIiLb0EEEZNS1_14transform_implILb0ES3_S5_NS0_18transform_iteratorINS0_17counting_iteratorImlEEZNS1_24adjacent_difference_implIS3_Lb1ELb0EPiN6thrust23THRUST_200600_302600_NS16discard_iteratorINSD_11use_defaultEEENSD_5minusIiEEEE10hipError_tPvRmT2_T3_mT4_P12ihipStream_tbEUlmE_iEESB_NS0_8identityIvEEEESJ_SM_SN_mSO_SQ_bEUlT_E_NS1_11comp_targetILNS1_3genE0ELNS1_11target_archE4294967295ELNS1_3gpuE0ELNS1_3repE0EEENS1_30default_config_static_selectorELNS0_4arch9wavefront6targetE1EEEvT1_,"axG",@progbits,_ZN7rocprim17ROCPRIM_400000_NS6detail17trampoline_kernelINS0_14default_configENS1_25transform_config_selectorIiLb0EEEZNS1_14transform_implILb0ES3_S5_NS0_18transform_iteratorINS0_17counting_iteratorImlEEZNS1_24adjacent_difference_implIS3_Lb1ELb0EPiN6thrust23THRUST_200600_302600_NS16discard_iteratorINSD_11use_defaultEEENSD_5minusIiEEEE10hipError_tPvRmT2_T3_mT4_P12ihipStream_tbEUlmE_iEESB_NS0_8identityIvEEEESJ_SM_SN_mSO_SQ_bEUlT_E_NS1_11comp_targetILNS1_3genE0ELNS1_11target_archE4294967295ELNS1_3gpuE0ELNS1_3repE0EEENS1_30default_config_static_selectorELNS0_4arch9wavefront6targetE1EEEvT1_,comdat
.Lfunc_end734:
	.size	_ZN7rocprim17ROCPRIM_400000_NS6detail17trampoline_kernelINS0_14default_configENS1_25transform_config_selectorIiLb0EEEZNS1_14transform_implILb0ES3_S5_NS0_18transform_iteratorINS0_17counting_iteratorImlEEZNS1_24adjacent_difference_implIS3_Lb1ELb0EPiN6thrust23THRUST_200600_302600_NS16discard_iteratorINSD_11use_defaultEEENSD_5minusIiEEEE10hipError_tPvRmT2_T3_mT4_P12ihipStream_tbEUlmE_iEESB_NS0_8identityIvEEEESJ_SM_SN_mSO_SQ_bEUlT_E_NS1_11comp_targetILNS1_3genE0ELNS1_11target_archE4294967295ELNS1_3gpuE0ELNS1_3repE0EEENS1_30default_config_static_selectorELNS0_4arch9wavefront6targetE1EEEvT1_, .Lfunc_end734-_ZN7rocprim17ROCPRIM_400000_NS6detail17trampoline_kernelINS0_14default_configENS1_25transform_config_selectorIiLb0EEEZNS1_14transform_implILb0ES3_S5_NS0_18transform_iteratorINS0_17counting_iteratorImlEEZNS1_24adjacent_difference_implIS3_Lb1ELb0EPiN6thrust23THRUST_200600_302600_NS16discard_iteratorINSD_11use_defaultEEENSD_5minusIiEEEE10hipError_tPvRmT2_T3_mT4_P12ihipStream_tbEUlmE_iEESB_NS0_8identityIvEEEESJ_SM_SN_mSO_SQ_bEUlT_E_NS1_11comp_targetILNS1_3genE0ELNS1_11target_archE4294967295ELNS1_3gpuE0ELNS1_3repE0EEENS1_30default_config_static_selectorELNS0_4arch9wavefront6targetE1EEEvT1_
                                        ; -- End function
	.section	.AMDGPU.csdata,"",@progbits
; Kernel info:
; codeLenInByte = 0
; NumSgprs: 4
; NumVgprs: 0
; NumAgprs: 0
; TotalNumVgprs: 0
; ScratchSize: 0
; MemoryBound: 0
; FloatMode: 240
; IeeeMode: 1
; LDSByteSize: 0 bytes/workgroup (compile time only)
; SGPRBlocks: 0
; VGPRBlocks: 0
; NumSGPRsForWavesPerEU: 4
; NumVGPRsForWavesPerEU: 1
; AccumOffset: 4
; Occupancy: 8
; WaveLimiterHint : 0
; COMPUTE_PGM_RSRC2:SCRATCH_EN: 0
; COMPUTE_PGM_RSRC2:USER_SGPR: 6
; COMPUTE_PGM_RSRC2:TRAP_HANDLER: 0
; COMPUTE_PGM_RSRC2:TGID_X_EN: 1
; COMPUTE_PGM_RSRC2:TGID_Y_EN: 0
; COMPUTE_PGM_RSRC2:TGID_Z_EN: 0
; COMPUTE_PGM_RSRC2:TIDIG_COMP_CNT: 0
; COMPUTE_PGM_RSRC3_GFX90A:ACCUM_OFFSET: 0
; COMPUTE_PGM_RSRC3_GFX90A:TG_SPLIT: 0
	.section	.text._ZN7rocprim17ROCPRIM_400000_NS6detail17trampoline_kernelINS0_14default_configENS1_25transform_config_selectorIiLb0EEEZNS1_14transform_implILb0ES3_S5_NS0_18transform_iteratorINS0_17counting_iteratorImlEEZNS1_24adjacent_difference_implIS3_Lb1ELb0EPiN6thrust23THRUST_200600_302600_NS16discard_iteratorINSD_11use_defaultEEENSD_5minusIiEEEE10hipError_tPvRmT2_T3_mT4_P12ihipStream_tbEUlmE_iEESB_NS0_8identityIvEEEESJ_SM_SN_mSO_SQ_bEUlT_E_NS1_11comp_targetILNS1_3genE5ELNS1_11target_archE942ELNS1_3gpuE9ELNS1_3repE0EEENS1_30default_config_static_selectorELNS0_4arch9wavefront6targetE1EEEvT1_,"axG",@progbits,_ZN7rocprim17ROCPRIM_400000_NS6detail17trampoline_kernelINS0_14default_configENS1_25transform_config_selectorIiLb0EEEZNS1_14transform_implILb0ES3_S5_NS0_18transform_iteratorINS0_17counting_iteratorImlEEZNS1_24adjacent_difference_implIS3_Lb1ELb0EPiN6thrust23THRUST_200600_302600_NS16discard_iteratorINSD_11use_defaultEEENSD_5minusIiEEEE10hipError_tPvRmT2_T3_mT4_P12ihipStream_tbEUlmE_iEESB_NS0_8identityIvEEEESJ_SM_SN_mSO_SQ_bEUlT_E_NS1_11comp_targetILNS1_3genE5ELNS1_11target_archE942ELNS1_3gpuE9ELNS1_3repE0EEENS1_30default_config_static_selectorELNS0_4arch9wavefront6targetE1EEEvT1_,comdat
	.protected	_ZN7rocprim17ROCPRIM_400000_NS6detail17trampoline_kernelINS0_14default_configENS1_25transform_config_selectorIiLb0EEEZNS1_14transform_implILb0ES3_S5_NS0_18transform_iteratorINS0_17counting_iteratorImlEEZNS1_24adjacent_difference_implIS3_Lb1ELb0EPiN6thrust23THRUST_200600_302600_NS16discard_iteratorINSD_11use_defaultEEENSD_5minusIiEEEE10hipError_tPvRmT2_T3_mT4_P12ihipStream_tbEUlmE_iEESB_NS0_8identityIvEEEESJ_SM_SN_mSO_SQ_bEUlT_E_NS1_11comp_targetILNS1_3genE5ELNS1_11target_archE942ELNS1_3gpuE9ELNS1_3repE0EEENS1_30default_config_static_selectorELNS0_4arch9wavefront6targetE1EEEvT1_ ; -- Begin function _ZN7rocprim17ROCPRIM_400000_NS6detail17trampoline_kernelINS0_14default_configENS1_25transform_config_selectorIiLb0EEEZNS1_14transform_implILb0ES3_S5_NS0_18transform_iteratorINS0_17counting_iteratorImlEEZNS1_24adjacent_difference_implIS3_Lb1ELb0EPiN6thrust23THRUST_200600_302600_NS16discard_iteratorINSD_11use_defaultEEENSD_5minusIiEEEE10hipError_tPvRmT2_T3_mT4_P12ihipStream_tbEUlmE_iEESB_NS0_8identityIvEEEESJ_SM_SN_mSO_SQ_bEUlT_E_NS1_11comp_targetILNS1_3genE5ELNS1_11target_archE942ELNS1_3gpuE9ELNS1_3repE0EEENS1_30default_config_static_selectorELNS0_4arch9wavefront6targetE1EEEvT1_
	.globl	_ZN7rocprim17ROCPRIM_400000_NS6detail17trampoline_kernelINS0_14default_configENS1_25transform_config_selectorIiLb0EEEZNS1_14transform_implILb0ES3_S5_NS0_18transform_iteratorINS0_17counting_iteratorImlEEZNS1_24adjacent_difference_implIS3_Lb1ELb0EPiN6thrust23THRUST_200600_302600_NS16discard_iteratorINSD_11use_defaultEEENSD_5minusIiEEEE10hipError_tPvRmT2_T3_mT4_P12ihipStream_tbEUlmE_iEESB_NS0_8identityIvEEEESJ_SM_SN_mSO_SQ_bEUlT_E_NS1_11comp_targetILNS1_3genE5ELNS1_11target_archE942ELNS1_3gpuE9ELNS1_3repE0EEENS1_30default_config_static_selectorELNS0_4arch9wavefront6targetE1EEEvT1_
	.p2align	8
	.type	_ZN7rocprim17ROCPRIM_400000_NS6detail17trampoline_kernelINS0_14default_configENS1_25transform_config_selectorIiLb0EEEZNS1_14transform_implILb0ES3_S5_NS0_18transform_iteratorINS0_17counting_iteratorImlEEZNS1_24adjacent_difference_implIS3_Lb1ELb0EPiN6thrust23THRUST_200600_302600_NS16discard_iteratorINSD_11use_defaultEEENSD_5minusIiEEEE10hipError_tPvRmT2_T3_mT4_P12ihipStream_tbEUlmE_iEESB_NS0_8identityIvEEEESJ_SM_SN_mSO_SQ_bEUlT_E_NS1_11comp_targetILNS1_3genE5ELNS1_11target_archE942ELNS1_3gpuE9ELNS1_3repE0EEENS1_30default_config_static_selectorELNS0_4arch9wavefront6targetE1EEEvT1_,@function
_ZN7rocprim17ROCPRIM_400000_NS6detail17trampoline_kernelINS0_14default_configENS1_25transform_config_selectorIiLb0EEEZNS1_14transform_implILb0ES3_S5_NS0_18transform_iteratorINS0_17counting_iteratorImlEEZNS1_24adjacent_difference_implIS3_Lb1ELb0EPiN6thrust23THRUST_200600_302600_NS16discard_iteratorINSD_11use_defaultEEENSD_5minusIiEEEE10hipError_tPvRmT2_T3_mT4_P12ihipStream_tbEUlmE_iEESB_NS0_8identityIvEEEESJ_SM_SN_mSO_SQ_bEUlT_E_NS1_11comp_targetILNS1_3genE5ELNS1_11target_archE942ELNS1_3gpuE9ELNS1_3repE0EEENS1_30default_config_static_selectorELNS0_4arch9wavefront6targetE1EEEvT1_: ; @_ZN7rocprim17ROCPRIM_400000_NS6detail17trampoline_kernelINS0_14default_configENS1_25transform_config_selectorIiLb0EEEZNS1_14transform_implILb0ES3_S5_NS0_18transform_iteratorINS0_17counting_iteratorImlEEZNS1_24adjacent_difference_implIS3_Lb1ELb0EPiN6thrust23THRUST_200600_302600_NS16discard_iteratorINSD_11use_defaultEEENSD_5minusIiEEEE10hipError_tPvRmT2_T3_mT4_P12ihipStream_tbEUlmE_iEESB_NS0_8identityIvEEEESJ_SM_SN_mSO_SQ_bEUlT_E_NS1_11comp_targetILNS1_3genE5ELNS1_11target_archE942ELNS1_3gpuE9ELNS1_3repE0EEENS1_30default_config_static_selectorELNS0_4arch9wavefront6targetE1EEEvT1_
; %bb.0:
	.section	.rodata,"a",@progbits
	.p2align	6, 0x0
	.amdhsa_kernel _ZN7rocprim17ROCPRIM_400000_NS6detail17trampoline_kernelINS0_14default_configENS1_25transform_config_selectorIiLb0EEEZNS1_14transform_implILb0ES3_S5_NS0_18transform_iteratorINS0_17counting_iteratorImlEEZNS1_24adjacent_difference_implIS3_Lb1ELb0EPiN6thrust23THRUST_200600_302600_NS16discard_iteratorINSD_11use_defaultEEENSD_5minusIiEEEE10hipError_tPvRmT2_T3_mT4_P12ihipStream_tbEUlmE_iEESB_NS0_8identityIvEEEESJ_SM_SN_mSO_SQ_bEUlT_E_NS1_11comp_targetILNS1_3genE5ELNS1_11target_archE942ELNS1_3gpuE9ELNS1_3repE0EEENS1_30default_config_static_selectorELNS0_4arch9wavefront6targetE1EEEvT1_
		.amdhsa_group_segment_fixed_size 0
		.amdhsa_private_segment_fixed_size 0
		.amdhsa_kernarg_size 56
		.amdhsa_user_sgpr_count 6
		.amdhsa_user_sgpr_private_segment_buffer 1
		.amdhsa_user_sgpr_dispatch_ptr 0
		.amdhsa_user_sgpr_queue_ptr 0
		.amdhsa_user_sgpr_kernarg_segment_ptr 1
		.amdhsa_user_sgpr_dispatch_id 0
		.amdhsa_user_sgpr_flat_scratch_init 0
		.amdhsa_user_sgpr_kernarg_preload_length 0
		.amdhsa_user_sgpr_kernarg_preload_offset 0
		.amdhsa_user_sgpr_private_segment_size 0
		.amdhsa_uses_dynamic_stack 0
		.amdhsa_system_sgpr_private_segment_wavefront_offset 0
		.amdhsa_system_sgpr_workgroup_id_x 1
		.amdhsa_system_sgpr_workgroup_id_y 0
		.amdhsa_system_sgpr_workgroup_id_z 0
		.amdhsa_system_sgpr_workgroup_info 0
		.amdhsa_system_vgpr_workitem_id 0
		.amdhsa_next_free_vgpr 1
		.amdhsa_next_free_sgpr 0
		.amdhsa_accum_offset 4
		.amdhsa_reserve_vcc 0
		.amdhsa_reserve_flat_scratch 0
		.amdhsa_float_round_mode_32 0
		.amdhsa_float_round_mode_16_64 0
		.amdhsa_float_denorm_mode_32 3
		.amdhsa_float_denorm_mode_16_64 3
		.amdhsa_dx10_clamp 1
		.amdhsa_ieee_mode 1
		.amdhsa_fp16_overflow 0
		.amdhsa_tg_split 0
		.amdhsa_exception_fp_ieee_invalid_op 0
		.amdhsa_exception_fp_denorm_src 0
		.amdhsa_exception_fp_ieee_div_zero 0
		.amdhsa_exception_fp_ieee_overflow 0
		.amdhsa_exception_fp_ieee_underflow 0
		.amdhsa_exception_fp_ieee_inexact 0
		.amdhsa_exception_int_div_zero 0
	.end_amdhsa_kernel
	.section	.text._ZN7rocprim17ROCPRIM_400000_NS6detail17trampoline_kernelINS0_14default_configENS1_25transform_config_selectorIiLb0EEEZNS1_14transform_implILb0ES3_S5_NS0_18transform_iteratorINS0_17counting_iteratorImlEEZNS1_24adjacent_difference_implIS3_Lb1ELb0EPiN6thrust23THRUST_200600_302600_NS16discard_iteratorINSD_11use_defaultEEENSD_5minusIiEEEE10hipError_tPvRmT2_T3_mT4_P12ihipStream_tbEUlmE_iEESB_NS0_8identityIvEEEESJ_SM_SN_mSO_SQ_bEUlT_E_NS1_11comp_targetILNS1_3genE5ELNS1_11target_archE942ELNS1_3gpuE9ELNS1_3repE0EEENS1_30default_config_static_selectorELNS0_4arch9wavefront6targetE1EEEvT1_,"axG",@progbits,_ZN7rocprim17ROCPRIM_400000_NS6detail17trampoline_kernelINS0_14default_configENS1_25transform_config_selectorIiLb0EEEZNS1_14transform_implILb0ES3_S5_NS0_18transform_iteratorINS0_17counting_iteratorImlEEZNS1_24adjacent_difference_implIS3_Lb1ELb0EPiN6thrust23THRUST_200600_302600_NS16discard_iteratorINSD_11use_defaultEEENSD_5minusIiEEEE10hipError_tPvRmT2_T3_mT4_P12ihipStream_tbEUlmE_iEESB_NS0_8identityIvEEEESJ_SM_SN_mSO_SQ_bEUlT_E_NS1_11comp_targetILNS1_3genE5ELNS1_11target_archE942ELNS1_3gpuE9ELNS1_3repE0EEENS1_30default_config_static_selectorELNS0_4arch9wavefront6targetE1EEEvT1_,comdat
.Lfunc_end735:
	.size	_ZN7rocprim17ROCPRIM_400000_NS6detail17trampoline_kernelINS0_14default_configENS1_25transform_config_selectorIiLb0EEEZNS1_14transform_implILb0ES3_S5_NS0_18transform_iteratorINS0_17counting_iteratorImlEEZNS1_24adjacent_difference_implIS3_Lb1ELb0EPiN6thrust23THRUST_200600_302600_NS16discard_iteratorINSD_11use_defaultEEENSD_5minusIiEEEE10hipError_tPvRmT2_T3_mT4_P12ihipStream_tbEUlmE_iEESB_NS0_8identityIvEEEESJ_SM_SN_mSO_SQ_bEUlT_E_NS1_11comp_targetILNS1_3genE5ELNS1_11target_archE942ELNS1_3gpuE9ELNS1_3repE0EEENS1_30default_config_static_selectorELNS0_4arch9wavefront6targetE1EEEvT1_, .Lfunc_end735-_ZN7rocprim17ROCPRIM_400000_NS6detail17trampoline_kernelINS0_14default_configENS1_25transform_config_selectorIiLb0EEEZNS1_14transform_implILb0ES3_S5_NS0_18transform_iteratorINS0_17counting_iteratorImlEEZNS1_24adjacent_difference_implIS3_Lb1ELb0EPiN6thrust23THRUST_200600_302600_NS16discard_iteratorINSD_11use_defaultEEENSD_5minusIiEEEE10hipError_tPvRmT2_T3_mT4_P12ihipStream_tbEUlmE_iEESB_NS0_8identityIvEEEESJ_SM_SN_mSO_SQ_bEUlT_E_NS1_11comp_targetILNS1_3genE5ELNS1_11target_archE942ELNS1_3gpuE9ELNS1_3repE0EEENS1_30default_config_static_selectorELNS0_4arch9wavefront6targetE1EEEvT1_
                                        ; -- End function
	.section	.AMDGPU.csdata,"",@progbits
; Kernel info:
; codeLenInByte = 0
; NumSgprs: 4
; NumVgprs: 0
; NumAgprs: 0
; TotalNumVgprs: 0
; ScratchSize: 0
; MemoryBound: 0
; FloatMode: 240
; IeeeMode: 1
; LDSByteSize: 0 bytes/workgroup (compile time only)
; SGPRBlocks: 0
; VGPRBlocks: 0
; NumSGPRsForWavesPerEU: 4
; NumVGPRsForWavesPerEU: 1
; AccumOffset: 4
; Occupancy: 8
; WaveLimiterHint : 0
; COMPUTE_PGM_RSRC2:SCRATCH_EN: 0
; COMPUTE_PGM_RSRC2:USER_SGPR: 6
; COMPUTE_PGM_RSRC2:TRAP_HANDLER: 0
; COMPUTE_PGM_RSRC2:TGID_X_EN: 1
; COMPUTE_PGM_RSRC2:TGID_Y_EN: 0
; COMPUTE_PGM_RSRC2:TGID_Z_EN: 0
; COMPUTE_PGM_RSRC2:TIDIG_COMP_CNT: 0
; COMPUTE_PGM_RSRC3_GFX90A:ACCUM_OFFSET: 0
; COMPUTE_PGM_RSRC3_GFX90A:TG_SPLIT: 0
	.section	.text._ZN7rocprim17ROCPRIM_400000_NS6detail17trampoline_kernelINS0_14default_configENS1_25transform_config_selectorIiLb0EEEZNS1_14transform_implILb0ES3_S5_NS0_18transform_iteratorINS0_17counting_iteratorImlEEZNS1_24adjacent_difference_implIS3_Lb1ELb0EPiN6thrust23THRUST_200600_302600_NS16discard_iteratorINSD_11use_defaultEEENSD_5minusIiEEEE10hipError_tPvRmT2_T3_mT4_P12ihipStream_tbEUlmE_iEESB_NS0_8identityIvEEEESJ_SM_SN_mSO_SQ_bEUlT_E_NS1_11comp_targetILNS1_3genE4ELNS1_11target_archE910ELNS1_3gpuE8ELNS1_3repE0EEENS1_30default_config_static_selectorELNS0_4arch9wavefront6targetE1EEEvT1_,"axG",@progbits,_ZN7rocprim17ROCPRIM_400000_NS6detail17trampoline_kernelINS0_14default_configENS1_25transform_config_selectorIiLb0EEEZNS1_14transform_implILb0ES3_S5_NS0_18transform_iteratorINS0_17counting_iteratorImlEEZNS1_24adjacent_difference_implIS3_Lb1ELb0EPiN6thrust23THRUST_200600_302600_NS16discard_iteratorINSD_11use_defaultEEENSD_5minusIiEEEE10hipError_tPvRmT2_T3_mT4_P12ihipStream_tbEUlmE_iEESB_NS0_8identityIvEEEESJ_SM_SN_mSO_SQ_bEUlT_E_NS1_11comp_targetILNS1_3genE4ELNS1_11target_archE910ELNS1_3gpuE8ELNS1_3repE0EEENS1_30default_config_static_selectorELNS0_4arch9wavefront6targetE1EEEvT1_,comdat
	.protected	_ZN7rocprim17ROCPRIM_400000_NS6detail17trampoline_kernelINS0_14default_configENS1_25transform_config_selectorIiLb0EEEZNS1_14transform_implILb0ES3_S5_NS0_18transform_iteratorINS0_17counting_iteratorImlEEZNS1_24adjacent_difference_implIS3_Lb1ELb0EPiN6thrust23THRUST_200600_302600_NS16discard_iteratorINSD_11use_defaultEEENSD_5minusIiEEEE10hipError_tPvRmT2_T3_mT4_P12ihipStream_tbEUlmE_iEESB_NS0_8identityIvEEEESJ_SM_SN_mSO_SQ_bEUlT_E_NS1_11comp_targetILNS1_3genE4ELNS1_11target_archE910ELNS1_3gpuE8ELNS1_3repE0EEENS1_30default_config_static_selectorELNS0_4arch9wavefront6targetE1EEEvT1_ ; -- Begin function _ZN7rocprim17ROCPRIM_400000_NS6detail17trampoline_kernelINS0_14default_configENS1_25transform_config_selectorIiLb0EEEZNS1_14transform_implILb0ES3_S5_NS0_18transform_iteratorINS0_17counting_iteratorImlEEZNS1_24adjacent_difference_implIS3_Lb1ELb0EPiN6thrust23THRUST_200600_302600_NS16discard_iteratorINSD_11use_defaultEEENSD_5minusIiEEEE10hipError_tPvRmT2_T3_mT4_P12ihipStream_tbEUlmE_iEESB_NS0_8identityIvEEEESJ_SM_SN_mSO_SQ_bEUlT_E_NS1_11comp_targetILNS1_3genE4ELNS1_11target_archE910ELNS1_3gpuE8ELNS1_3repE0EEENS1_30default_config_static_selectorELNS0_4arch9wavefront6targetE1EEEvT1_
	.globl	_ZN7rocprim17ROCPRIM_400000_NS6detail17trampoline_kernelINS0_14default_configENS1_25transform_config_selectorIiLb0EEEZNS1_14transform_implILb0ES3_S5_NS0_18transform_iteratorINS0_17counting_iteratorImlEEZNS1_24adjacent_difference_implIS3_Lb1ELb0EPiN6thrust23THRUST_200600_302600_NS16discard_iteratorINSD_11use_defaultEEENSD_5minusIiEEEE10hipError_tPvRmT2_T3_mT4_P12ihipStream_tbEUlmE_iEESB_NS0_8identityIvEEEESJ_SM_SN_mSO_SQ_bEUlT_E_NS1_11comp_targetILNS1_3genE4ELNS1_11target_archE910ELNS1_3gpuE8ELNS1_3repE0EEENS1_30default_config_static_selectorELNS0_4arch9wavefront6targetE1EEEvT1_
	.p2align	8
	.type	_ZN7rocprim17ROCPRIM_400000_NS6detail17trampoline_kernelINS0_14default_configENS1_25transform_config_selectorIiLb0EEEZNS1_14transform_implILb0ES3_S5_NS0_18transform_iteratorINS0_17counting_iteratorImlEEZNS1_24adjacent_difference_implIS3_Lb1ELb0EPiN6thrust23THRUST_200600_302600_NS16discard_iteratorINSD_11use_defaultEEENSD_5minusIiEEEE10hipError_tPvRmT2_T3_mT4_P12ihipStream_tbEUlmE_iEESB_NS0_8identityIvEEEESJ_SM_SN_mSO_SQ_bEUlT_E_NS1_11comp_targetILNS1_3genE4ELNS1_11target_archE910ELNS1_3gpuE8ELNS1_3repE0EEENS1_30default_config_static_selectorELNS0_4arch9wavefront6targetE1EEEvT1_,@function
_ZN7rocprim17ROCPRIM_400000_NS6detail17trampoline_kernelINS0_14default_configENS1_25transform_config_selectorIiLb0EEEZNS1_14transform_implILb0ES3_S5_NS0_18transform_iteratorINS0_17counting_iteratorImlEEZNS1_24adjacent_difference_implIS3_Lb1ELb0EPiN6thrust23THRUST_200600_302600_NS16discard_iteratorINSD_11use_defaultEEENSD_5minusIiEEEE10hipError_tPvRmT2_T3_mT4_P12ihipStream_tbEUlmE_iEESB_NS0_8identityIvEEEESJ_SM_SN_mSO_SQ_bEUlT_E_NS1_11comp_targetILNS1_3genE4ELNS1_11target_archE910ELNS1_3gpuE8ELNS1_3repE0EEENS1_30default_config_static_selectorELNS0_4arch9wavefront6targetE1EEEvT1_: ; @_ZN7rocprim17ROCPRIM_400000_NS6detail17trampoline_kernelINS0_14default_configENS1_25transform_config_selectorIiLb0EEEZNS1_14transform_implILb0ES3_S5_NS0_18transform_iteratorINS0_17counting_iteratorImlEEZNS1_24adjacent_difference_implIS3_Lb1ELb0EPiN6thrust23THRUST_200600_302600_NS16discard_iteratorINSD_11use_defaultEEENSD_5minusIiEEEE10hipError_tPvRmT2_T3_mT4_P12ihipStream_tbEUlmE_iEESB_NS0_8identityIvEEEESJ_SM_SN_mSO_SQ_bEUlT_E_NS1_11comp_targetILNS1_3genE4ELNS1_11target_archE910ELNS1_3gpuE8ELNS1_3repE0EEENS1_30default_config_static_selectorELNS0_4arch9wavefront6targetE1EEEvT1_
; %bb.0:
	s_load_dwordx4 s[0:3], s[4:5], 0x18
	s_load_dwordx2 s[14:15], s[4:5], 0x28
	s_load_dwordx4 s[8:11], s[4:5], 0x0
	s_load_dword s12, s[4:5], 0x10
	s_waitcnt lgkmcnt(0)
	s_load_dword s3, s[4:5], 0x38
                                        ; kill: killed $sgpr4_sgpr5
	s_lshl_b64 s[4:5], s[0:1], 2
	s_add_u32 s14, s14, s4
	s_addc_u32 s15, s15, s5
	s_lshl_b32 s4, s6, 11
	s_waitcnt lgkmcnt(0)
	s_add_i32 s3, s3, -1
	s_add_u32 s7, s8, s4
	s_addc_u32 s8, s9, 0
	s_add_u32 s16, s7, s0
	s_addc_u32 s17, s8, s1
	s_mov_b32 s5, 0
	s_cmp_lg_u32 s6, s3
	v_lshlrev_b32_e32 v1, 2, v0
	s_cbranch_scc0 .LBB736_2
; %bb.1:
	v_mov_b32_e32 v2, s17
	v_add_co_u32_e32 v3, vcc, s16, v0
	v_addc_co_u32_e32 v5, vcc, 0, v2, vcc
	v_mad_u64_u32 v[2:3], s[0:1], v3, s12, 0
	v_mov_b32_e32 v4, v3
	v_mad_u64_u32 v[4:5], s[0:1], v5, s12, v[4:5]
	v_mov_b32_e32 v3, v4
	v_lshlrev_b64 v[2:3], 2, v[2:3]
	s_mov_b32 s13, s5
	v_mov_b32_e32 v4, s11
	v_add_co_u32_e32 v2, vcc, s10, v2
	v_addc_co_u32_e32 v3, vcc, v4, v3, vcc
	s_lshl_b64 s[0:1], s[12:13], 12
	global_load_dword v6, v[2:3], off
	v_mov_b32_e32 v4, s1
	v_add_co_u32_e32 v2, vcc, s0, v2
	v_addc_co_u32_e32 v3, vcc, v3, v4, vcc
	global_load_dword v3, v[2:3], off
	s_lshl_b64 s[6:7], s[4:5], 2
	s_add_u32 s6, s14, s6
	s_addc_u32 s7, s15, s7
	v_mov_b32_e32 v2, s7
	v_add_co_u32_e32 v4, vcc, s6, v1
	v_addc_co_u32_e32 v5, vcc, 0, v2, vcc
	s_waitcnt vmcnt(1)
	global_store_dword v1, v6, s[6:7]
	s_mov_b64 s[6:7], -1
	s_cbranch_execz .LBB736_3
	s_branch .LBB736_12
.LBB736_2:
	s_mov_b64 s[6:7], 0
                                        ; implicit-def: $vgpr3
                                        ; implicit-def: $vgpr4_vgpr5
.LBB736_3:
	s_sub_i32 s8, s2, s4
	v_cmp_gt_u32_e32 vcc, s8, v0
                                        ; implicit-def: $vgpr2_vgpr3
	s_and_saveexec_b64 s[2:3], vcc
	s_cbranch_execz .LBB736_5
; %bb.4:
	v_mov_b32_e32 v2, s17
	s_waitcnt vmcnt(1)
	v_add_co_u32_e64 v3, s[0:1], s16, v0
	v_addc_co_u32_e64 v5, s[0:1], 0, v2, s[0:1]
	v_mad_u64_u32 v[2:3], s[0:1], v3, s12, 0
	v_mov_b32_e32 v4, v3
	v_mad_u64_u32 v[4:5], s[0:1], v5, s12, v[4:5]
	v_mov_b32_e32 v3, v4
	v_lshlrev_b64 v[2:3], 2, v[2:3]
	v_mov_b32_e32 v4, s11
	v_add_co_u32_e64 v2, s[0:1], s10, v2
	v_addc_co_u32_e64 v3, s[0:1], v4, v3, s[0:1]
	global_load_dword v2, v[2:3], off
.LBB736_5:
	s_or_b64 exec, exec, s[2:3]
	v_or_b32_e32 v0, 0x400, v0
	v_cmp_gt_u32_e64 s[0:1], s8, v0
	s_and_saveexec_b64 s[8:9], s[0:1]
	s_cbranch_execz .LBB736_7
; %bb.6:
	s_waitcnt vmcnt(1)
	v_mov_b32_e32 v3, s17
	v_add_co_u32_e64 v0, s[2:3], s16, v0
	v_addc_co_u32_e64 v3, s[2:3], 0, v3, s[2:3]
	v_mad_u64_u32 v[4:5], s[2:3], v0, s12, 0
	v_mov_b32_e32 v0, v5
	v_mad_u64_u32 v[6:7], s[2:3], v3, s12, v[0:1]
	v_mov_b32_e32 v5, v6
	v_lshlrev_b64 v[4:5], 2, v[4:5]
	v_mov_b32_e32 v0, s11
	v_add_co_u32_e64 v4, s[2:3], s10, v4
	v_addc_co_u32_e64 v5, s[2:3], v0, v5, s[2:3]
	global_load_dword v3, v[4:5], off
.LBB736_7:
	s_or_b64 exec, exec, s[8:9]
	s_lshl_b64 s[2:3], s[4:5], 2
	s_add_u32 s2, s14, s2
	s_addc_u32 s3, s15, s3
	v_mov_b32_e32 v0, s3
	v_add_co_u32_e64 v4, s[2:3], s2, v1
	v_addc_co_u32_e64 v5, s[2:3], 0, v0, s[2:3]
	s_and_saveexec_b64 s[2:3], vcc
	s_cbranch_execz .LBB736_9
; %bb.8:
	s_waitcnt vmcnt(0)
	global_store_dword v[4:5], v2, off
.LBB736_9:
	s_or_b64 exec, exec, s[2:3]
	s_and_saveexec_b64 s[2:3], s[0:1]
; %bb.10:
	s_or_b64 s[6:7], s[6:7], exec
; %bb.11:
	s_or_b64 exec, exec, s[2:3]
.LBB736_12:
	s_and_saveexec_b64 s[0:1], s[6:7]
	s_cbranch_execnz .LBB736_14
; %bb.13:
	s_endpgm
.LBB736_14:
	v_add_co_u32_e32 v0, vcc, 0x1000, v4
	v_addc_co_u32_e32 v1, vcc, 0, v5, vcc
	s_waitcnt vmcnt(0)
	global_store_dword v[0:1], v3, off
	s_endpgm
	.section	.rodata,"a",@progbits
	.p2align	6, 0x0
	.amdhsa_kernel _ZN7rocprim17ROCPRIM_400000_NS6detail17trampoline_kernelINS0_14default_configENS1_25transform_config_selectorIiLb0EEEZNS1_14transform_implILb0ES3_S5_NS0_18transform_iteratorINS0_17counting_iteratorImlEEZNS1_24adjacent_difference_implIS3_Lb1ELb0EPiN6thrust23THRUST_200600_302600_NS16discard_iteratorINSD_11use_defaultEEENSD_5minusIiEEEE10hipError_tPvRmT2_T3_mT4_P12ihipStream_tbEUlmE_iEESB_NS0_8identityIvEEEESJ_SM_SN_mSO_SQ_bEUlT_E_NS1_11comp_targetILNS1_3genE4ELNS1_11target_archE910ELNS1_3gpuE8ELNS1_3repE0EEENS1_30default_config_static_selectorELNS0_4arch9wavefront6targetE1EEEvT1_
		.amdhsa_group_segment_fixed_size 0
		.amdhsa_private_segment_fixed_size 0
		.amdhsa_kernarg_size 312
		.amdhsa_user_sgpr_count 6
		.amdhsa_user_sgpr_private_segment_buffer 1
		.amdhsa_user_sgpr_dispatch_ptr 0
		.amdhsa_user_sgpr_queue_ptr 0
		.amdhsa_user_sgpr_kernarg_segment_ptr 1
		.amdhsa_user_sgpr_dispatch_id 0
		.amdhsa_user_sgpr_flat_scratch_init 0
		.amdhsa_user_sgpr_kernarg_preload_length 0
		.amdhsa_user_sgpr_kernarg_preload_offset 0
		.amdhsa_user_sgpr_private_segment_size 0
		.amdhsa_uses_dynamic_stack 0
		.amdhsa_system_sgpr_private_segment_wavefront_offset 0
		.amdhsa_system_sgpr_workgroup_id_x 1
		.amdhsa_system_sgpr_workgroup_id_y 0
		.amdhsa_system_sgpr_workgroup_id_z 0
		.amdhsa_system_sgpr_workgroup_info 0
		.amdhsa_system_vgpr_workitem_id 0
		.amdhsa_next_free_vgpr 8
		.amdhsa_next_free_sgpr 18
		.amdhsa_accum_offset 8
		.amdhsa_reserve_vcc 1
		.amdhsa_reserve_flat_scratch 0
		.amdhsa_float_round_mode_32 0
		.amdhsa_float_round_mode_16_64 0
		.amdhsa_float_denorm_mode_32 3
		.amdhsa_float_denorm_mode_16_64 3
		.amdhsa_dx10_clamp 1
		.amdhsa_ieee_mode 1
		.amdhsa_fp16_overflow 0
		.amdhsa_tg_split 0
		.amdhsa_exception_fp_ieee_invalid_op 0
		.amdhsa_exception_fp_denorm_src 0
		.amdhsa_exception_fp_ieee_div_zero 0
		.amdhsa_exception_fp_ieee_overflow 0
		.amdhsa_exception_fp_ieee_underflow 0
		.amdhsa_exception_fp_ieee_inexact 0
		.amdhsa_exception_int_div_zero 0
	.end_amdhsa_kernel
	.section	.text._ZN7rocprim17ROCPRIM_400000_NS6detail17trampoline_kernelINS0_14default_configENS1_25transform_config_selectorIiLb0EEEZNS1_14transform_implILb0ES3_S5_NS0_18transform_iteratorINS0_17counting_iteratorImlEEZNS1_24adjacent_difference_implIS3_Lb1ELb0EPiN6thrust23THRUST_200600_302600_NS16discard_iteratorINSD_11use_defaultEEENSD_5minusIiEEEE10hipError_tPvRmT2_T3_mT4_P12ihipStream_tbEUlmE_iEESB_NS0_8identityIvEEEESJ_SM_SN_mSO_SQ_bEUlT_E_NS1_11comp_targetILNS1_3genE4ELNS1_11target_archE910ELNS1_3gpuE8ELNS1_3repE0EEENS1_30default_config_static_selectorELNS0_4arch9wavefront6targetE1EEEvT1_,"axG",@progbits,_ZN7rocprim17ROCPRIM_400000_NS6detail17trampoline_kernelINS0_14default_configENS1_25transform_config_selectorIiLb0EEEZNS1_14transform_implILb0ES3_S5_NS0_18transform_iteratorINS0_17counting_iteratorImlEEZNS1_24adjacent_difference_implIS3_Lb1ELb0EPiN6thrust23THRUST_200600_302600_NS16discard_iteratorINSD_11use_defaultEEENSD_5minusIiEEEE10hipError_tPvRmT2_T3_mT4_P12ihipStream_tbEUlmE_iEESB_NS0_8identityIvEEEESJ_SM_SN_mSO_SQ_bEUlT_E_NS1_11comp_targetILNS1_3genE4ELNS1_11target_archE910ELNS1_3gpuE8ELNS1_3repE0EEENS1_30default_config_static_selectorELNS0_4arch9wavefront6targetE1EEEvT1_,comdat
.Lfunc_end736:
	.size	_ZN7rocprim17ROCPRIM_400000_NS6detail17trampoline_kernelINS0_14default_configENS1_25transform_config_selectorIiLb0EEEZNS1_14transform_implILb0ES3_S5_NS0_18transform_iteratorINS0_17counting_iteratorImlEEZNS1_24adjacent_difference_implIS3_Lb1ELb0EPiN6thrust23THRUST_200600_302600_NS16discard_iteratorINSD_11use_defaultEEENSD_5minusIiEEEE10hipError_tPvRmT2_T3_mT4_P12ihipStream_tbEUlmE_iEESB_NS0_8identityIvEEEESJ_SM_SN_mSO_SQ_bEUlT_E_NS1_11comp_targetILNS1_3genE4ELNS1_11target_archE910ELNS1_3gpuE8ELNS1_3repE0EEENS1_30default_config_static_selectorELNS0_4arch9wavefront6targetE1EEEvT1_, .Lfunc_end736-_ZN7rocprim17ROCPRIM_400000_NS6detail17trampoline_kernelINS0_14default_configENS1_25transform_config_selectorIiLb0EEEZNS1_14transform_implILb0ES3_S5_NS0_18transform_iteratorINS0_17counting_iteratorImlEEZNS1_24adjacent_difference_implIS3_Lb1ELb0EPiN6thrust23THRUST_200600_302600_NS16discard_iteratorINSD_11use_defaultEEENSD_5minusIiEEEE10hipError_tPvRmT2_T3_mT4_P12ihipStream_tbEUlmE_iEESB_NS0_8identityIvEEEESJ_SM_SN_mSO_SQ_bEUlT_E_NS1_11comp_targetILNS1_3genE4ELNS1_11target_archE910ELNS1_3gpuE8ELNS1_3repE0EEENS1_30default_config_static_selectorELNS0_4arch9wavefront6targetE1EEEvT1_
                                        ; -- End function
	.section	.AMDGPU.csdata,"",@progbits
; Kernel info:
; codeLenInByte = 568
; NumSgprs: 22
; NumVgprs: 8
; NumAgprs: 0
; TotalNumVgprs: 8
; ScratchSize: 0
; MemoryBound: 0
; FloatMode: 240
; IeeeMode: 1
; LDSByteSize: 0 bytes/workgroup (compile time only)
; SGPRBlocks: 2
; VGPRBlocks: 0
; NumSGPRsForWavesPerEU: 22
; NumVGPRsForWavesPerEU: 8
; AccumOffset: 8
; Occupancy: 8
; WaveLimiterHint : 0
; COMPUTE_PGM_RSRC2:SCRATCH_EN: 0
; COMPUTE_PGM_RSRC2:USER_SGPR: 6
; COMPUTE_PGM_RSRC2:TRAP_HANDLER: 0
; COMPUTE_PGM_RSRC2:TGID_X_EN: 1
; COMPUTE_PGM_RSRC2:TGID_Y_EN: 0
; COMPUTE_PGM_RSRC2:TGID_Z_EN: 0
; COMPUTE_PGM_RSRC2:TIDIG_COMP_CNT: 0
; COMPUTE_PGM_RSRC3_GFX90A:ACCUM_OFFSET: 1
; COMPUTE_PGM_RSRC3_GFX90A:TG_SPLIT: 0
	.section	.text._ZN7rocprim17ROCPRIM_400000_NS6detail17trampoline_kernelINS0_14default_configENS1_25transform_config_selectorIiLb0EEEZNS1_14transform_implILb0ES3_S5_NS0_18transform_iteratorINS0_17counting_iteratorImlEEZNS1_24adjacent_difference_implIS3_Lb1ELb0EPiN6thrust23THRUST_200600_302600_NS16discard_iteratorINSD_11use_defaultEEENSD_5minusIiEEEE10hipError_tPvRmT2_T3_mT4_P12ihipStream_tbEUlmE_iEESB_NS0_8identityIvEEEESJ_SM_SN_mSO_SQ_bEUlT_E_NS1_11comp_targetILNS1_3genE3ELNS1_11target_archE908ELNS1_3gpuE7ELNS1_3repE0EEENS1_30default_config_static_selectorELNS0_4arch9wavefront6targetE1EEEvT1_,"axG",@progbits,_ZN7rocprim17ROCPRIM_400000_NS6detail17trampoline_kernelINS0_14default_configENS1_25transform_config_selectorIiLb0EEEZNS1_14transform_implILb0ES3_S5_NS0_18transform_iteratorINS0_17counting_iteratorImlEEZNS1_24adjacent_difference_implIS3_Lb1ELb0EPiN6thrust23THRUST_200600_302600_NS16discard_iteratorINSD_11use_defaultEEENSD_5minusIiEEEE10hipError_tPvRmT2_T3_mT4_P12ihipStream_tbEUlmE_iEESB_NS0_8identityIvEEEESJ_SM_SN_mSO_SQ_bEUlT_E_NS1_11comp_targetILNS1_3genE3ELNS1_11target_archE908ELNS1_3gpuE7ELNS1_3repE0EEENS1_30default_config_static_selectorELNS0_4arch9wavefront6targetE1EEEvT1_,comdat
	.protected	_ZN7rocprim17ROCPRIM_400000_NS6detail17trampoline_kernelINS0_14default_configENS1_25transform_config_selectorIiLb0EEEZNS1_14transform_implILb0ES3_S5_NS0_18transform_iteratorINS0_17counting_iteratorImlEEZNS1_24adjacent_difference_implIS3_Lb1ELb0EPiN6thrust23THRUST_200600_302600_NS16discard_iteratorINSD_11use_defaultEEENSD_5minusIiEEEE10hipError_tPvRmT2_T3_mT4_P12ihipStream_tbEUlmE_iEESB_NS0_8identityIvEEEESJ_SM_SN_mSO_SQ_bEUlT_E_NS1_11comp_targetILNS1_3genE3ELNS1_11target_archE908ELNS1_3gpuE7ELNS1_3repE0EEENS1_30default_config_static_selectorELNS0_4arch9wavefront6targetE1EEEvT1_ ; -- Begin function _ZN7rocprim17ROCPRIM_400000_NS6detail17trampoline_kernelINS0_14default_configENS1_25transform_config_selectorIiLb0EEEZNS1_14transform_implILb0ES3_S5_NS0_18transform_iteratorINS0_17counting_iteratorImlEEZNS1_24adjacent_difference_implIS3_Lb1ELb0EPiN6thrust23THRUST_200600_302600_NS16discard_iteratorINSD_11use_defaultEEENSD_5minusIiEEEE10hipError_tPvRmT2_T3_mT4_P12ihipStream_tbEUlmE_iEESB_NS0_8identityIvEEEESJ_SM_SN_mSO_SQ_bEUlT_E_NS1_11comp_targetILNS1_3genE3ELNS1_11target_archE908ELNS1_3gpuE7ELNS1_3repE0EEENS1_30default_config_static_selectorELNS0_4arch9wavefront6targetE1EEEvT1_
	.globl	_ZN7rocprim17ROCPRIM_400000_NS6detail17trampoline_kernelINS0_14default_configENS1_25transform_config_selectorIiLb0EEEZNS1_14transform_implILb0ES3_S5_NS0_18transform_iteratorINS0_17counting_iteratorImlEEZNS1_24adjacent_difference_implIS3_Lb1ELb0EPiN6thrust23THRUST_200600_302600_NS16discard_iteratorINSD_11use_defaultEEENSD_5minusIiEEEE10hipError_tPvRmT2_T3_mT4_P12ihipStream_tbEUlmE_iEESB_NS0_8identityIvEEEESJ_SM_SN_mSO_SQ_bEUlT_E_NS1_11comp_targetILNS1_3genE3ELNS1_11target_archE908ELNS1_3gpuE7ELNS1_3repE0EEENS1_30default_config_static_selectorELNS0_4arch9wavefront6targetE1EEEvT1_
	.p2align	8
	.type	_ZN7rocprim17ROCPRIM_400000_NS6detail17trampoline_kernelINS0_14default_configENS1_25transform_config_selectorIiLb0EEEZNS1_14transform_implILb0ES3_S5_NS0_18transform_iteratorINS0_17counting_iteratorImlEEZNS1_24adjacent_difference_implIS3_Lb1ELb0EPiN6thrust23THRUST_200600_302600_NS16discard_iteratorINSD_11use_defaultEEENSD_5minusIiEEEE10hipError_tPvRmT2_T3_mT4_P12ihipStream_tbEUlmE_iEESB_NS0_8identityIvEEEESJ_SM_SN_mSO_SQ_bEUlT_E_NS1_11comp_targetILNS1_3genE3ELNS1_11target_archE908ELNS1_3gpuE7ELNS1_3repE0EEENS1_30default_config_static_selectorELNS0_4arch9wavefront6targetE1EEEvT1_,@function
_ZN7rocprim17ROCPRIM_400000_NS6detail17trampoline_kernelINS0_14default_configENS1_25transform_config_selectorIiLb0EEEZNS1_14transform_implILb0ES3_S5_NS0_18transform_iteratorINS0_17counting_iteratorImlEEZNS1_24adjacent_difference_implIS3_Lb1ELb0EPiN6thrust23THRUST_200600_302600_NS16discard_iteratorINSD_11use_defaultEEENSD_5minusIiEEEE10hipError_tPvRmT2_T3_mT4_P12ihipStream_tbEUlmE_iEESB_NS0_8identityIvEEEESJ_SM_SN_mSO_SQ_bEUlT_E_NS1_11comp_targetILNS1_3genE3ELNS1_11target_archE908ELNS1_3gpuE7ELNS1_3repE0EEENS1_30default_config_static_selectorELNS0_4arch9wavefront6targetE1EEEvT1_: ; @_ZN7rocprim17ROCPRIM_400000_NS6detail17trampoline_kernelINS0_14default_configENS1_25transform_config_selectorIiLb0EEEZNS1_14transform_implILb0ES3_S5_NS0_18transform_iteratorINS0_17counting_iteratorImlEEZNS1_24adjacent_difference_implIS3_Lb1ELb0EPiN6thrust23THRUST_200600_302600_NS16discard_iteratorINSD_11use_defaultEEENSD_5minusIiEEEE10hipError_tPvRmT2_T3_mT4_P12ihipStream_tbEUlmE_iEESB_NS0_8identityIvEEEESJ_SM_SN_mSO_SQ_bEUlT_E_NS1_11comp_targetILNS1_3genE3ELNS1_11target_archE908ELNS1_3gpuE7ELNS1_3repE0EEENS1_30default_config_static_selectorELNS0_4arch9wavefront6targetE1EEEvT1_
; %bb.0:
	.section	.rodata,"a",@progbits
	.p2align	6, 0x0
	.amdhsa_kernel _ZN7rocprim17ROCPRIM_400000_NS6detail17trampoline_kernelINS0_14default_configENS1_25transform_config_selectorIiLb0EEEZNS1_14transform_implILb0ES3_S5_NS0_18transform_iteratorINS0_17counting_iteratorImlEEZNS1_24adjacent_difference_implIS3_Lb1ELb0EPiN6thrust23THRUST_200600_302600_NS16discard_iteratorINSD_11use_defaultEEENSD_5minusIiEEEE10hipError_tPvRmT2_T3_mT4_P12ihipStream_tbEUlmE_iEESB_NS0_8identityIvEEEESJ_SM_SN_mSO_SQ_bEUlT_E_NS1_11comp_targetILNS1_3genE3ELNS1_11target_archE908ELNS1_3gpuE7ELNS1_3repE0EEENS1_30default_config_static_selectorELNS0_4arch9wavefront6targetE1EEEvT1_
		.amdhsa_group_segment_fixed_size 0
		.amdhsa_private_segment_fixed_size 0
		.amdhsa_kernarg_size 56
		.amdhsa_user_sgpr_count 6
		.amdhsa_user_sgpr_private_segment_buffer 1
		.amdhsa_user_sgpr_dispatch_ptr 0
		.amdhsa_user_sgpr_queue_ptr 0
		.amdhsa_user_sgpr_kernarg_segment_ptr 1
		.amdhsa_user_sgpr_dispatch_id 0
		.amdhsa_user_sgpr_flat_scratch_init 0
		.amdhsa_user_sgpr_kernarg_preload_length 0
		.amdhsa_user_sgpr_kernarg_preload_offset 0
		.amdhsa_user_sgpr_private_segment_size 0
		.amdhsa_uses_dynamic_stack 0
		.amdhsa_system_sgpr_private_segment_wavefront_offset 0
		.amdhsa_system_sgpr_workgroup_id_x 1
		.amdhsa_system_sgpr_workgroup_id_y 0
		.amdhsa_system_sgpr_workgroup_id_z 0
		.amdhsa_system_sgpr_workgroup_info 0
		.amdhsa_system_vgpr_workitem_id 0
		.amdhsa_next_free_vgpr 1
		.amdhsa_next_free_sgpr 0
		.amdhsa_accum_offset 4
		.amdhsa_reserve_vcc 0
		.amdhsa_reserve_flat_scratch 0
		.amdhsa_float_round_mode_32 0
		.amdhsa_float_round_mode_16_64 0
		.amdhsa_float_denorm_mode_32 3
		.amdhsa_float_denorm_mode_16_64 3
		.amdhsa_dx10_clamp 1
		.amdhsa_ieee_mode 1
		.amdhsa_fp16_overflow 0
		.amdhsa_tg_split 0
		.amdhsa_exception_fp_ieee_invalid_op 0
		.amdhsa_exception_fp_denorm_src 0
		.amdhsa_exception_fp_ieee_div_zero 0
		.amdhsa_exception_fp_ieee_overflow 0
		.amdhsa_exception_fp_ieee_underflow 0
		.amdhsa_exception_fp_ieee_inexact 0
		.amdhsa_exception_int_div_zero 0
	.end_amdhsa_kernel
	.section	.text._ZN7rocprim17ROCPRIM_400000_NS6detail17trampoline_kernelINS0_14default_configENS1_25transform_config_selectorIiLb0EEEZNS1_14transform_implILb0ES3_S5_NS0_18transform_iteratorINS0_17counting_iteratorImlEEZNS1_24adjacent_difference_implIS3_Lb1ELb0EPiN6thrust23THRUST_200600_302600_NS16discard_iteratorINSD_11use_defaultEEENSD_5minusIiEEEE10hipError_tPvRmT2_T3_mT4_P12ihipStream_tbEUlmE_iEESB_NS0_8identityIvEEEESJ_SM_SN_mSO_SQ_bEUlT_E_NS1_11comp_targetILNS1_3genE3ELNS1_11target_archE908ELNS1_3gpuE7ELNS1_3repE0EEENS1_30default_config_static_selectorELNS0_4arch9wavefront6targetE1EEEvT1_,"axG",@progbits,_ZN7rocprim17ROCPRIM_400000_NS6detail17trampoline_kernelINS0_14default_configENS1_25transform_config_selectorIiLb0EEEZNS1_14transform_implILb0ES3_S5_NS0_18transform_iteratorINS0_17counting_iteratorImlEEZNS1_24adjacent_difference_implIS3_Lb1ELb0EPiN6thrust23THRUST_200600_302600_NS16discard_iteratorINSD_11use_defaultEEENSD_5minusIiEEEE10hipError_tPvRmT2_T3_mT4_P12ihipStream_tbEUlmE_iEESB_NS0_8identityIvEEEESJ_SM_SN_mSO_SQ_bEUlT_E_NS1_11comp_targetILNS1_3genE3ELNS1_11target_archE908ELNS1_3gpuE7ELNS1_3repE0EEENS1_30default_config_static_selectorELNS0_4arch9wavefront6targetE1EEEvT1_,comdat
.Lfunc_end737:
	.size	_ZN7rocprim17ROCPRIM_400000_NS6detail17trampoline_kernelINS0_14default_configENS1_25transform_config_selectorIiLb0EEEZNS1_14transform_implILb0ES3_S5_NS0_18transform_iteratorINS0_17counting_iteratorImlEEZNS1_24adjacent_difference_implIS3_Lb1ELb0EPiN6thrust23THRUST_200600_302600_NS16discard_iteratorINSD_11use_defaultEEENSD_5minusIiEEEE10hipError_tPvRmT2_T3_mT4_P12ihipStream_tbEUlmE_iEESB_NS0_8identityIvEEEESJ_SM_SN_mSO_SQ_bEUlT_E_NS1_11comp_targetILNS1_3genE3ELNS1_11target_archE908ELNS1_3gpuE7ELNS1_3repE0EEENS1_30default_config_static_selectorELNS0_4arch9wavefront6targetE1EEEvT1_, .Lfunc_end737-_ZN7rocprim17ROCPRIM_400000_NS6detail17trampoline_kernelINS0_14default_configENS1_25transform_config_selectorIiLb0EEEZNS1_14transform_implILb0ES3_S5_NS0_18transform_iteratorINS0_17counting_iteratorImlEEZNS1_24adjacent_difference_implIS3_Lb1ELb0EPiN6thrust23THRUST_200600_302600_NS16discard_iteratorINSD_11use_defaultEEENSD_5minusIiEEEE10hipError_tPvRmT2_T3_mT4_P12ihipStream_tbEUlmE_iEESB_NS0_8identityIvEEEESJ_SM_SN_mSO_SQ_bEUlT_E_NS1_11comp_targetILNS1_3genE3ELNS1_11target_archE908ELNS1_3gpuE7ELNS1_3repE0EEENS1_30default_config_static_selectorELNS0_4arch9wavefront6targetE1EEEvT1_
                                        ; -- End function
	.section	.AMDGPU.csdata,"",@progbits
; Kernel info:
; codeLenInByte = 0
; NumSgprs: 4
; NumVgprs: 0
; NumAgprs: 0
; TotalNumVgprs: 0
; ScratchSize: 0
; MemoryBound: 0
; FloatMode: 240
; IeeeMode: 1
; LDSByteSize: 0 bytes/workgroup (compile time only)
; SGPRBlocks: 0
; VGPRBlocks: 0
; NumSGPRsForWavesPerEU: 4
; NumVGPRsForWavesPerEU: 1
; AccumOffset: 4
; Occupancy: 8
; WaveLimiterHint : 0
; COMPUTE_PGM_RSRC2:SCRATCH_EN: 0
; COMPUTE_PGM_RSRC2:USER_SGPR: 6
; COMPUTE_PGM_RSRC2:TRAP_HANDLER: 0
; COMPUTE_PGM_RSRC2:TGID_X_EN: 1
; COMPUTE_PGM_RSRC2:TGID_Y_EN: 0
; COMPUTE_PGM_RSRC2:TGID_Z_EN: 0
; COMPUTE_PGM_RSRC2:TIDIG_COMP_CNT: 0
; COMPUTE_PGM_RSRC3_GFX90A:ACCUM_OFFSET: 0
; COMPUTE_PGM_RSRC3_GFX90A:TG_SPLIT: 0
	.section	.text._ZN7rocprim17ROCPRIM_400000_NS6detail17trampoline_kernelINS0_14default_configENS1_25transform_config_selectorIiLb0EEEZNS1_14transform_implILb0ES3_S5_NS0_18transform_iteratorINS0_17counting_iteratorImlEEZNS1_24adjacent_difference_implIS3_Lb1ELb0EPiN6thrust23THRUST_200600_302600_NS16discard_iteratorINSD_11use_defaultEEENSD_5minusIiEEEE10hipError_tPvRmT2_T3_mT4_P12ihipStream_tbEUlmE_iEESB_NS0_8identityIvEEEESJ_SM_SN_mSO_SQ_bEUlT_E_NS1_11comp_targetILNS1_3genE2ELNS1_11target_archE906ELNS1_3gpuE6ELNS1_3repE0EEENS1_30default_config_static_selectorELNS0_4arch9wavefront6targetE1EEEvT1_,"axG",@progbits,_ZN7rocprim17ROCPRIM_400000_NS6detail17trampoline_kernelINS0_14default_configENS1_25transform_config_selectorIiLb0EEEZNS1_14transform_implILb0ES3_S5_NS0_18transform_iteratorINS0_17counting_iteratorImlEEZNS1_24adjacent_difference_implIS3_Lb1ELb0EPiN6thrust23THRUST_200600_302600_NS16discard_iteratorINSD_11use_defaultEEENSD_5minusIiEEEE10hipError_tPvRmT2_T3_mT4_P12ihipStream_tbEUlmE_iEESB_NS0_8identityIvEEEESJ_SM_SN_mSO_SQ_bEUlT_E_NS1_11comp_targetILNS1_3genE2ELNS1_11target_archE906ELNS1_3gpuE6ELNS1_3repE0EEENS1_30default_config_static_selectorELNS0_4arch9wavefront6targetE1EEEvT1_,comdat
	.protected	_ZN7rocprim17ROCPRIM_400000_NS6detail17trampoline_kernelINS0_14default_configENS1_25transform_config_selectorIiLb0EEEZNS1_14transform_implILb0ES3_S5_NS0_18transform_iteratorINS0_17counting_iteratorImlEEZNS1_24adjacent_difference_implIS3_Lb1ELb0EPiN6thrust23THRUST_200600_302600_NS16discard_iteratorINSD_11use_defaultEEENSD_5minusIiEEEE10hipError_tPvRmT2_T3_mT4_P12ihipStream_tbEUlmE_iEESB_NS0_8identityIvEEEESJ_SM_SN_mSO_SQ_bEUlT_E_NS1_11comp_targetILNS1_3genE2ELNS1_11target_archE906ELNS1_3gpuE6ELNS1_3repE0EEENS1_30default_config_static_selectorELNS0_4arch9wavefront6targetE1EEEvT1_ ; -- Begin function _ZN7rocprim17ROCPRIM_400000_NS6detail17trampoline_kernelINS0_14default_configENS1_25transform_config_selectorIiLb0EEEZNS1_14transform_implILb0ES3_S5_NS0_18transform_iteratorINS0_17counting_iteratorImlEEZNS1_24adjacent_difference_implIS3_Lb1ELb0EPiN6thrust23THRUST_200600_302600_NS16discard_iteratorINSD_11use_defaultEEENSD_5minusIiEEEE10hipError_tPvRmT2_T3_mT4_P12ihipStream_tbEUlmE_iEESB_NS0_8identityIvEEEESJ_SM_SN_mSO_SQ_bEUlT_E_NS1_11comp_targetILNS1_3genE2ELNS1_11target_archE906ELNS1_3gpuE6ELNS1_3repE0EEENS1_30default_config_static_selectorELNS0_4arch9wavefront6targetE1EEEvT1_
	.globl	_ZN7rocprim17ROCPRIM_400000_NS6detail17trampoline_kernelINS0_14default_configENS1_25transform_config_selectorIiLb0EEEZNS1_14transform_implILb0ES3_S5_NS0_18transform_iteratorINS0_17counting_iteratorImlEEZNS1_24adjacent_difference_implIS3_Lb1ELb0EPiN6thrust23THRUST_200600_302600_NS16discard_iteratorINSD_11use_defaultEEENSD_5minusIiEEEE10hipError_tPvRmT2_T3_mT4_P12ihipStream_tbEUlmE_iEESB_NS0_8identityIvEEEESJ_SM_SN_mSO_SQ_bEUlT_E_NS1_11comp_targetILNS1_3genE2ELNS1_11target_archE906ELNS1_3gpuE6ELNS1_3repE0EEENS1_30default_config_static_selectorELNS0_4arch9wavefront6targetE1EEEvT1_
	.p2align	8
	.type	_ZN7rocprim17ROCPRIM_400000_NS6detail17trampoline_kernelINS0_14default_configENS1_25transform_config_selectorIiLb0EEEZNS1_14transform_implILb0ES3_S5_NS0_18transform_iteratorINS0_17counting_iteratorImlEEZNS1_24adjacent_difference_implIS3_Lb1ELb0EPiN6thrust23THRUST_200600_302600_NS16discard_iteratorINSD_11use_defaultEEENSD_5minusIiEEEE10hipError_tPvRmT2_T3_mT4_P12ihipStream_tbEUlmE_iEESB_NS0_8identityIvEEEESJ_SM_SN_mSO_SQ_bEUlT_E_NS1_11comp_targetILNS1_3genE2ELNS1_11target_archE906ELNS1_3gpuE6ELNS1_3repE0EEENS1_30default_config_static_selectorELNS0_4arch9wavefront6targetE1EEEvT1_,@function
_ZN7rocprim17ROCPRIM_400000_NS6detail17trampoline_kernelINS0_14default_configENS1_25transform_config_selectorIiLb0EEEZNS1_14transform_implILb0ES3_S5_NS0_18transform_iteratorINS0_17counting_iteratorImlEEZNS1_24adjacent_difference_implIS3_Lb1ELb0EPiN6thrust23THRUST_200600_302600_NS16discard_iteratorINSD_11use_defaultEEENSD_5minusIiEEEE10hipError_tPvRmT2_T3_mT4_P12ihipStream_tbEUlmE_iEESB_NS0_8identityIvEEEESJ_SM_SN_mSO_SQ_bEUlT_E_NS1_11comp_targetILNS1_3genE2ELNS1_11target_archE906ELNS1_3gpuE6ELNS1_3repE0EEENS1_30default_config_static_selectorELNS0_4arch9wavefront6targetE1EEEvT1_: ; @_ZN7rocprim17ROCPRIM_400000_NS6detail17trampoline_kernelINS0_14default_configENS1_25transform_config_selectorIiLb0EEEZNS1_14transform_implILb0ES3_S5_NS0_18transform_iteratorINS0_17counting_iteratorImlEEZNS1_24adjacent_difference_implIS3_Lb1ELb0EPiN6thrust23THRUST_200600_302600_NS16discard_iteratorINSD_11use_defaultEEENSD_5minusIiEEEE10hipError_tPvRmT2_T3_mT4_P12ihipStream_tbEUlmE_iEESB_NS0_8identityIvEEEESJ_SM_SN_mSO_SQ_bEUlT_E_NS1_11comp_targetILNS1_3genE2ELNS1_11target_archE906ELNS1_3gpuE6ELNS1_3repE0EEENS1_30default_config_static_selectorELNS0_4arch9wavefront6targetE1EEEvT1_
; %bb.0:
	.section	.rodata,"a",@progbits
	.p2align	6, 0x0
	.amdhsa_kernel _ZN7rocprim17ROCPRIM_400000_NS6detail17trampoline_kernelINS0_14default_configENS1_25transform_config_selectorIiLb0EEEZNS1_14transform_implILb0ES3_S5_NS0_18transform_iteratorINS0_17counting_iteratorImlEEZNS1_24adjacent_difference_implIS3_Lb1ELb0EPiN6thrust23THRUST_200600_302600_NS16discard_iteratorINSD_11use_defaultEEENSD_5minusIiEEEE10hipError_tPvRmT2_T3_mT4_P12ihipStream_tbEUlmE_iEESB_NS0_8identityIvEEEESJ_SM_SN_mSO_SQ_bEUlT_E_NS1_11comp_targetILNS1_3genE2ELNS1_11target_archE906ELNS1_3gpuE6ELNS1_3repE0EEENS1_30default_config_static_selectorELNS0_4arch9wavefront6targetE1EEEvT1_
		.amdhsa_group_segment_fixed_size 0
		.amdhsa_private_segment_fixed_size 0
		.amdhsa_kernarg_size 56
		.amdhsa_user_sgpr_count 6
		.amdhsa_user_sgpr_private_segment_buffer 1
		.amdhsa_user_sgpr_dispatch_ptr 0
		.amdhsa_user_sgpr_queue_ptr 0
		.amdhsa_user_sgpr_kernarg_segment_ptr 1
		.amdhsa_user_sgpr_dispatch_id 0
		.amdhsa_user_sgpr_flat_scratch_init 0
		.amdhsa_user_sgpr_kernarg_preload_length 0
		.amdhsa_user_sgpr_kernarg_preload_offset 0
		.amdhsa_user_sgpr_private_segment_size 0
		.amdhsa_uses_dynamic_stack 0
		.amdhsa_system_sgpr_private_segment_wavefront_offset 0
		.amdhsa_system_sgpr_workgroup_id_x 1
		.amdhsa_system_sgpr_workgroup_id_y 0
		.amdhsa_system_sgpr_workgroup_id_z 0
		.amdhsa_system_sgpr_workgroup_info 0
		.amdhsa_system_vgpr_workitem_id 0
		.amdhsa_next_free_vgpr 1
		.amdhsa_next_free_sgpr 0
		.amdhsa_accum_offset 4
		.amdhsa_reserve_vcc 0
		.amdhsa_reserve_flat_scratch 0
		.amdhsa_float_round_mode_32 0
		.amdhsa_float_round_mode_16_64 0
		.amdhsa_float_denorm_mode_32 3
		.amdhsa_float_denorm_mode_16_64 3
		.amdhsa_dx10_clamp 1
		.amdhsa_ieee_mode 1
		.amdhsa_fp16_overflow 0
		.amdhsa_tg_split 0
		.amdhsa_exception_fp_ieee_invalid_op 0
		.amdhsa_exception_fp_denorm_src 0
		.amdhsa_exception_fp_ieee_div_zero 0
		.amdhsa_exception_fp_ieee_overflow 0
		.amdhsa_exception_fp_ieee_underflow 0
		.amdhsa_exception_fp_ieee_inexact 0
		.amdhsa_exception_int_div_zero 0
	.end_amdhsa_kernel
	.section	.text._ZN7rocprim17ROCPRIM_400000_NS6detail17trampoline_kernelINS0_14default_configENS1_25transform_config_selectorIiLb0EEEZNS1_14transform_implILb0ES3_S5_NS0_18transform_iteratorINS0_17counting_iteratorImlEEZNS1_24adjacent_difference_implIS3_Lb1ELb0EPiN6thrust23THRUST_200600_302600_NS16discard_iteratorINSD_11use_defaultEEENSD_5minusIiEEEE10hipError_tPvRmT2_T3_mT4_P12ihipStream_tbEUlmE_iEESB_NS0_8identityIvEEEESJ_SM_SN_mSO_SQ_bEUlT_E_NS1_11comp_targetILNS1_3genE2ELNS1_11target_archE906ELNS1_3gpuE6ELNS1_3repE0EEENS1_30default_config_static_selectorELNS0_4arch9wavefront6targetE1EEEvT1_,"axG",@progbits,_ZN7rocprim17ROCPRIM_400000_NS6detail17trampoline_kernelINS0_14default_configENS1_25transform_config_selectorIiLb0EEEZNS1_14transform_implILb0ES3_S5_NS0_18transform_iteratorINS0_17counting_iteratorImlEEZNS1_24adjacent_difference_implIS3_Lb1ELb0EPiN6thrust23THRUST_200600_302600_NS16discard_iteratorINSD_11use_defaultEEENSD_5minusIiEEEE10hipError_tPvRmT2_T3_mT4_P12ihipStream_tbEUlmE_iEESB_NS0_8identityIvEEEESJ_SM_SN_mSO_SQ_bEUlT_E_NS1_11comp_targetILNS1_3genE2ELNS1_11target_archE906ELNS1_3gpuE6ELNS1_3repE0EEENS1_30default_config_static_selectorELNS0_4arch9wavefront6targetE1EEEvT1_,comdat
.Lfunc_end738:
	.size	_ZN7rocprim17ROCPRIM_400000_NS6detail17trampoline_kernelINS0_14default_configENS1_25transform_config_selectorIiLb0EEEZNS1_14transform_implILb0ES3_S5_NS0_18transform_iteratorINS0_17counting_iteratorImlEEZNS1_24adjacent_difference_implIS3_Lb1ELb0EPiN6thrust23THRUST_200600_302600_NS16discard_iteratorINSD_11use_defaultEEENSD_5minusIiEEEE10hipError_tPvRmT2_T3_mT4_P12ihipStream_tbEUlmE_iEESB_NS0_8identityIvEEEESJ_SM_SN_mSO_SQ_bEUlT_E_NS1_11comp_targetILNS1_3genE2ELNS1_11target_archE906ELNS1_3gpuE6ELNS1_3repE0EEENS1_30default_config_static_selectorELNS0_4arch9wavefront6targetE1EEEvT1_, .Lfunc_end738-_ZN7rocprim17ROCPRIM_400000_NS6detail17trampoline_kernelINS0_14default_configENS1_25transform_config_selectorIiLb0EEEZNS1_14transform_implILb0ES3_S5_NS0_18transform_iteratorINS0_17counting_iteratorImlEEZNS1_24adjacent_difference_implIS3_Lb1ELb0EPiN6thrust23THRUST_200600_302600_NS16discard_iteratorINSD_11use_defaultEEENSD_5minusIiEEEE10hipError_tPvRmT2_T3_mT4_P12ihipStream_tbEUlmE_iEESB_NS0_8identityIvEEEESJ_SM_SN_mSO_SQ_bEUlT_E_NS1_11comp_targetILNS1_3genE2ELNS1_11target_archE906ELNS1_3gpuE6ELNS1_3repE0EEENS1_30default_config_static_selectorELNS0_4arch9wavefront6targetE1EEEvT1_
                                        ; -- End function
	.section	.AMDGPU.csdata,"",@progbits
; Kernel info:
; codeLenInByte = 0
; NumSgprs: 4
; NumVgprs: 0
; NumAgprs: 0
; TotalNumVgprs: 0
; ScratchSize: 0
; MemoryBound: 0
; FloatMode: 240
; IeeeMode: 1
; LDSByteSize: 0 bytes/workgroup (compile time only)
; SGPRBlocks: 0
; VGPRBlocks: 0
; NumSGPRsForWavesPerEU: 4
; NumVGPRsForWavesPerEU: 1
; AccumOffset: 4
; Occupancy: 8
; WaveLimiterHint : 0
; COMPUTE_PGM_RSRC2:SCRATCH_EN: 0
; COMPUTE_PGM_RSRC2:USER_SGPR: 6
; COMPUTE_PGM_RSRC2:TRAP_HANDLER: 0
; COMPUTE_PGM_RSRC2:TGID_X_EN: 1
; COMPUTE_PGM_RSRC2:TGID_Y_EN: 0
; COMPUTE_PGM_RSRC2:TGID_Z_EN: 0
; COMPUTE_PGM_RSRC2:TIDIG_COMP_CNT: 0
; COMPUTE_PGM_RSRC3_GFX90A:ACCUM_OFFSET: 0
; COMPUTE_PGM_RSRC3_GFX90A:TG_SPLIT: 0
	.section	.text._ZN7rocprim17ROCPRIM_400000_NS6detail17trampoline_kernelINS0_14default_configENS1_25transform_config_selectorIiLb0EEEZNS1_14transform_implILb0ES3_S5_NS0_18transform_iteratorINS0_17counting_iteratorImlEEZNS1_24adjacent_difference_implIS3_Lb1ELb0EPiN6thrust23THRUST_200600_302600_NS16discard_iteratorINSD_11use_defaultEEENSD_5minusIiEEEE10hipError_tPvRmT2_T3_mT4_P12ihipStream_tbEUlmE_iEESB_NS0_8identityIvEEEESJ_SM_SN_mSO_SQ_bEUlT_E_NS1_11comp_targetILNS1_3genE10ELNS1_11target_archE1201ELNS1_3gpuE5ELNS1_3repE0EEENS1_30default_config_static_selectorELNS0_4arch9wavefront6targetE1EEEvT1_,"axG",@progbits,_ZN7rocprim17ROCPRIM_400000_NS6detail17trampoline_kernelINS0_14default_configENS1_25transform_config_selectorIiLb0EEEZNS1_14transform_implILb0ES3_S5_NS0_18transform_iteratorINS0_17counting_iteratorImlEEZNS1_24adjacent_difference_implIS3_Lb1ELb0EPiN6thrust23THRUST_200600_302600_NS16discard_iteratorINSD_11use_defaultEEENSD_5minusIiEEEE10hipError_tPvRmT2_T3_mT4_P12ihipStream_tbEUlmE_iEESB_NS0_8identityIvEEEESJ_SM_SN_mSO_SQ_bEUlT_E_NS1_11comp_targetILNS1_3genE10ELNS1_11target_archE1201ELNS1_3gpuE5ELNS1_3repE0EEENS1_30default_config_static_selectorELNS0_4arch9wavefront6targetE1EEEvT1_,comdat
	.protected	_ZN7rocprim17ROCPRIM_400000_NS6detail17trampoline_kernelINS0_14default_configENS1_25transform_config_selectorIiLb0EEEZNS1_14transform_implILb0ES3_S5_NS0_18transform_iteratorINS0_17counting_iteratorImlEEZNS1_24adjacent_difference_implIS3_Lb1ELb0EPiN6thrust23THRUST_200600_302600_NS16discard_iteratorINSD_11use_defaultEEENSD_5minusIiEEEE10hipError_tPvRmT2_T3_mT4_P12ihipStream_tbEUlmE_iEESB_NS0_8identityIvEEEESJ_SM_SN_mSO_SQ_bEUlT_E_NS1_11comp_targetILNS1_3genE10ELNS1_11target_archE1201ELNS1_3gpuE5ELNS1_3repE0EEENS1_30default_config_static_selectorELNS0_4arch9wavefront6targetE1EEEvT1_ ; -- Begin function _ZN7rocprim17ROCPRIM_400000_NS6detail17trampoline_kernelINS0_14default_configENS1_25transform_config_selectorIiLb0EEEZNS1_14transform_implILb0ES3_S5_NS0_18transform_iteratorINS0_17counting_iteratorImlEEZNS1_24adjacent_difference_implIS3_Lb1ELb0EPiN6thrust23THRUST_200600_302600_NS16discard_iteratorINSD_11use_defaultEEENSD_5minusIiEEEE10hipError_tPvRmT2_T3_mT4_P12ihipStream_tbEUlmE_iEESB_NS0_8identityIvEEEESJ_SM_SN_mSO_SQ_bEUlT_E_NS1_11comp_targetILNS1_3genE10ELNS1_11target_archE1201ELNS1_3gpuE5ELNS1_3repE0EEENS1_30default_config_static_selectorELNS0_4arch9wavefront6targetE1EEEvT1_
	.globl	_ZN7rocprim17ROCPRIM_400000_NS6detail17trampoline_kernelINS0_14default_configENS1_25transform_config_selectorIiLb0EEEZNS1_14transform_implILb0ES3_S5_NS0_18transform_iteratorINS0_17counting_iteratorImlEEZNS1_24adjacent_difference_implIS3_Lb1ELb0EPiN6thrust23THRUST_200600_302600_NS16discard_iteratorINSD_11use_defaultEEENSD_5minusIiEEEE10hipError_tPvRmT2_T3_mT4_P12ihipStream_tbEUlmE_iEESB_NS0_8identityIvEEEESJ_SM_SN_mSO_SQ_bEUlT_E_NS1_11comp_targetILNS1_3genE10ELNS1_11target_archE1201ELNS1_3gpuE5ELNS1_3repE0EEENS1_30default_config_static_selectorELNS0_4arch9wavefront6targetE1EEEvT1_
	.p2align	8
	.type	_ZN7rocprim17ROCPRIM_400000_NS6detail17trampoline_kernelINS0_14default_configENS1_25transform_config_selectorIiLb0EEEZNS1_14transform_implILb0ES3_S5_NS0_18transform_iteratorINS0_17counting_iteratorImlEEZNS1_24adjacent_difference_implIS3_Lb1ELb0EPiN6thrust23THRUST_200600_302600_NS16discard_iteratorINSD_11use_defaultEEENSD_5minusIiEEEE10hipError_tPvRmT2_T3_mT4_P12ihipStream_tbEUlmE_iEESB_NS0_8identityIvEEEESJ_SM_SN_mSO_SQ_bEUlT_E_NS1_11comp_targetILNS1_3genE10ELNS1_11target_archE1201ELNS1_3gpuE5ELNS1_3repE0EEENS1_30default_config_static_selectorELNS0_4arch9wavefront6targetE1EEEvT1_,@function
_ZN7rocprim17ROCPRIM_400000_NS6detail17trampoline_kernelINS0_14default_configENS1_25transform_config_selectorIiLb0EEEZNS1_14transform_implILb0ES3_S5_NS0_18transform_iteratorINS0_17counting_iteratorImlEEZNS1_24adjacent_difference_implIS3_Lb1ELb0EPiN6thrust23THRUST_200600_302600_NS16discard_iteratorINSD_11use_defaultEEENSD_5minusIiEEEE10hipError_tPvRmT2_T3_mT4_P12ihipStream_tbEUlmE_iEESB_NS0_8identityIvEEEESJ_SM_SN_mSO_SQ_bEUlT_E_NS1_11comp_targetILNS1_3genE10ELNS1_11target_archE1201ELNS1_3gpuE5ELNS1_3repE0EEENS1_30default_config_static_selectorELNS0_4arch9wavefront6targetE1EEEvT1_: ; @_ZN7rocprim17ROCPRIM_400000_NS6detail17trampoline_kernelINS0_14default_configENS1_25transform_config_selectorIiLb0EEEZNS1_14transform_implILb0ES3_S5_NS0_18transform_iteratorINS0_17counting_iteratorImlEEZNS1_24adjacent_difference_implIS3_Lb1ELb0EPiN6thrust23THRUST_200600_302600_NS16discard_iteratorINSD_11use_defaultEEENSD_5minusIiEEEE10hipError_tPvRmT2_T3_mT4_P12ihipStream_tbEUlmE_iEESB_NS0_8identityIvEEEESJ_SM_SN_mSO_SQ_bEUlT_E_NS1_11comp_targetILNS1_3genE10ELNS1_11target_archE1201ELNS1_3gpuE5ELNS1_3repE0EEENS1_30default_config_static_selectorELNS0_4arch9wavefront6targetE1EEEvT1_
; %bb.0:
	.section	.rodata,"a",@progbits
	.p2align	6, 0x0
	.amdhsa_kernel _ZN7rocprim17ROCPRIM_400000_NS6detail17trampoline_kernelINS0_14default_configENS1_25transform_config_selectorIiLb0EEEZNS1_14transform_implILb0ES3_S5_NS0_18transform_iteratorINS0_17counting_iteratorImlEEZNS1_24adjacent_difference_implIS3_Lb1ELb0EPiN6thrust23THRUST_200600_302600_NS16discard_iteratorINSD_11use_defaultEEENSD_5minusIiEEEE10hipError_tPvRmT2_T3_mT4_P12ihipStream_tbEUlmE_iEESB_NS0_8identityIvEEEESJ_SM_SN_mSO_SQ_bEUlT_E_NS1_11comp_targetILNS1_3genE10ELNS1_11target_archE1201ELNS1_3gpuE5ELNS1_3repE0EEENS1_30default_config_static_selectorELNS0_4arch9wavefront6targetE1EEEvT1_
		.amdhsa_group_segment_fixed_size 0
		.amdhsa_private_segment_fixed_size 0
		.amdhsa_kernarg_size 56
		.amdhsa_user_sgpr_count 6
		.amdhsa_user_sgpr_private_segment_buffer 1
		.amdhsa_user_sgpr_dispatch_ptr 0
		.amdhsa_user_sgpr_queue_ptr 0
		.amdhsa_user_sgpr_kernarg_segment_ptr 1
		.amdhsa_user_sgpr_dispatch_id 0
		.amdhsa_user_sgpr_flat_scratch_init 0
		.amdhsa_user_sgpr_kernarg_preload_length 0
		.amdhsa_user_sgpr_kernarg_preload_offset 0
		.amdhsa_user_sgpr_private_segment_size 0
		.amdhsa_uses_dynamic_stack 0
		.amdhsa_system_sgpr_private_segment_wavefront_offset 0
		.amdhsa_system_sgpr_workgroup_id_x 1
		.amdhsa_system_sgpr_workgroup_id_y 0
		.amdhsa_system_sgpr_workgroup_id_z 0
		.amdhsa_system_sgpr_workgroup_info 0
		.amdhsa_system_vgpr_workitem_id 0
		.amdhsa_next_free_vgpr 1
		.amdhsa_next_free_sgpr 0
		.amdhsa_accum_offset 4
		.amdhsa_reserve_vcc 0
		.amdhsa_reserve_flat_scratch 0
		.amdhsa_float_round_mode_32 0
		.amdhsa_float_round_mode_16_64 0
		.amdhsa_float_denorm_mode_32 3
		.amdhsa_float_denorm_mode_16_64 3
		.amdhsa_dx10_clamp 1
		.amdhsa_ieee_mode 1
		.amdhsa_fp16_overflow 0
		.amdhsa_tg_split 0
		.amdhsa_exception_fp_ieee_invalid_op 0
		.amdhsa_exception_fp_denorm_src 0
		.amdhsa_exception_fp_ieee_div_zero 0
		.amdhsa_exception_fp_ieee_overflow 0
		.amdhsa_exception_fp_ieee_underflow 0
		.amdhsa_exception_fp_ieee_inexact 0
		.amdhsa_exception_int_div_zero 0
	.end_amdhsa_kernel
	.section	.text._ZN7rocprim17ROCPRIM_400000_NS6detail17trampoline_kernelINS0_14default_configENS1_25transform_config_selectorIiLb0EEEZNS1_14transform_implILb0ES3_S5_NS0_18transform_iteratorINS0_17counting_iteratorImlEEZNS1_24adjacent_difference_implIS3_Lb1ELb0EPiN6thrust23THRUST_200600_302600_NS16discard_iteratorINSD_11use_defaultEEENSD_5minusIiEEEE10hipError_tPvRmT2_T3_mT4_P12ihipStream_tbEUlmE_iEESB_NS0_8identityIvEEEESJ_SM_SN_mSO_SQ_bEUlT_E_NS1_11comp_targetILNS1_3genE10ELNS1_11target_archE1201ELNS1_3gpuE5ELNS1_3repE0EEENS1_30default_config_static_selectorELNS0_4arch9wavefront6targetE1EEEvT1_,"axG",@progbits,_ZN7rocprim17ROCPRIM_400000_NS6detail17trampoline_kernelINS0_14default_configENS1_25transform_config_selectorIiLb0EEEZNS1_14transform_implILb0ES3_S5_NS0_18transform_iteratorINS0_17counting_iteratorImlEEZNS1_24adjacent_difference_implIS3_Lb1ELb0EPiN6thrust23THRUST_200600_302600_NS16discard_iteratorINSD_11use_defaultEEENSD_5minusIiEEEE10hipError_tPvRmT2_T3_mT4_P12ihipStream_tbEUlmE_iEESB_NS0_8identityIvEEEESJ_SM_SN_mSO_SQ_bEUlT_E_NS1_11comp_targetILNS1_3genE10ELNS1_11target_archE1201ELNS1_3gpuE5ELNS1_3repE0EEENS1_30default_config_static_selectorELNS0_4arch9wavefront6targetE1EEEvT1_,comdat
.Lfunc_end739:
	.size	_ZN7rocprim17ROCPRIM_400000_NS6detail17trampoline_kernelINS0_14default_configENS1_25transform_config_selectorIiLb0EEEZNS1_14transform_implILb0ES3_S5_NS0_18transform_iteratorINS0_17counting_iteratorImlEEZNS1_24adjacent_difference_implIS3_Lb1ELb0EPiN6thrust23THRUST_200600_302600_NS16discard_iteratorINSD_11use_defaultEEENSD_5minusIiEEEE10hipError_tPvRmT2_T3_mT4_P12ihipStream_tbEUlmE_iEESB_NS0_8identityIvEEEESJ_SM_SN_mSO_SQ_bEUlT_E_NS1_11comp_targetILNS1_3genE10ELNS1_11target_archE1201ELNS1_3gpuE5ELNS1_3repE0EEENS1_30default_config_static_selectorELNS0_4arch9wavefront6targetE1EEEvT1_, .Lfunc_end739-_ZN7rocprim17ROCPRIM_400000_NS6detail17trampoline_kernelINS0_14default_configENS1_25transform_config_selectorIiLb0EEEZNS1_14transform_implILb0ES3_S5_NS0_18transform_iteratorINS0_17counting_iteratorImlEEZNS1_24adjacent_difference_implIS3_Lb1ELb0EPiN6thrust23THRUST_200600_302600_NS16discard_iteratorINSD_11use_defaultEEENSD_5minusIiEEEE10hipError_tPvRmT2_T3_mT4_P12ihipStream_tbEUlmE_iEESB_NS0_8identityIvEEEESJ_SM_SN_mSO_SQ_bEUlT_E_NS1_11comp_targetILNS1_3genE10ELNS1_11target_archE1201ELNS1_3gpuE5ELNS1_3repE0EEENS1_30default_config_static_selectorELNS0_4arch9wavefront6targetE1EEEvT1_
                                        ; -- End function
	.section	.AMDGPU.csdata,"",@progbits
; Kernel info:
; codeLenInByte = 0
; NumSgprs: 4
; NumVgprs: 0
; NumAgprs: 0
; TotalNumVgprs: 0
; ScratchSize: 0
; MemoryBound: 0
; FloatMode: 240
; IeeeMode: 1
; LDSByteSize: 0 bytes/workgroup (compile time only)
; SGPRBlocks: 0
; VGPRBlocks: 0
; NumSGPRsForWavesPerEU: 4
; NumVGPRsForWavesPerEU: 1
; AccumOffset: 4
; Occupancy: 8
; WaveLimiterHint : 0
; COMPUTE_PGM_RSRC2:SCRATCH_EN: 0
; COMPUTE_PGM_RSRC2:USER_SGPR: 6
; COMPUTE_PGM_RSRC2:TRAP_HANDLER: 0
; COMPUTE_PGM_RSRC2:TGID_X_EN: 1
; COMPUTE_PGM_RSRC2:TGID_Y_EN: 0
; COMPUTE_PGM_RSRC2:TGID_Z_EN: 0
; COMPUTE_PGM_RSRC2:TIDIG_COMP_CNT: 0
; COMPUTE_PGM_RSRC3_GFX90A:ACCUM_OFFSET: 0
; COMPUTE_PGM_RSRC3_GFX90A:TG_SPLIT: 0
	.section	.text._ZN7rocprim17ROCPRIM_400000_NS6detail17trampoline_kernelINS0_14default_configENS1_25transform_config_selectorIiLb0EEEZNS1_14transform_implILb0ES3_S5_NS0_18transform_iteratorINS0_17counting_iteratorImlEEZNS1_24adjacent_difference_implIS3_Lb1ELb0EPiN6thrust23THRUST_200600_302600_NS16discard_iteratorINSD_11use_defaultEEENSD_5minusIiEEEE10hipError_tPvRmT2_T3_mT4_P12ihipStream_tbEUlmE_iEESB_NS0_8identityIvEEEESJ_SM_SN_mSO_SQ_bEUlT_E_NS1_11comp_targetILNS1_3genE10ELNS1_11target_archE1200ELNS1_3gpuE4ELNS1_3repE0EEENS1_30default_config_static_selectorELNS0_4arch9wavefront6targetE1EEEvT1_,"axG",@progbits,_ZN7rocprim17ROCPRIM_400000_NS6detail17trampoline_kernelINS0_14default_configENS1_25transform_config_selectorIiLb0EEEZNS1_14transform_implILb0ES3_S5_NS0_18transform_iteratorINS0_17counting_iteratorImlEEZNS1_24adjacent_difference_implIS3_Lb1ELb0EPiN6thrust23THRUST_200600_302600_NS16discard_iteratorINSD_11use_defaultEEENSD_5minusIiEEEE10hipError_tPvRmT2_T3_mT4_P12ihipStream_tbEUlmE_iEESB_NS0_8identityIvEEEESJ_SM_SN_mSO_SQ_bEUlT_E_NS1_11comp_targetILNS1_3genE10ELNS1_11target_archE1200ELNS1_3gpuE4ELNS1_3repE0EEENS1_30default_config_static_selectorELNS0_4arch9wavefront6targetE1EEEvT1_,comdat
	.protected	_ZN7rocprim17ROCPRIM_400000_NS6detail17trampoline_kernelINS0_14default_configENS1_25transform_config_selectorIiLb0EEEZNS1_14transform_implILb0ES3_S5_NS0_18transform_iteratorINS0_17counting_iteratorImlEEZNS1_24adjacent_difference_implIS3_Lb1ELb0EPiN6thrust23THRUST_200600_302600_NS16discard_iteratorINSD_11use_defaultEEENSD_5minusIiEEEE10hipError_tPvRmT2_T3_mT4_P12ihipStream_tbEUlmE_iEESB_NS0_8identityIvEEEESJ_SM_SN_mSO_SQ_bEUlT_E_NS1_11comp_targetILNS1_3genE10ELNS1_11target_archE1200ELNS1_3gpuE4ELNS1_3repE0EEENS1_30default_config_static_selectorELNS0_4arch9wavefront6targetE1EEEvT1_ ; -- Begin function _ZN7rocprim17ROCPRIM_400000_NS6detail17trampoline_kernelINS0_14default_configENS1_25transform_config_selectorIiLb0EEEZNS1_14transform_implILb0ES3_S5_NS0_18transform_iteratorINS0_17counting_iteratorImlEEZNS1_24adjacent_difference_implIS3_Lb1ELb0EPiN6thrust23THRUST_200600_302600_NS16discard_iteratorINSD_11use_defaultEEENSD_5minusIiEEEE10hipError_tPvRmT2_T3_mT4_P12ihipStream_tbEUlmE_iEESB_NS0_8identityIvEEEESJ_SM_SN_mSO_SQ_bEUlT_E_NS1_11comp_targetILNS1_3genE10ELNS1_11target_archE1200ELNS1_3gpuE4ELNS1_3repE0EEENS1_30default_config_static_selectorELNS0_4arch9wavefront6targetE1EEEvT1_
	.globl	_ZN7rocprim17ROCPRIM_400000_NS6detail17trampoline_kernelINS0_14default_configENS1_25transform_config_selectorIiLb0EEEZNS1_14transform_implILb0ES3_S5_NS0_18transform_iteratorINS0_17counting_iteratorImlEEZNS1_24adjacent_difference_implIS3_Lb1ELb0EPiN6thrust23THRUST_200600_302600_NS16discard_iteratorINSD_11use_defaultEEENSD_5minusIiEEEE10hipError_tPvRmT2_T3_mT4_P12ihipStream_tbEUlmE_iEESB_NS0_8identityIvEEEESJ_SM_SN_mSO_SQ_bEUlT_E_NS1_11comp_targetILNS1_3genE10ELNS1_11target_archE1200ELNS1_3gpuE4ELNS1_3repE0EEENS1_30default_config_static_selectorELNS0_4arch9wavefront6targetE1EEEvT1_
	.p2align	8
	.type	_ZN7rocprim17ROCPRIM_400000_NS6detail17trampoline_kernelINS0_14default_configENS1_25transform_config_selectorIiLb0EEEZNS1_14transform_implILb0ES3_S5_NS0_18transform_iteratorINS0_17counting_iteratorImlEEZNS1_24adjacent_difference_implIS3_Lb1ELb0EPiN6thrust23THRUST_200600_302600_NS16discard_iteratorINSD_11use_defaultEEENSD_5minusIiEEEE10hipError_tPvRmT2_T3_mT4_P12ihipStream_tbEUlmE_iEESB_NS0_8identityIvEEEESJ_SM_SN_mSO_SQ_bEUlT_E_NS1_11comp_targetILNS1_3genE10ELNS1_11target_archE1200ELNS1_3gpuE4ELNS1_3repE0EEENS1_30default_config_static_selectorELNS0_4arch9wavefront6targetE1EEEvT1_,@function
_ZN7rocprim17ROCPRIM_400000_NS6detail17trampoline_kernelINS0_14default_configENS1_25transform_config_selectorIiLb0EEEZNS1_14transform_implILb0ES3_S5_NS0_18transform_iteratorINS0_17counting_iteratorImlEEZNS1_24adjacent_difference_implIS3_Lb1ELb0EPiN6thrust23THRUST_200600_302600_NS16discard_iteratorINSD_11use_defaultEEENSD_5minusIiEEEE10hipError_tPvRmT2_T3_mT4_P12ihipStream_tbEUlmE_iEESB_NS0_8identityIvEEEESJ_SM_SN_mSO_SQ_bEUlT_E_NS1_11comp_targetILNS1_3genE10ELNS1_11target_archE1200ELNS1_3gpuE4ELNS1_3repE0EEENS1_30default_config_static_selectorELNS0_4arch9wavefront6targetE1EEEvT1_: ; @_ZN7rocprim17ROCPRIM_400000_NS6detail17trampoline_kernelINS0_14default_configENS1_25transform_config_selectorIiLb0EEEZNS1_14transform_implILb0ES3_S5_NS0_18transform_iteratorINS0_17counting_iteratorImlEEZNS1_24adjacent_difference_implIS3_Lb1ELb0EPiN6thrust23THRUST_200600_302600_NS16discard_iteratorINSD_11use_defaultEEENSD_5minusIiEEEE10hipError_tPvRmT2_T3_mT4_P12ihipStream_tbEUlmE_iEESB_NS0_8identityIvEEEESJ_SM_SN_mSO_SQ_bEUlT_E_NS1_11comp_targetILNS1_3genE10ELNS1_11target_archE1200ELNS1_3gpuE4ELNS1_3repE0EEENS1_30default_config_static_selectorELNS0_4arch9wavefront6targetE1EEEvT1_
; %bb.0:
	.section	.rodata,"a",@progbits
	.p2align	6, 0x0
	.amdhsa_kernel _ZN7rocprim17ROCPRIM_400000_NS6detail17trampoline_kernelINS0_14default_configENS1_25transform_config_selectorIiLb0EEEZNS1_14transform_implILb0ES3_S5_NS0_18transform_iteratorINS0_17counting_iteratorImlEEZNS1_24adjacent_difference_implIS3_Lb1ELb0EPiN6thrust23THRUST_200600_302600_NS16discard_iteratorINSD_11use_defaultEEENSD_5minusIiEEEE10hipError_tPvRmT2_T3_mT4_P12ihipStream_tbEUlmE_iEESB_NS0_8identityIvEEEESJ_SM_SN_mSO_SQ_bEUlT_E_NS1_11comp_targetILNS1_3genE10ELNS1_11target_archE1200ELNS1_3gpuE4ELNS1_3repE0EEENS1_30default_config_static_selectorELNS0_4arch9wavefront6targetE1EEEvT1_
		.amdhsa_group_segment_fixed_size 0
		.amdhsa_private_segment_fixed_size 0
		.amdhsa_kernarg_size 56
		.amdhsa_user_sgpr_count 6
		.amdhsa_user_sgpr_private_segment_buffer 1
		.amdhsa_user_sgpr_dispatch_ptr 0
		.amdhsa_user_sgpr_queue_ptr 0
		.amdhsa_user_sgpr_kernarg_segment_ptr 1
		.amdhsa_user_sgpr_dispatch_id 0
		.amdhsa_user_sgpr_flat_scratch_init 0
		.amdhsa_user_sgpr_kernarg_preload_length 0
		.amdhsa_user_sgpr_kernarg_preload_offset 0
		.amdhsa_user_sgpr_private_segment_size 0
		.amdhsa_uses_dynamic_stack 0
		.amdhsa_system_sgpr_private_segment_wavefront_offset 0
		.amdhsa_system_sgpr_workgroup_id_x 1
		.amdhsa_system_sgpr_workgroup_id_y 0
		.amdhsa_system_sgpr_workgroup_id_z 0
		.amdhsa_system_sgpr_workgroup_info 0
		.amdhsa_system_vgpr_workitem_id 0
		.amdhsa_next_free_vgpr 1
		.amdhsa_next_free_sgpr 0
		.amdhsa_accum_offset 4
		.amdhsa_reserve_vcc 0
		.amdhsa_reserve_flat_scratch 0
		.amdhsa_float_round_mode_32 0
		.amdhsa_float_round_mode_16_64 0
		.amdhsa_float_denorm_mode_32 3
		.amdhsa_float_denorm_mode_16_64 3
		.amdhsa_dx10_clamp 1
		.amdhsa_ieee_mode 1
		.amdhsa_fp16_overflow 0
		.amdhsa_tg_split 0
		.amdhsa_exception_fp_ieee_invalid_op 0
		.amdhsa_exception_fp_denorm_src 0
		.amdhsa_exception_fp_ieee_div_zero 0
		.amdhsa_exception_fp_ieee_overflow 0
		.amdhsa_exception_fp_ieee_underflow 0
		.amdhsa_exception_fp_ieee_inexact 0
		.amdhsa_exception_int_div_zero 0
	.end_amdhsa_kernel
	.section	.text._ZN7rocprim17ROCPRIM_400000_NS6detail17trampoline_kernelINS0_14default_configENS1_25transform_config_selectorIiLb0EEEZNS1_14transform_implILb0ES3_S5_NS0_18transform_iteratorINS0_17counting_iteratorImlEEZNS1_24adjacent_difference_implIS3_Lb1ELb0EPiN6thrust23THRUST_200600_302600_NS16discard_iteratorINSD_11use_defaultEEENSD_5minusIiEEEE10hipError_tPvRmT2_T3_mT4_P12ihipStream_tbEUlmE_iEESB_NS0_8identityIvEEEESJ_SM_SN_mSO_SQ_bEUlT_E_NS1_11comp_targetILNS1_3genE10ELNS1_11target_archE1200ELNS1_3gpuE4ELNS1_3repE0EEENS1_30default_config_static_selectorELNS0_4arch9wavefront6targetE1EEEvT1_,"axG",@progbits,_ZN7rocprim17ROCPRIM_400000_NS6detail17trampoline_kernelINS0_14default_configENS1_25transform_config_selectorIiLb0EEEZNS1_14transform_implILb0ES3_S5_NS0_18transform_iteratorINS0_17counting_iteratorImlEEZNS1_24adjacent_difference_implIS3_Lb1ELb0EPiN6thrust23THRUST_200600_302600_NS16discard_iteratorINSD_11use_defaultEEENSD_5minusIiEEEE10hipError_tPvRmT2_T3_mT4_P12ihipStream_tbEUlmE_iEESB_NS0_8identityIvEEEESJ_SM_SN_mSO_SQ_bEUlT_E_NS1_11comp_targetILNS1_3genE10ELNS1_11target_archE1200ELNS1_3gpuE4ELNS1_3repE0EEENS1_30default_config_static_selectorELNS0_4arch9wavefront6targetE1EEEvT1_,comdat
.Lfunc_end740:
	.size	_ZN7rocprim17ROCPRIM_400000_NS6detail17trampoline_kernelINS0_14default_configENS1_25transform_config_selectorIiLb0EEEZNS1_14transform_implILb0ES3_S5_NS0_18transform_iteratorINS0_17counting_iteratorImlEEZNS1_24adjacent_difference_implIS3_Lb1ELb0EPiN6thrust23THRUST_200600_302600_NS16discard_iteratorINSD_11use_defaultEEENSD_5minusIiEEEE10hipError_tPvRmT2_T3_mT4_P12ihipStream_tbEUlmE_iEESB_NS0_8identityIvEEEESJ_SM_SN_mSO_SQ_bEUlT_E_NS1_11comp_targetILNS1_3genE10ELNS1_11target_archE1200ELNS1_3gpuE4ELNS1_3repE0EEENS1_30default_config_static_selectorELNS0_4arch9wavefront6targetE1EEEvT1_, .Lfunc_end740-_ZN7rocprim17ROCPRIM_400000_NS6detail17trampoline_kernelINS0_14default_configENS1_25transform_config_selectorIiLb0EEEZNS1_14transform_implILb0ES3_S5_NS0_18transform_iteratorINS0_17counting_iteratorImlEEZNS1_24adjacent_difference_implIS3_Lb1ELb0EPiN6thrust23THRUST_200600_302600_NS16discard_iteratorINSD_11use_defaultEEENSD_5minusIiEEEE10hipError_tPvRmT2_T3_mT4_P12ihipStream_tbEUlmE_iEESB_NS0_8identityIvEEEESJ_SM_SN_mSO_SQ_bEUlT_E_NS1_11comp_targetILNS1_3genE10ELNS1_11target_archE1200ELNS1_3gpuE4ELNS1_3repE0EEENS1_30default_config_static_selectorELNS0_4arch9wavefront6targetE1EEEvT1_
                                        ; -- End function
	.section	.AMDGPU.csdata,"",@progbits
; Kernel info:
; codeLenInByte = 0
; NumSgprs: 4
; NumVgprs: 0
; NumAgprs: 0
; TotalNumVgprs: 0
; ScratchSize: 0
; MemoryBound: 0
; FloatMode: 240
; IeeeMode: 1
; LDSByteSize: 0 bytes/workgroup (compile time only)
; SGPRBlocks: 0
; VGPRBlocks: 0
; NumSGPRsForWavesPerEU: 4
; NumVGPRsForWavesPerEU: 1
; AccumOffset: 4
; Occupancy: 8
; WaveLimiterHint : 0
; COMPUTE_PGM_RSRC2:SCRATCH_EN: 0
; COMPUTE_PGM_RSRC2:USER_SGPR: 6
; COMPUTE_PGM_RSRC2:TRAP_HANDLER: 0
; COMPUTE_PGM_RSRC2:TGID_X_EN: 1
; COMPUTE_PGM_RSRC2:TGID_Y_EN: 0
; COMPUTE_PGM_RSRC2:TGID_Z_EN: 0
; COMPUTE_PGM_RSRC2:TIDIG_COMP_CNT: 0
; COMPUTE_PGM_RSRC3_GFX90A:ACCUM_OFFSET: 0
; COMPUTE_PGM_RSRC3_GFX90A:TG_SPLIT: 0
	.section	.text._ZN7rocprim17ROCPRIM_400000_NS6detail17trampoline_kernelINS0_14default_configENS1_25transform_config_selectorIiLb0EEEZNS1_14transform_implILb0ES3_S5_NS0_18transform_iteratorINS0_17counting_iteratorImlEEZNS1_24adjacent_difference_implIS3_Lb1ELb0EPiN6thrust23THRUST_200600_302600_NS16discard_iteratorINSD_11use_defaultEEENSD_5minusIiEEEE10hipError_tPvRmT2_T3_mT4_P12ihipStream_tbEUlmE_iEESB_NS0_8identityIvEEEESJ_SM_SN_mSO_SQ_bEUlT_E_NS1_11comp_targetILNS1_3genE9ELNS1_11target_archE1100ELNS1_3gpuE3ELNS1_3repE0EEENS1_30default_config_static_selectorELNS0_4arch9wavefront6targetE1EEEvT1_,"axG",@progbits,_ZN7rocprim17ROCPRIM_400000_NS6detail17trampoline_kernelINS0_14default_configENS1_25transform_config_selectorIiLb0EEEZNS1_14transform_implILb0ES3_S5_NS0_18transform_iteratorINS0_17counting_iteratorImlEEZNS1_24adjacent_difference_implIS3_Lb1ELb0EPiN6thrust23THRUST_200600_302600_NS16discard_iteratorINSD_11use_defaultEEENSD_5minusIiEEEE10hipError_tPvRmT2_T3_mT4_P12ihipStream_tbEUlmE_iEESB_NS0_8identityIvEEEESJ_SM_SN_mSO_SQ_bEUlT_E_NS1_11comp_targetILNS1_3genE9ELNS1_11target_archE1100ELNS1_3gpuE3ELNS1_3repE0EEENS1_30default_config_static_selectorELNS0_4arch9wavefront6targetE1EEEvT1_,comdat
	.protected	_ZN7rocprim17ROCPRIM_400000_NS6detail17trampoline_kernelINS0_14default_configENS1_25transform_config_selectorIiLb0EEEZNS1_14transform_implILb0ES3_S5_NS0_18transform_iteratorINS0_17counting_iteratorImlEEZNS1_24adjacent_difference_implIS3_Lb1ELb0EPiN6thrust23THRUST_200600_302600_NS16discard_iteratorINSD_11use_defaultEEENSD_5minusIiEEEE10hipError_tPvRmT2_T3_mT4_P12ihipStream_tbEUlmE_iEESB_NS0_8identityIvEEEESJ_SM_SN_mSO_SQ_bEUlT_E_NS1_11comp_targetILNS1_3genE9ELNS1_11target_archE1100ELNS1_3gpuE3ELNS1_3repE0EEENS1_30default_config_static_selectorELNS0_4arch9wavefront6targetE1EEEvT1_ ; -- Begin function _ZN7rocprim17ROCPRIM_400000_NS6detail17trampoline_kernelINS0_14default_configENS1_25transform_config_selectorIiLb0EEEZNS1_14transform_implILb0ES3_S5_NS0_18transform_iteratorINS0_17counting_iteratorImlEEZNS1_24adjacent_difference_implIS3_Lb1ELb0EPiN6thrust23THRUST_200600_302600_NS16discard_iteratorINSD_11use_defaultEEENSD_5minusIiEEEE10hipError_tPvRmT2_T3_mT4_P12ihipStream_tbEUlmE_iEESB_NS0_8identityIvEEEESJ_SM_SN_mSO_SQ_bEUlT_E_NS1_11comp_targetILNS1_3genE9ELNS1_11target_archE1100ELNS1_3gpuE3ELNS1_3repE0EEENS1_30default_config_static_selectorELNS0_4arch9wavefront6targetE1EEEvT1_
	.globl	_ZN7rocprim17ROCPRIM_400000_NS6detail17trampoline_kernelINS0_14default_configENS1_25transform_config_selectorIiLb0EEEZNS1_14transform_implILb0ES3_S5_NS0_18transform_iteratorINS0_17counting_iteratorImlEEZNS1_24adjacent_difference_implIS3_Lb1ELb0EPiN6thrust23THRUST_200600_302600_NS16discard_iteratorINSD_11use_defaultEEENSD_5minusIiEEEE10hipError_tPvRmT2_T3_mT4_P12ihipStream_tbEUlmE_iEESB_NS0_8identityIvEEEESJ_SM_SN_mSO_SQ_bEUlT_E_NS1_11comp_targetILNS1_3genE9ELNS1_11target_archE1100ELNS1_3gpuE3ELNS1_3repE0EEENS1_30default_config_static_selectorELNS0_4arch9wavefront6targetE1EEEvT1_
	.p2align	8
	.type	_ZN7rocprim17ROCPRIM_400000_NS6detail17trampoline_kernelINS0_14default_configENS1_25transform_config_selectorIiLb0EEEZNS1_14transform_implILb0ES3_S5_NS0_18transform_iteratorINS0_17counting_iteratorImlEEZNS1_24adjacent_difference_implIS3_Lb1ELb0EPiN6thrust23THRUST_200600_302600_NS16discard_iteratorINSD_11use_defaultEEENSD_5minusIiEEEE10hipError_tPvRmT2_T3_mT4_P12ihipStream_tbEUlmE_iEESB_NS0_8identityIvEEEESJ_SM_SN_mSO_SQ_bEUlT_E_NS1_11comp_targetILNS1_3genE9ELNS1_11target_archE1100ELNS1_3gpuE3ELNS1_3repE0EEENS1_30default_config_static_selectorELNS0_4arch9wavefront6targetE1EEEvT1_,@function
_ZN7rocprim17ROCPRIM_400000_NS6detail17trampoline_kernelINS0_14default_configENS1_25transform_config_selectorIiLb0EEEZNS1_14transform_implILb0ES3_S5_NS0_18transform_iteratorINS0_17counting_iteratorImlEEZNS1_24adjacent_difference_implIS3_Lb1ELb0EPiN6thrust23THRUST_200600_302600_NS16discard_iteratorINSD_11use_defaultEEENSD_5minusIiEEEE10hipError_tPvRmT2_T3_mT4_P12ihipStream_tbEUlmE_iEESB_NS0_8identityIvEEEESJ_SM_SN_mSO_SQ_bEUlT_E_NS1_11comp_targetILNS1_3genE9ELNS1_11target_archE1100ELNS1_3gpuE3ELNS1_3repE0EEENS1_30default_config_static_selectorELNS0_4arch9wavefront6targetE1EEEvT1_: ; @_ZN7rocprim17ROCPRIM_400000_NS6detail17trampoline_kernelINS0_14default_configENS1_25transform_config_selectorIiLb0EEEZNS1_14transform_implILb0ES3_S5_NS0_18transform_iteratorINS0_17counting_iteratorImlEEZNS1_24adjacent_difference_implIS3_Lb1ELb0EPiN6thrust23THRUST_200600_302600_NS16discard_iteratorINSD_11use_defaultEEENSD_5minusIiEEEE10hipError_tPvRmT2_T3_mT4_P12ihipStream_tbEUlmE_iEESB_NS0_8identityIvEEEESJ_SM_SN_mSO_SQ_bEUlT_E_NS1_11comp_targetILNS1_3genE9ELNS1_11target_archE1100ELNS1_3gpuE3ELNS1_3repE0EEENS1_30default_config_static_selectorELNS0_4arch9wavefront6targetE1EEEvT1_
; %bb.0:
	.section	.rodata,"a",@progbits
	.p2align	6, 0x0
	.amdhsa_kernel _ZN7rocprim17ROCPRIM_400000_NS6detail17trampoline_kernelINS0_14default_configENS1_25transform_config_selectorIiLb0EEEZNS1_14transform_implILb0ES3_S5_NS0_18transform_iteratorINS0_17counting_iteratorImlEEZNS1_24adjacent_difference_implIS3_Lb1ELb0EPiN6thrust23THRUST_200600_302600_NS16discard_iteratorINSD_11use_defaultEEENSD_5minusIiEEEE10hipError_tPvRmT2_T3_mT4_P12ihipStream_tbEUlmE_iEESB_NS0_8identityIvEEEESJ_SM_SN_mSO_SQ_bEUlT_E_NS1_11comp_targetILNS1_3genE9ELNS1_11target_archE1100ELNS1_3gpuE3ELNS1_3repE0EEENS1_30default_config_static_selectorELNS0_4arch9wavefront6targetE1EEEvT1_
		.amdhsa_group_segment_fixed_size 0
		.amdhsa_private_segment_fixed_size 0
		.amdhsa_kernarg_size 56
		.amdhsa_user_sgpr_count 6
		.amdhsa_user_sgpr_private_segment_buffer 1
		.amdhsa_user_sgpr_dispatch_ptr 0
		.amdhsa_user_sgpr_queue_ptr 0
		.amdhsa_user_sgpr_kernarg_segment_ptr 1
		.amdhsa_user_sgpr_dispatch_id 0
		.amdhsa_user_sgpr_flat_scratch_init 0
		.amdhsa_user_sgpr_kernarg_preload_length 0
		.amdhsa_user_sgpr_kernarg_preload_offset 0
		.amdhsa_user_sgpr_private_segment_size 0
		.amdhsa_uses_dynamic_stack 0
		.amdhsa_system_sgpr_private_segment_wavefront_offset 0
		.amdhsa_system_sgpr_workgroup_id_x 1
		.amdhsa_system_sgpr_workgroup_id_y 0
		.amdhsa_system_sgpr_workgroup_id_z 0
		.amdhsa_system_sgpr_workgroup_info 0
		.amdhsa_system_vgpr_workitem_id 0
		.amdhsa_next_free_vgpr 1
		.amdhsa_next_free_sgpr 0
		.amdhsa_accum_offset 4
		.amdhsa_reserve_vcc 0
		.amdhsa_reserve_flat_scratch 0
		.amdhsa_float_round_mode_32 0
		.amdhsa_float_round_mode_16_64 0
		.amdhsa_float_denorm_mode_32 3
		.amdhsa_float_denorm_mode_16_64 3
		.amdhsa_dx10_clamp 1
		.amdhsa_ieee_mode 1
		.amdhsa_fp16_overflow 0
		.amdhsa_tg_split 0
		.amdhsa_exception_fp_ieee_invalid_op 0
		.amdhsa_exception_fp_denorm_src 0
		.amdhsa_exception_fp_ieee_div_zero 0
		.amdhsa_exception_fp_ieee_overflow 0
		.amdhsa_exception_fp_ieee_underflow 0
		.amdhsa_exception_fp_ieee_inexact 0
		.amdhsa_exception_int_div_zero 0
	.end_amdhsa_kernel
	.section	.text._ZN7rocprim17ROCPRIM_400000_NS6detail17trampoline_kernelINS0_14default_configENS1_25transform_config_selectorIiLb0EEEZNS1_14transform_implILb0ES3_S5_NS0_18transform_iteratorINS0_17counting_iteratorImlEEZNS1_24adjacent_difference_implIS3_Lb1ELb0EPiN6thrust23THRUST_200600_302600_NS16discard_iteratorINSD_11use_defaultEEENSD_5minusIiEEEE10hipError_tPvRmT2_T3_mT4_P12ihipStream_tbEUlmE_iEESB_NS0_8identityIvEEEESJ_SM_SN_mSO_SQ_bEUlT_E_NS1_11comp_targetILNS1_3genE9ELNS1_11target_archE1100ELNS1_3gpuE3ELNS1_3repE0EEENS1_30default_config_static_selectorELNS0_4arch9wavefront6targetE1EEEvT1_,"axG",@progbits,_ZN7rocprim17ROCPRIM_400000_NS6detail17trampoline_kernelINS0_14default_configENS1_25transform_config_selectorIiLb0EEEZNS1_14transform_implILb0ES3_S5_NS0_18transform_iteratorINS0_17counting_iteratorImlEEZNS1_24adjacent_difference_implIS3_Lb1ELb0EPiN6thrust23THRUST_200600_302600_NS16discard_iteratorINSD_11use_defaultEEENSD_5minusIiEEEE10hipError_tPvRmT2_T3_mT4_P12ihipStream_tbEUlmE_iEESB_NS0_8identityIvEEEESJ_SM_SN_mSO_SQ_bEUlT_E_NS1_11comp_targetILNS1_3genE9ELNS1_11target_archE1100ELNS1_3gpuE3ELNS1_3repE0EEENS1_30default_config_static_selectorELNS0_4arch9wavefront6targetE1EEEvT1_,comdat
.Lfunc_end741:
	.size	_ZN7rocprim17ROCPRIM_400000_NS6detail17trampoline_kernelINS0_14default_configENS1_25transform_config_selectorIiLb0EEEZNS1_14transform_implILb0ES3_S5_NS0_18transform_iteratorINS0_17counting_iteratorImlEEZNS1_24adjacent_difference_implIS3_Lb1ELb0EPiN6thrust23THRUST_200600_302600_NS16discard_iteratorINSD_11use_defaultEEENSD_5minusIiEEEE10hipError_tPvRmT2_T3_mT4_P12ihipStream_tbEUlmE_iEESB_NS0_8identityIvEEEESJ_SM_SN_mSO_SQ_bEUlT_E_NS1_11comp_targetILNS1_3genE9ELNS1_11target_archE1100ELNS1_3gpuE3ELNS1_3repE0EEENS1_30default_config_static_selectorELNS0_4arch9wavefront6targetE1EEEvT1_, .Lfunc_end741-_ZN7rocprim17ROCPRIM_400000_NS6detail17trampoline_kernelINS0_14default_configENS1_25transform_config_selectorIiLb0EEEZNS1_14transform_implILb0ES3_S5_NS0_18transform_iteratorINS0_17counting_iteratorImlEEZNS1_24adjacent_difference_implIS3_Lb1ELb0EPiN6thrust23THRUST_200600_302600_NS16discard_iteratorINSD_11use_defaultEEENSD_5minusIiEEEE10hipError_tPvRmT2_T3_mT4_P12ihipStream_tbEUlmE_iEESB_NS0_8identityIvEEEESJ_SM_SN_mSO_SQ_bEUlT_E_NS1_11comp_targetILNS1_3genE9ELNS1_11target_archE1100ELNS1_3gpuE3ELNS1_3repE0EEENS1_30default_config_static_selectorELNS0_4arch9wavefront6targetE1EEEvT1_
                                        ; -- End function
	.section	.AMDGPU.csdata,"",@progbits
; Kernel info:
; codeLenInByte = 0
; NumSgprs: 4
; NumVgprs: 0
; NumAgprs: 0
; TotalNumVgprs: 0
; ScratchSize: 0
; MemoryBound: 0
; FloatMode: 240
; IeeeMode: 1
; LDSByteSize: 0 bytes/workgroup (compile time only)
; SGPRBlocks: 0
; VGPRBlocks: 0
; NumSGPRsForWavesPerEU: 4
; NumVGPRsForWavesPerEU: 1
; AccumOffset: 4
; Occupancy: 8
; WaveLimiterHint : 0
; COMPUTE_PGM_RSRC2:SCRATCH_EN: 0
; COMPUTE_PGM_RSRC2:USER_SGPR: 6
; COMPUTE_PGM_RSRC2:TRAP_HANDLER: 0
; COMPUTE_PGM_RSRC2:TGID_X_EN: 1
; COMPUTE_PGM_RSRC2:TGID_Y_EN: 0
; COMPUTE_PGM_RSRC2:TGID_Z_EN: 0
; COMPUTE_PGM_RSRC2:TIDIG_COMP_CNT: 0
; COMPUTE_PGM_RSRC3_GFX90A:ACCUM_OFFSET: 0
; COMPUTE_PGM_RSRC3_GFX90A:TG_SPLIT: 0
	.section	.text._ZN7rocprim17ROCPRIM_400000_NS6detail17trampoline_kernelINS0_14default_configENS1_25transform_config_selectorIiLb0EEEZNS1_14transform_implILb0ES3_S5_NS0_18transform_iteratorINS0_17counting_iteratorImlEEZNS1_24adjacent_difference_implIS3_Lb1ELb0EPiN6thrust23THRUST_200600_302600_NS16discard_iteratorINSD_11use_defaultEEENSD_5minusIiEEEE10hipError_tPvRmT2_T3_mT4_P12ihipStream_tbEUlmE_iEESB_NS0_8identityIvEEEESJ_SM_SN_mSO_SQ_bEUlT_E_NS1_11comp_targetILNS1_3genE8ELNS1_11target_archE1030ELNS1_3gpuE2ELNS1_3repE0EEENS1_30default_config_static_selectorELNS0_4arch9wavefront6targetE1EEEvT1_,"axG",@progbits,_ZN7rocprim17ROCPRIM_400000_NS6detail17trampoline_kernelINS0_14default_configENS1_25transform_config_selectorIiLb0EEEZNS1_14transform_implILb0ES3_S5_NS0_18transform_iteratorINS0_17counting_iteratorImlEEZNS1_24adjacent_difference_implIS3_Lb1ELb0EPiN6thrust23THRUST_200600_302600_NS16discard_iteratorINSD_11use_defaultEEENSD_5minusIiEEEE10hipError_tPvRmT2_T3_mT4_P12ihipStream_tbEUlmE_iEESB_NS0_8identityIvEEEESJ_SM_SN_mSO_SQ_bEUlT_E_NS1_11comp_targetILNS1_3genE8ELNS1_11target_archE1030ELNS1_3gpuE2ELNS1_3repE0EEENS1_30default_config_static_selectorELNS0_4arch9wavefront6targetE1EEEvT1_,comdat
	.protected	_ZN7rocprim17ROCPRIM_400000_NS6detail17trampoline_kernelINS0_14default_configENS1_25transform_config_selectorIiLb0EEEZNS1_14transform_implILb0ES3_S5_NS0_18transform_iteratorINS0_17counting_iteratorImlEEZNS1_24adjacent_difference_implIS3_Lb1ELb0EPiN6thrust23THRUST_200600_302600_NS16discard_iteratorINSD_11use_defaultEEENSD_5minusIiEEEE10hipError_tPvRmT2_T3_mT4_P12ihipStream_tbEUlmE_iEESB_NS0_8identityIvEEEESJ_SM_SN_mSO_SQ_bEUlT_E_NS1_11comp_targetILNS1_3genE8ELNS1_11target_archE1030ELNS1_3gpuE2ELNS1_3repE0EEENS1_30default_config_static_selectorELNS0_4arch9wavefront6targetE1EEEvT1_ ; -- Begin function _ZN7rocprim17ROCPRIM_400000_NS6detail17trampoline_kernelINS0_14default_configENS1_25transform_config_selectorIiLb0EEEZNS1_14transform_implILb0ES3_S5_NS0_18transform_iteratorINS0_17counting_iteratorImlEEZNS1_24adjacent_difference_implIS3_Lb1ELb0EPiN6thrust23THRUST_200600_302600_NS16discard_iteratorINSD_11use_defaultEEENSD_5minusIiEEEE10hipError_tPvRmT2_T3_mT4_P12ihipStream_tbEUlmE_iEESB_NS0_8identityIvEEEESJ_SM_SN_mSO_SQ_bEUlT_E_NS1_11comp_targetILNS1_3genE8ELNS1_11target_archE1030ELNS1_3gpuE2ELNS1_3repE0EEENS1_30default_config_static_selectorELNS0_4arch9wavefront6targetE1EEEvT1_
	.globl	_ZN7rocprim17ROCPRIM_400000_NS6detail17trampoline_kernelINS0_14default_configENS1_25transform_config_selectorIiLb0EEEZNS1_14transform_implILb0ES3_S5_NS0_18transform_iteratorINS0_17counting_iteratorImlEEZNS1_24adjacent_difference_implIS3_Lb1ELb0EPiN6thrust23THRUST_200600_302600_NS16discard_iteratorINSD_11use_defaultEEENSD_5minusIiEEEE10hipError_tPvRmT2_T3_mT4_P12ihipStream_tbEUlmE_iEESB_NS0_8identityIvEEEESJ_SM_SN_mSO_SQ_bEUlT_E_NS1_11comp_targetILNS1_3genE8ELNS1_11target_archE1030ELNS1_3gpuE2ELNS1_3repE0EEENS1_30default_config_static_selectorELNS0_4arch9wavefront6targetE1EEEvT1_
	.p2align	8
	.type	_ZN7rocprim17ROCPRIM_400000_NS6detail17trampoline_kernelINS0_14default_configENS1_25transform_config_selectorIiLb0EEEZNS1_14transform_implILb0ES3_S5_NS0_18transform_iteratorINS0_17counting_iteratorImlEEZNS1_24adjacent_difference_implIS3_Lb1ELb0EPiN6thrust23THRUST_200600_302600_NS16discard_iteratorINSD_11use_defaultEEENSD_5minusIiEEEE10hipError_tPvRmT2_T3_mT4_P12ihipStream_tbEUlmE_iEESB_NS0_8identityIvEEEESJ_SM_SN_mSO_SQ_bEUlT_E_NS1_11comp_targetILNS1_3genE8ELNS1_11target_archE1030ELNS1_3gpuE2ELNS1_3repE0EEENS1_30default_config_static_selectorELNS0_4arch9wavefront6targetE1EEEvT1_,@function
_ZN7rocprim17ROCPRIM_400000_NS6detail17trampoline_kernelINS0_14default_configENS1_25transform_config_selectorIiLb0EEEZNS1_14transform_implILb0ES3_S5_NS0_18transform_iteratorINS0_17counting_iteratorImlEEZNS1_24adjacent_difference_implIS3_Lb1ELb0EPiN6thrust23THRUST_200600_302600_NS16discard_iteratorINSD_11use_defaultEEENSD_5minusIiEEEE10hipError_tPvRmT2_T3_mT4_P12ihipStream_tbEUlmE_iEESB_NS0_8identityIvEEEESJ_SM_SN_mSO_SQ_bEUlT_E_NS1_11comp_targetILNS1_3genE8ELNS1_11target_archE1030ELNS1_3gpuE2ELNS1_3repE0EEENS1_30default_config_static_selectorELNS0_4arch9wavefront6targetE1EEEvT1_: ; @_ZN7rocprim17ROCPRIM_400000_NS6detail17trampoline_kernelINS0_14default_configENS1_25transform_config_selectorIiLb0EEEZNS1_14transform_implILb0ES3_S5_NS0_18transform_iteratorINS0_17counting_iteratorImlEEZNS1_24adjacent_difference_implIS3_Lb1ELb0EPiN6thrust23THRUST_200600_302600_NS16discard_iteratorINSD_11use_defaultEEENSD_5minusIiEEEE10hipError_tPvRmT2_T3_mT4_P12ihipStream_tbEUlmE_iEESB_NS0_8identityIvEEEESJ_SM_SN_mSO_SQ_bEUlT_E_NS1_11comp_targetILNS1_3genE8ELNS1_11target_archE1030ELNS1_3gpuE2ELNS1_3repE0EEENS1_30default_config_static_selectorELNS0_4arch9wavefront6targetE1EEEvT1_
; %bb.0:
	.section	.rodata,"a",@progbits
	.p2align	6, 0x0
	.amdhsa_kernel _ZN7rocprim17ROCPRIM_400000_NS6detail17trampoline_kernelINS0_14default_configENS1_25transform_config_selectorIiLb0EEEZNS1_14transform_implILb0ES3_S5_NS0_18transform_iteratorINS0_17counting_iteratorImlEEZNS1_24adjacent_difference_implIS3_Lb1ELb0EPiN6thrust23THRUST_200600_302600_NS16discard_iteratorINSD_11use_defaultEEENSD_5minusIiEEEE10hipError_tPvRmT2_T3_mT4_P12ihipStream_tbEUlmE_iEESB_NS0_8identityIvEEEESJ_SM_SN_mSO_SQ_bEUlT_E_NS1_11comp_targetILNS1_3genE8ELNS1_11target_archE1030ELNS1_3gpuE2ELNS1_3repE0EEENS1_30default_config_static_selectorELNS0_4arch9wavefront6targetE1EEEvT1_
		.amdhsa_group_segment_fixed_size 0
		.amdhsa_private_segment_fixed_size 0
		.amdhsa_kernarg_size 56
		.amdhsa_user_sgpr_count 6
		.amdhsa_user_sgpr_private_segment_buffer 1
		.amdhsa_user_sgpr_dispatch_ptr 0
		.amdhsa_user_sgpr_queue_ptr 0
		.amdhsa_user_sgpr_kernarg_segment_ptr 1
		.amdhsa_user_sgpr_dispatch_id 0
		.amdhsa_user_sgpr_flat_scratch_init 0
		.amdhsa_user_sgpr_kernarg_preload_length 0
		.amdhsa_user_sgpr_kernarg_preload_offset 0
		.amdhsa_user_sgpr_private_segment_size 0
		.amdhsa_uses_dynamic_stack 0
		.amdhsa_system_sgpr_private_segment_wavefront_offset 0
		.amdhsa_system_sgpr_workgroup_id_x 1
		.amdhsa_system_sgpr_workgroup_id_y 0
		.amdhsa_system_sgpr_workgroup_id_z 0
		.amdhsa_system_sgpr_workgroup_info 0
		.amdhsa_system_vgpr_workitem_id 0
		.amdhsa_next_free_vgpr 1
		.amdhsa_next_free_sgpr 0
		.amdhsa_accum_offset 4
		.amdhsa_reserve_vcc 0
		.amdhsa_reserve_flat_scratch 0
		.amdhsa_float_round_mode_32 0
		.amdhsa_float_round_mode_16_64 0
		.amdhsa_float_denorm_mode_32 3
		.amdhsa_float_denorm_mode_16_64 3
		.amdhsa_dx10_clamp 1
		.amdhsa_ieee_mode 1
		.amdhsa_fp16_overflow 0
		.amdhsa_tg_split 0
		.amdhsa_exception_fp_ieee_invalid_op 0
		.amdhsa_exception_fp_denorm_src 0
		.amdhsa_exception_fp_ieee_div_zero 0
		.amdhsa_exception_fp_ieee_overflow 0
		.amdhsa_exception_fp_ieee_underflow 0
		.amdhsa_exception_fp_ieee_inexact 0
		.amdhsa_exception_int_div_zero 0
	.end_amdhsa_kernel
	.section	.text._ZN7rocprim17ROCPRIM_400000_NS6detail17trampoline_kernelINS0_14default_configENS1_25transform_config_selectorIiLb0EEEZNS1_14transform_implILb0ES3_S5_NS0_18transform_iteratorINS0_17counting_iteratorImlEEZNS1_24adjacent_difference_implIS3_Lb1ELb0EPiN6thrust23THRUST_200600_302600_NS16discard_iteratorINSD_11use_defaultEEENSD_5minusIiEEEE10hipError_tPvRmT2_T3_mT4_P12ihipStream_tbEUlmE_iEESB_NS0_8identityIvEEEESJ_SM_SN_mSO_SQ_bEUlT_E_NS1_11comp_targetILNS1_3genE8ELNS1_11target_archE1030ELNS1_3gpuE2ELNS1_3repE0EEENS1_30default_config_static_selectorELNS0_4arch9wavefront6targetE1EEEvT1_,"axG",@progbits,_ZN7rocprim17ROCPRIM_400000_NS6detail17trampoline_kernelINS0_14default_configENS1_25transform_config_selectorIiLb0EEEZNS1_14transform_implILb0ES3_S5_NS0_18transform_iteratorINS0_17counting_iteratorImlEEZNS1_24adjacent_difference_implIS3_Lb1ELb0EPiN6thrust23THRUST_200600_302600_NS16discard_iteratorINSD_11use_defaultEEENSD_5minusIiEEEE10hipError_tPvRmT2_T3_mT4_P12ihipStream_tbEUlmE_iEESB_NS0_8identityIvEEEESJ_SM_SN_mSO_SQ_bEUlT_E_NS1_11comp_targetILNS1_3genE8ELNS1_11target_archE1030ELNS1_3gpuE2ELNS1_3repE0EEENS1_30default_config_static_selectorELNS0_4arch9wavefront6targetE1EEEvT1_,comdat
.Lfunc_end742:
	.size	_ZN7rocprim17ROCPRIM_400000_NS6detail17trampoline_kernelINS0_14default_configENS1_25transform_config_selectorIiLb0EEEZNS1_14transform_implILb0ES3_S5_NS0_18transform_iteratorINS0_17counting_iteratorImlEEZNS1_24adjacent_difference_implIS3_Lb1ELb0EPiN6thrust23THRUST_200600_302600_NS16discard_iteratorINSD_11use_defaultEEENSD_5minusIiEEEE10hipError_tPvRmT2_T3_mT4_P12ihipStream_tbEUlmE_iEESB_NS0_8identityIvEEEESJ_SM_SN_mSO_SQ_bEUlT_E_NS1_11comp_targetILNS1_3genE8ELNS1_11target_archE1030ELNS1_3gpuE2ELNS1_3repE0EEENS1_30default_config_static_selectorELNS0_4arch9wavefront6targetE1EEEvT1_, .Lfunc_end742-_ZN7rocprim17ROCPRIM_400000_NS6detail17trampoline_kernelINS0_14default_configENS1_25transform_config_selectorIiLb0EEEZNS1_14transform_implILb0ES3_S5_NS0_18transform_iteratorINS0_17counting_iteratorImlEEZNS1_24adjacent_difference_implIS3_Lb1ELb0EPiN6thrust23THRUST_200600_302600_NS16discard_iteratorINSD_11use_defaultEEENSD_5minusIiEEEE10hipError_tPvRmT2_T3_mT4_P12ihipStream_tbEUlmE_iEESB_NS0_8identityIvEEEESJ_SM_SN_mSO_SQ_bEUlT_E_NS1_11comp_targetILNS1_3genE8ELNS1_11target_archE1030ELNS1_3gpuE2ELNS1_3repE0EEENS1_30default_config_static_selectorELNS0_4arch9wavefront6targetE1EEEvT1_
                                        ; -- End function
	.section	.AMDGPU.csdata,"",@progbits
; Kernel info:
; codeLenInByte = 0
; NumSgprs: 4
; NumVgprs: 0
; NumAgprs: 0
; TotalNumVgprs: 0
; ScratchSize: 0
; MemoryBound: 0
; FloatMode: 240
; IeeeMode: 1
; LDSByteSize: 0 bytes/workgroup (compile time only)
; SGPRBlocks: 0
; VGPRBlocks: 0
; NumSGPRsForWavesPerEU: 4
; NumVGPRsForWavesPerEU: 1
; AccumOffset: 4
; Occupancy: 8
; WaveLimiterHint : 0
; COMPUTE_PGM_RSRC2:SCRATCH_EN: 0
; COMPUTE_PGM_RSRC2:USER_SGPR: 6
; COMPUTE_PGM_RSRC2:TRAP_HANDLER: 0
; COMPUTE_PGM_RSRC2:TGID_X_EN: 1
; COMPUTE_PGM_RSRC2:TGID_Y_EN: 0
; COMPUTE_PGM_RSRC2:TGID_Z_EN: 0
; COMPUTE_PGM_RSRC2:TIDIG_COMP_CNT: 0
; COMPUTE_PGM_RSRC3_GFX90A:ACCUM_OFFSET: 0
; COMPUTE_PGM_RSRC3_GFX90A:TG_SPLIT: 0
	.section	.text._ZN7rocprim17ROCPRIM_400000_NS6detail17trampoline_kernelINS0_14default_configENS1_35adjacent_difference_config_selectorILb1EiEEZNS1_24adjacent_difference_implIS3_Lb1ELb0EPiN6thrust23THRUST_200600_302600_NS16discard_iteratorINS9_11use_defaultEEENS9_5minusIiEEEE10hipError_tPvRmT2_T3_mT4_P12ihipStream_tbEUlT_E_NS1_11comp_targetILNS1_3genE0ELNS1_11target_archE4294967295ELNS1_3gpuE0ELNS1_3repE0EEENS1_30default_config_static_selectorELNS0_4arch9wavefront6targetE1EEEvT1_,"axG",@progbits,_ZN7rocprim17ROCPRIM_400000_NS6detail17trampoline_kernelINS0_14default_configENS1_35adjacent_difference_config_selectorILb1EiEEZNS1_24adjacent_difference_implIS3_Lb1ELb0EPiN6thrust23THRUST_200600_302600_NS16discard_iteratorINS9_11use_defaultEEENS9_5minusIiEEEE10hipError_tPvRmT2_T3_mT4_P12ihipStream_tbEUlT_E_NS1_11comp_targetILNS1_3genE0ELNS1_11target_archE4294967295ELNS1_3gpuE0ELNS1_3repE0EEENS1_30default_config_static_selectorELNS0_4arch9wavefront6targetE1EEEvT1_,comdat
	.protected	_ZN7rocprim17ROCPRIM_400000_NS6detail17trampoline_kernelINS0_14default_configENS1_35adjacent_difference_config_selectorILb1EiEEZNS1_24adjacent_difference_implIS3_Lb1ELb0EPiN6thrust23THRUST_200600_302600_NS16discard_iteratorINS9_11use_defaultEEENS9_5minusIiEEEE10hipError_tPvRmT2_T3_mT4_P12ihipStream_tbEUlT_E_NS1_11comp_targetILNS1_3genE0ELNS1_11target_archE4294967295ELNS1_3gpuE0ELNS1_3repE0EEENS1_30default_config_static_selectorELNS0_4arch9wavefront6targetE1EEEvT1_ ; -- Begin function _ZN7rocprim17ROCPRIM_400000_NS6detail17trampoline_kernelINS0_14default_configENS1_35adjacent_difference_config_selectorILb1EiEEZNS1_24adjacent_difference_implIS3_Lb1ELb0EPiN6thrust23THRUST_200600_302600_NS16discard_iteratorINS9_11use_defaultEEENS9_5minusIiEEEE10hipError_tPvRmT2_T3_mT4_P12ihipStream_tbEUlT_E_NS1_11comp_targetILNS1_3genE0ELNS1_11target_archE4294967295ELNS1_3gpuE0ELNS1_3repE0EEENS1_30default_config_static_selectorELNS0_4arch9wavefront6targetE1EEEvT1_
	.globl	_ZN7rocprim17ROCPRIM_400000_NS6detail17trampoline_kernelINS0_14default_configENS1_35adjacent_difference_config_selectorILb1EiEEZNS1_24adjacent_difference_implIS3_Lb1ELb0EPiN6thrust23THRUST_200600_302600_NS16discard_iteratorINS9_11use_defaultEEENS9_5minusIiEEEE10hipError_tPvRmT2_T3_mT4_P12ihipStream_tbEUlT_E_NS1_11comp_targetILNS1_3genE0ELNS1_11target_archE4294967295ELNS1_3gpuE0ELNS1_3repE0EEENS1_30default_config_static_selectorELNS0_4arch9wavefront6targetE1EEEvT1_
	.p2align	8
	.type	_ZN7rocprim17ROCPRIM_400000_NS6detail17trampoline_kernelINS0_14default_configENS1_35adjacent_difference_config_selectorILb1EiEEZNS1_24adjacent_difference_implIS3_Lb1ELb0EPiN6thrust23THRUST_200600_302600_NS16discard_iteratorINS9_11use_defaultEEENS9_5minusIiEEEE10hipError_tPvRmT2_T3_mT4_P12ihipStream_tbEUlT_E_NS1_11comp_targetILNS1_3genE0ELNS1_11target_archE4294967295ELNS1_3gpuE0ELNS1_3repE0EEENS1_30default_config_static_selectorELNS0_4arch9wavefront6targetE1EEEvT1_,@function
_ZN7rocprim17ROCPRIM_400000_NS6detail17trampoline_kernelINS0_14default_configENS1_35adjacent_difference_config_selectorILb1EiEEZNS1_24adjacent_difference_implIS3_Lb1ELb0EPiN6thrust23THRUST_200600_302600_NS16discard_iteratorINS9_11use_defaultEEENS9_5minusIiEEEE10hipError_tPvRmT2_T3_mT4_P12ihipStream_tbEUlT_E_NS1_11comp_targetILNS1_3genE0ELNS1_11target_archE4294967295ELNS1_3gpuE0ELNS1_3repE0EEENS1_30default_config_static_selectorELNS0_4arch9wavefront6targetE1EEEvT1_: ; @_ZN7rocprim17ROCPRIM_400000_NS6detail17trampoline_kernelINS0_14default_configENS1_35adjacent_difference_config_selectorILb1EiEEZNS1_24adjacent_difference_implIS3_Lb1ELb0EPiN6thrust23THRUST_200600_302600_NS16discard_iteratorINS9_11use_defaultEEENS9_5minusIiEEEE10hipError_tPvRmT2_T3_mT4_P12ihipStream_tbEUlT_E_NS1_11comp_targetILNS1_3genE0ELNS1_11target_archE4294967295ELNS1_3gpuE0ELNS1_3repE0EEENS1_30default_config_static_selectorELNS0_4arch9wavefront6targetE1EEEvT1_
; %bb.0:
	.section	.rodata,"a",@progbits
	.p2align	6, 0x0
	.amdhsa_kernel _ZN7rocprim17ROCPRIM_400000_NS6detail17trampoline_kernelINS0_14default_configENS1_35adjacent_difference_config_selectorILb1EiEEZNS1_24adjacent_difference_implIS3_Lb1ELb0EPiN6thrust23THRUST_200600_302600_NS16discard_iteratorINS9_11use_defaultEEENS9_5minusIiEEEE10hipError_tPvRmT2_T3_mT4_P12ihipStream_tbEUlT_E_NS1_11comp_targetILNS1_3genE0ELNS1_11target_archE4294967295ELNS1_3gpuE0ELNS1_3repE0EEENS1_30default_config_static_selectorELNS0_4arch9wavefront6targetE1EEEvT1_
		.amdhsa_group_segment_fixed_size 0
		.amdhsa_private_segment_fixed_size 0
		.amdhsa_kernarg_size 64
		.amdhsa_user_sgpr_count 6
		.amdhsa_user_sgpr_private_segment_buffer 1
		.amdhsa_user_sgpr_dispatch_ptr 0
		.amdhsa_user_sgpr_queue_ptr 0
		.amdhsa_user_sgpr_kernarg_segment_ptr 1
		.amdhsa_user_sgpr_dispatch_id 0
		.amdhsa_user_sgpr_flat_scratch_init 0
		.amdhsa_user_sgpr_kernarg_preload_length 0
		.amdhsa_user_sgpr_kernarg_preload_offset 0
		.amdhsa_user_sgpr_private_segment_size 0
		.amdhsa_uses_dynamic_stack 0
		.amdhsa_system_sgpr_private_segment_wavefront_offset 0
		.amdhsa_system_sgpr_workgroup_id_x 1
		.amdhsa_system_sgpr_workgroup_id_y 0
		.amdhsa_system_sgpr_workgroup_id_z 0
		.amdhsa_system_sgpr_workgroup_info 0
		.amdhsa_system_vgpr_workitem_id 0
		.amdhsa_next_free_vgpr 1
		.amdhsa_next_free_sgpr 0
		.amdhsa_accum_offset 4
		.amdhsa_reserve_vcc 0
		.amdhsa_reserve_flat_scratch 0
		.amdhsa_float_round_mode_32 0
		.amdhsa_float_round_mode_16_64 0
		.amdhsa_float_denorm_mode_32 3
		.amdhsa_float_denorm_mode_16_64 3
		.amdhsa_dx10_clamp 1
		.amdhsa_ieee_mode 1
		.amdhsa_fp16_overflow 0
		.amdhsa_tg_split 0
		.amdhsa_exception_fp_ieee_invalid_op 0
		.amdhsa_exception_fp_denorm_src 0
		.amdhsa_exception_fp_ieee_div_zero 0
		.amdhsa_exception_fp_ieee_overflow 0
		.amdhsa_exception_fp_ieee_underflow 0
		.amdhsa_exception_fp_ieee_inexact 0
		.amdhsa_exception_int_div_zero 0
	.end_amdhsa_kernel
	.section	.text._ZN7rocprim17ROCPRIM_400000_NS6detail17trampoline_kernelINS0_14default_configENS1_35adjacent_difference_config_selectorILb1EiEEZNS1_24adjacent_difference_implIS3_Lb1ELb0EPiN6thrust23THRUST_200600_302600_NS16discard_iteratorINS9_11use_defaultEEENS9_5minusIiEEEE10hipError_tPvRmT2_T3_mT4_P12ihipStream_tbEUlT_E_NS1_11comp_targetILNS1_3genE0ELNS1_11target_archE4294967295ELNS1_3gpuE0ELNS1_3repE0EEENS1_30default_config_static_selectorELNS0_4arch9wavefront6targetE1EEEvT1_,"axG",@progbits,_ZN7rocprim17ROCPRIM_400000_NS6detail17trampoline_kernelINS0_14default_configENS1_35adjacent_difference_config_selectorILb1EiEEZNS1_24adjacent_difference_implIS3_Lb1ELb0EPiN6thrust23THRUST_200600_302600_NS16discard_iteratorINS9_11use_defaultEEENS9_5minusIiEEEE10hipError_tPvRmT2_T3_mT4_P12ihipStream_tbEUlT_E_NS1_11comp_targetILNS1_3genE0ELNS1_11target_archE4294967295ELNS1_3gpuE0ELNS1_3repE0EEENS1_30default_config_static_selectorELNS0_4arch9wavefront6targetE1EEEvT1_,comdat
.Lfunc_end743:
	.size	_ZN7rocprim17ROCPRIM_400000_NS6detail17trampoline_kernelINS0_14default_configENS1_35adjacent_difference_config_selectorILb1EiEEZNS1_24adjacent_difference_implIS3_Lb1ELb0EPiN6thrust23THRUST_200600_302600_NS16discard_iteratorINS9_11use_defaultEEENS9_5minusIiEEEE10hipError_tPvRmT2_T3_mT4_P12ihipStream_tbEUlT_E_NS1_11comp_targetILNS1_3genE0ELNS1_11target_archE4294967295ELNS1_3gpuE0ELNS1_3repE0EEENS1_30default_config_static_selectorELNS0_4arch9wavefront6targetE1EEEvT1_, .Lfunc_end743-_ZN7rocprim17ROCPRIM_400000_NS6detail17trampoline_kernelINS0_14default_configENS1_35adjacent_difference_config_selectorILb1EiEEZNS1_24adjacent_difference_implIS3_Lb1ELb0EPiN6thrust23THRUST_200600_302600_NS16discard_iteratorINS9_11use_defaultEEENS9_5minusIiEEEE10hipError_tPvRmT2_T3_mT4_P12ihipStream_tbEUlT_E_NS1_11comp_targetILNS1_3genE0ELNS1_11target_archE4294967295ELNS1_3gpuE0ELNS1_3repE0EEENS1_30default_config_static_selectorELNS0_4arch9wavefront6targetE1EEEvT1_
                                        ; -- End function
	.section	.AMDGPU.csdata,"",@progbits
; Kernel info:
; codeLenInByte = 0
; NumSgprs: 4
; NumVgprs: 0
; NumAgprs: 0
; TotalNumVgprs: 0
; ScratchSize: 0
; MemoryBound: 0
; FloatMode: 240
; IeeeMode: 1
; LDSByteSize: 0 bytes/workgroup (compile time only)
; SGPRBlocks: 0
; VGPRBlocks: 0
; NumSGPRsForWavesPerEU: 4
; NumVGPRsForWavesPerEU: 1
; AccumOffset: 4
; Occupancy: 8
; WaveLimiterHint : 0
; COMPUTE_PGM_RSRC2:SCRATCH_EN: 0
; COMPUTE_PGM_RSRC2:USER_SGPR: 6
; COMPUTE_PGM_RSRC2:TRAP_HANDLER: 0
; COMPUTE_PGM_RSRC2:TGID_X_EN: 1
; COMPUTE_PGM_RSRC2:TGID_Y_EN: 0
; COMPUTE_PGM_RSRC2:TGID_Z_EN: 0
; COMPUTE_PGM_RSRC2:TIDIG_COMP_CNT: 0
; COMPUTE_PGM_RSRC3_GFX90A:ACCUM_OFFSET: 0
; COMPUTE_PGM_RSRC3_GFX90A:TG_SPLIT: 0
	.section	.text._ZN7rocprim17ROCPRIM_400000_NS6detail17trampoline_kernelINS0_14default_configENS1_35adjacent_difference_config_selectorILb1EiEEZNS1_24adjacent_difference_implIS3_Lb1ELb0EPiN6thrust23THRUST_200600_302600_NS16discard_iteratorINS9_11use_defaultEEENS9_5minusIiEEEE10hipError_tPvRmT2_T3_mT4_P12ihipStream_tbEUlT_E_NS1_11comp_targetILNS1_3genE10ELNS1_11target_archE1201ELNS1_3gpuE5ELNS1_3repE0EEENS1_30default_config_static_selectorELNS0_4arch9wavefront6targetE1EEEvT1_,"axG",@progbits,_ZN7rocprim17ROCPRIM_400000_NS6detail17trampoline_kernelINS0_14default_configENS1_35adjacent_difference_config_selectorILb1EiEEZNS1_24adjacent_difference_implIS3_Lb1ELb0EPiN6thrust23THRUST_200600_302600_NS16discard_iteratorINS9_11use_defaultEEENS9_5minusIiEEEE10hipError_tPvRmT2_T3_mT4_P12ihipStream_tbEUlT_E_NS1_11comp_targetILNS1_3genE10ELNS1_11target_archE1201ELNS1_3gpuE5ELNS1_3repE0EEENS1_30default_config_static_selectorELNS0_4arch9wavefront6targetE1EEEvT1_,comdat
	.protected	_ZN7rocprim17ROCPRIM_400000_NS6detail17trampoline_kernelINS0_14default_configENS1_35adjacent_difference_config_selectorILb1EiEEZNS1_24adjacent_difference_implIS3_Lb1ELb0EPiN6thrust23THRUST_200600_302600_NS16discard_iteratorINS9_11use_defaultEEENS9_5minusIiEEEE10hipError_tPvRmT2_T3_mT4_P12ihipStream_tbEUlT_E_NS1_11comp_targetILNS1_3genE10ELNS1_11target_archE1201ELNS1_3gpuE5ELNS1_3repE0EEENS1_30default_config_static_selectorELNS0_4arch9wavefront6targetE1EEEvT1_ ; -- Begin function _ZN7rocprim17ROCPRIM_400000_NS6detail17trampoline_kernelINS0_14default_configENS1_35adjacent_difference_config_selectorILb1EiEEZNS1_24adjacent_difference_implIS3_Lb1ELb0EPiN6thrust23THRUST_200600_302600_NS16discard_iteratorINS9_11use_defaultEEENS9_5minusIiEEEE10hipError_tPvRmT2_T3_mT4_P12ihipStream_tbEUlT_E_NS1_11comp_targetILNS1_3genE10ELNS1_11target_archE1201ELNS1_3gpuE5ELNS1_3repE0EEENS1_30default_config_static_selectorELNS0_4arch9wavefront6targetE1EEEvT1_
	.globl	_ZN7rocprim17ROCPRIM_400000_NS6detail17trampoline_kernelINS0_14default_configENS1_35adjacent_difference_config_selectorILb1EiEEZNS1_24adjacent_difference_implIS3_Lb1ELb0EPiN6thrust23THRUST_200600_302600_NS16discard_iteratorINS9_11use_defaultEEENS9_5minusIiEEEE10hipError_tPvRmT2_T3_mT4_P12ihipStream_tbEUlT_E_NS1_11comp_targetILNS1_3genE10ELNS1_11target_archE1201ELNS1_3gpuE5ELNS1_3repE0EEENS1_30default_config_static_selectorELNS0_4arch9wavefront6targetE1EEEvT1_
	.p2align	8
	.type	_ZN7rocprim17ROCPRIM_400000_NS6detail17trampoline_kernelINS0_14default_configENS1_35adjacent_difference_config_selectorILb1EiEEZNS1_24adjacent_difference_implIS3_Lb1ELb0EPiN6thrust23THRUST_200600_302600_NS16discard_iteratorINS9_11use_defaultEEENS9_5minusIiEEEE10hipError_tPvRmT2_T3_mT4_P12ihipStream_tbEUlT_E_NS1_11comp_targetILNS1_3genE10ELNS1_11target_archE1201ELNS1_3gpuE5ELNS1_3repE0EEENS1_30default_config_static_selectorELNS0_4arch9wavefront6targetE1EEEvT1_,@function
_ZN7rocprim17ROCPRIM_400000_NS6detail17trampoline_kernelINS0_14default_configENS1_35adjacent_difference_config_selectorILb1EiEEZNS1_24adjacent_difference_implIS3_Lb1ELb0EPiN6thrust23THRUST_200600_302600_NS16discard_iteratorINS9_11use_defaultEEENS9_5minusIiEEEE10hipError_tPvRmT2_T3_mT4_P12ihipStream_tbEUlT_E_NS1_11comp_targetILNS1_3genE10ELNS1_11target_archE1201ELNS1_3gpuE5ELNS1_3repE0EEENS1_30default_config_static_selectorELNS0_4arch9wavefront6targetE1EEEvT1_: ; @_ZN7rocprim17ROCPRIM_400000_NS6detail17trampoline_kernelINS0_14default_configENS1_35adjacent_difference_config_selectorILb1EiEEZNS1_24adjacent_difference_implIS3_Lb1ELb0EPiN6thrust23THRUST_200600_302600_NS16discard_iteratorINS9_11use_defaultEEENS9_5minusIiEEEE10hipError_tPvRmT2_T3_mT4_P12ihipStream_tbEUlT_E_NS1_11comp_targetILNS1_3genE10ELNS1_11target_archE1201ELNS1_3gpuE5ELNS1_3repE0EEENS1_30default_config_static_selectorELNS0_4arch9wavefront6targetE1EEEvT1_
; %bb.0:
	.section	.rodata,"a",@progbits
	.p2align	6, 0x0
	.amdhsa_kernel _ZN7rocprim17ROCPRIM_400000_NS6detail17trampoline_kernelINS0_14default_configENS1_35adjacent_difference_config_selectorILb1EiEEZNS1_24adjacent_difference_implIS3_Lb1ELb0EPiN6thrust23THRUST_200600_302600_NS16discard_iteratorINS9_11use_defaultEEENS9_5minusIiEEEE10hipError_tPvRmT2_T3_mT4_P12ihipStream_tbEUlT_E_NS1_11comp_targetILNS1_3genE10ELNS1_11target_archE1201ELNS1_3gpuE5ELNS1_3repE0EEENS1_30default_config_static_selectorELNS0_4arch9wavefront6targetE1EEEvT1_
		.amdhsa_group_segment_fixed_size 0
		.amdhsa_private_segment_fixed_size 0
		.amdhsa_kernarg_size 64
		.amdhsa_user_sgpr_count 6
		.amdhsa_user_sgpr_private_segment_buffer 1
		.amdhsa_user_sgpr_dispatch_ptr 0
		.amdhsa_user_sgpr_queue_ptr 0
		.amdhsa_user_sgpr_kernarg_segment_ptr 1
		.amdhsa_user_sgpr_dispatch_id 0
		.amdhsa_user_sgpr_flat_scratch_init 0
		.amdhsa_user_sgpr_kernarg_preload_length 0
		.amdhsa_user_sgpr_kernarg_preload_offset 0
		.amdhsa_user_sgpr_private_segment_size 0
		.amdhsa_uses_dynamic_stack 0
		.amdhsa_system_sgpr_private_segment_wavefront_offset 0
		.amdhsa_system_sgpr_workgroup_id_x 1
		.amdhsa_system_sgpr_workgroup_id_y 0
		.amdhsa_system_sgpr_workgroup_id_z 0
		.amdhsa_system_sgpr_workgroup_info 0
		.amdhsa_system_vgpr_workitem_id 0
		.amdhsa_next_free_vgpr 1
		.amdhsa_next_free_sgpr 0
		.amdhsa_accum_offset 4
		.amdhsa_reserve_vcc 0
		.amdhsa_reserve_flat_scratch 0
		.amdhsa_float_round_mode_32 0
		.amdhsa_float_round_mode_16_64 0
		.amdhsa_float_denorm_mode_32 3
		.amdhsa_float_denorm_mode_16_64 3
		.amdhsa_dx10_clamp 1
		.amdhsa_ieee_mode 1
		.amdhsa_fp16_overflow 0
		.amdhsa_tg_split 0
		.amdhsa_exception_fp_ieee_invalid_op 0
		.amdhsa_exception_fp_denorm_src 0
		.amdhsa_exception_fp_ieee_div_zero 0
		.amdhsa_exception_fp_ieee_overflow 0
		.amdhsa_exception_fp_ieee_underflow 0
		.amdhsa_exception_fp_ieee_inexact 0
		.amdhsa_exception_int_div_zero 0
	.end_amdhsa_kernel
	.section	.text._ZN7rocprim17ROCPRIM_400000_NS6detail17trampoline_kernelINS0_14default_configENS1_35adjacent_difference_config_selectorILb1EiEEZNS1_24adjacent_difference_implIS3_Lb1ELb0EPiN6thrust23THRUST_200600_302600_NS16discard_iteratorINS9_11use_defaultEEENS9_5minusIiEEEE10hipError_tPvRmT2_T3_mT4_P12ihipStream_tbEUlT_E_NS1_11comp_targetILNS1_3genE10ELNS1_11target_archE1201ELNS1_3gpuE5ELNS1_3repE0EEENS1_30default_config_static_selectorELNS0_4arch9wavefront6targetE1EEEvT1_,"axG",@progbits,_ZN7rocprim17ROCPRIM_400000_NS6detail17trampoline_kernelINS0_14default_configENS1_35adjacent_difference_config_selectorILb1EiEEZNS1_24adjacent_difference_implIS3_Lb1ELb0EPiN6thrust23THRUST_200600_302600_NS16discard_iteratorINS9_11use_defaultEEENS9_5minusIiEEEE10hipError_tPvRmT2_T3_mT4_P12ihipStream_tbEUlT_E_NS1_11comp_targetILNS1_3genE10ELNS1_11target_archE1201ELNS1_3gpuE5ELNS1_3repE0EEENS1_30default_config_static_selectorELNS0_4arch9wavefront6targetE1EEEvT1_,comdat
.Lfunc_end744:
	.size	_ZN7rocprim17ROCPRIM_400000_NS6detail17trampoline_kernelINS0_14default_configENS1_35adjacent_difference_config_selectorILb1EiEEZNS1_24adjacent_difference_implIS3_Lb1ELb0EPiN6thrust23THRUST_200600_302600_NS16discard_iteratorINS9_11use_defaultEEENS9_5minusIiEEEE10hipError_tPvRmT2_T3_mT4_P12ihipStream_tbEUlT_E_NS1_11comp_targetILNS1_3genE10ELNS1_11target_archE1201ELNS1_3gpuE5ELNS1_3repE0EEENS1_30default_config_static_selectorELNS0_4arch9wavefront6targetE1EEEvT1_, .Lfunc_end744-_ZN7rocprim17ROCPRIM_400000_NS6detail17trampoline_kernelINS0_14default_configENS1_35adjacent_difference_config_selectorILb1EiEEZNS1_24adjacent_difference_implIS3_Lb1ELb0EPiN6thrust23THRUST_200600_302600_NS16discard_iteratorINS9_11use_defaultEEENS9_5minusIiEEEE10hipError_tPvRmT2_T3_mT4_P12ihipStream_tbEUlT_E_NS1_11comp_targetILNS1_3genE10ELNS1_11target_archE1201ELNS1_3gpuE5ELNS1_3repE0EEENS1_30default_config_static_selectorELNS0_4arch9wavefront6targetE1EEEvT1_
                                        ; -- End function
	.section	.AMDGPU.csdata,"",@progbits
; Kernel info:
; codeLenInByte = 0
; NumSgprs: 4
; NumVgprs: 0
; NumAgprs: 0
; TotalNumVgprs: 0
; ScratchSize: 0
; MemoryBound: 0
; FloatMode: 240
; IeeeMode: 1
; LDSByteSize: 0 bytes/workgroup (compile time only)
; SGPRBlocks: 0
; VGPRBlocks: 0
; NumSGPRsForWavesPerEU: 4
; NumVGPRsForWavesPerEU: 1
; AccumOffset: 4
; Occupancy: 8
; WaveLimiterHint : 0
; COMPUTE_PGM_RSRC2:SCRATCH_EN: 0
; COMPUTE_PGM_RSRC2:USER_SGPR: 6
; COMPUTE_PGM_RSRC2:TRAP_HANDLER: 0
; COMPUTE_PGM_RSRC2:TGID_X_EN: 1
; COMPUTE_PGM_RSRC2:TGID_Y_EN: 0
; COMPUTE_PGM_RSRC2:TGID_Z_EN: 0
; COMPUTE_PGM_RSRC2:TIDIG_COMP_CNT: 0
; COMPUTE_PGM_RSRC3_GFX90A:ACCUM_OFFSET: 0
; COMPUTE_PGM_RSRC3_GFX90A:TG_SPLIT: 0
	.section	.text._ZN7rocprim17ROCPRIM_400000_NS6detail17trampoline_kernelINS0_14default_configENS1_35adjacent_difference_config_selectorILb1EiEEZNS1_24adjacent_difference_implIS3_Lb1ELb0EPiN6thrust23THRUST_200600_302600_NS16discard_iteratorINS9_11use_defaultEEENS9_5minusIiEEEE10hipError_tPvRmT2_T3_mT4_P12ihipStream_tbEUlT_E_NS1_11comp_targetILNS1_3genE5ELNS1_11target_archE942ELNS1_3gpuE9ELNS1_3repE0EEENS1_30default_config_static_selectorELNS0_4arch9wavefront6targetE1EEEvT1_,"axG",@progbits,_ZN7rocprim17ROCPRIM_400000_NS6detail17trampoline_kernelINS0_14default_configENS1_35adjacent_difference_config_selectorILb1EiEEZNS1_24adjacent_difference_implIS3_Lb1ELb0EPiN6thrust23THRUST_200600_302600_NS16discard_iteratorINS9_11use_defaultEEENS9_5minusIiEEEE10hipError_tPvRmT2_T3_mT4_P12ihipStream_tbEUlT_E_NS1_11comp_targetILNS1_3genE5ELNS1_11target_archE942ELNS1_3gpuE9ELNS1_3repE0EEENS1_30default_config_static_selectorELNS0_4arch9wavefront6targetE1EEEvT1_,comdat
	.protected	_ZN7rocprim17ROCPRIM_400000_NS6detail17trampoline_kernelINS0_14default_configENS1_35adjacent_difference_config_selectorILb1EiEEZNS1_24adjacent_difference_implIS3_Lb1ELb0EPiN6thrust23THRUST_200600_302600_NS16discard_iteratorINS9_11use_defaultEEENS9_5minusIiEEEE10hipError_tPvRmT2_T3_mT4_P12ihipStream_tbEUlT_E_NS1_11comp_targetILNS1_3genE5ELNS1_11target_archE942ELNS1_3gpuE9ELNS1_3repE0EEENS1_30default_config_static_selectorELNS0_4arch9wavefront6targetE1EEEvT1_ ; -- Begin function _ZN7rocprim17ROCPRIM_400000_NS6detail17trampoline_kernelINS0_14default_configENS1_35adjacent_difference_config_selectorILb1EiEEZNS1_24adjacent_difference_implIS3_Lb1ELb0EPiN6thrust23THRUST_200600_302600_NS16discard_iteratorINS9_11use_defaultEEENS9_5minusIiEEEE10hipError_tPvRmT2_T3_mT4_P12ihipStream_tbEUlT_E_NS1_11comp_targetILNS1_3genE5ELNS1_11target_archE942ELNS1_3gpuE9ELNS1_3repE0EEENS1_30default_config_static_selectorELNS0_4arch9wavefront6targetE1EEEvT1_
	.globl	_ZN7rocprim17ROCPRIM_400000_NS6detail17trampoline_kernelINS0_14default_configENS1_35adjacent_difference_config_selectorILb1EiEEZNS1_24adjacent_difference_implIS3_Lb1ELb0EPiN6thrust23THRUST_200600_302600_NS16discard_iteratorINS9_11use_defaultEEENS9_5minusIiEEEE10hipError_tPvRmT2_T3_mT4_P12ihipStream_tbEUlT_E_NS1_11comp_targetILNS1_3genE5ELNS1_11target_archE942ELNS1_3gpuE9ELNS1_3repE0EEENS1_30default_config_static_selectorELNS0_4arch9wavefront6targetE1EEEvT1_
	.p2align	8
	.type	_ZN7rocprim17ROCPRIM_400000_NS6detail17trampoline_kernelINS0_14default_configENS1_35adjacent_difference_config_selectorILb1EiEEZNS1_24adjacent_difference_implIS3_Lb1ELb0EPiN6thrust23THRUST_200600_302600_NS16discard_iteratorINS9_11use_defaultEEENS9_5minusIiEEEE10hipError_tPvRmT2_T3_mT4_P12ihipStream_tbEUlT_E_NS1_11comp_targetILNS1_3genE5ELNS1_11target_archE942ELNS1_3gpuE9ELNS1_3repE0EEENS1_30default_config_static_selectorELNS0_4arch9wavefront6targetE1EEEvT1_,@function
_ZN7rocprim17ROCPRIM_400000_NS6detail17trampoline_kernelINS0_14default_configENS1_35adjacent_difference_config_selectorILb1EiEEZNS1_24adjacent_difference_implIS3_Lb1ELb0EPiN6thrust23THRUST_200600_302600_NS16discard_iteratorINS9_11use_defaultEEENS9_5minusIiEEEE10hipError_tPvRmT2_T3_mT4_P12ihipStream_tbEUlT_E_NS1_11comp_targetILNS1_3genE5ELNS1_11target_archE942ELNS1_3gpuE9ELNS1_3repE0EEENS1_30default_config_static_selectorELNS0_4arch9wavefront6targetE1EEEvT1_: ; @_ZN7rocprim17ROCPRIM_400000_NS6detail17trampoline_kernelINS0_14default_configENS1_35adjacent_difference_config_selectorILb1EiEEZNS1_24adjacent_difference_implIS3_Lb1ELb0EPiN6thrust23THRUST_200600_302600_NS16discard_iteratorINS9_11use_defaultEEENS9_5minusIiEEEE10hipError_tPvRmT2_T3_mT4_P12ihipStream_tbEUlT_E_NS1_11comp_targetILNS1_3genE5ELNS1_11target_archE942ELNS1_3gpuE9ELNS1_3repE0EEENS1_30default_config_static_selectorELNS0_4arch9wavefront6targetE1EEEvT1_
; %bb.0:
	.section	.rodata,"a",@progbits
	.p2align	6, 0x0
	.amdhsa_kernel _ZN7rocprim17ROCPRIM_400000_NS6detail17trampoline_kernelINS0_14default_configENS1_35adjacent_difference_config_selectorILb1EiEEZNS1_24adjacent_difference_implIS3_Lb1ELb0EPiN6thrust23THRUST_200600_302600_NS16discard_iteratorINS9_11use_defaultEEENS9_5minusIiEEEE10hipError_tPvRmT2_T3_mT4_P12ihipStream_tbEUlT_E_NS1_11comp_targetILNS1_3genE5ELNS1_11target_archE942ELNS1_3gpuE9ELNS1_3repE0EEENS1_30default_config_static_selectorELNS0_4arch9wavefront6targetE1EEEvT1_
		.amdhsa_group_segment_fixed_size 0
		.amdhsa_private_segment_fixed_size 0
		.amdhsa_kernarg_size 64
		.amdhsa_user_sgpr_count 6
		.amdhsa_user_sgpr_private_segment_buffer 1
		.amdhsa_user_sgpr_dispatch_ptr 0
		.amdhsa_user_sgpr_queue_ptr 0
		.amdhsa_user_sgpr_kernarg_segment_ptr 1
		.amdhsa_user_sgpr_dispatch_id 0
		.amdhsa_user_sgpr_flat_scratch_init 0
		.amdhsa_user_sgpr_kernarg_preload_length 0
		.amdhsa_user_sgpr_kernarg_preload_offset 0
		.amdhsa_user_sgpr_private_segment_size 0
		.amdhsa_uses_dynamic_stack 0
		.amdhsa_system_sgpr_private_segment_wavefront_offset 0
		.amdhsa_system_sgpr_workgroup_id_x 1
		.amdhsa_system_sgpr_workgroup_id_y 0
		.amdhsa_system_sgpr_workgroup_id_z 0
		.amdhsa_system_sgpr_workgroup_info 0
		.amdhsa_system_vgpr_workitem_id 0
		.amdhsa_next_free_vgpr 1
		.amdhsa_next_free_sgpr 0
		.amdhsa_accum_offset 4
		.amdhsa_reserve_vcc 0
		.amdhsa_reserve_flat_scratch 0
		.amdhsa_float_round_mode_32 0
		.amdhsa_float_round_mode_16_64 0
		.amdhsa_float_denorm_mode_32 3
		.amdhsa_float_denorm_mode_16_64 3
		.amdhsa_dx10_clamp 1
		.amdhsa_ieee_mode 1
		.amdhsa_fp16_overflow 0
		.amdhsa_tg_split 0
		.amdhsa_exception_fp_ieee_invalid_op 0
		.amdhsa_exception_fp_denorm_src 0
		.amdhsa_exception_fp_ieee_div_zero 0
		.amdhsa_exception_fp_ieee_overflow 0
		.amdhsa_exception_fp_ieee_underflow 0
		.amdhsa_exception_fp_ieee_inexact 0
		.amdhsa_exception_int_div_zero 0
	.end_amdhsa_kernel
	.section	.text._ZN7rocprim17ROCPRIM_400000_NS6detail17trampoline_kernelINS0_14default_configENS1_35adjacent_difference_config_selectorILb1EiEEZNS1_24adjacent_difference_implIS3_Lb1ELb0EPiN6thrust23THRUST_200600_302600_NS16discard_iteratorINS9_11use_defaultEEENS9_5minusIiEEEE10hipError_tPvRmT2_T3_mT4_P12ihipStream_tbEUlT_E_NS1_11comp_targetILNS1_3genE5ELNS1_11target_archE942ELNS1_3gpuE9ELNS1_3repE0EEENS1_30default_config_static_selectorELNS0_4arch9wavefront6targetE1EEEvT1_,"axG",@progbits,_ZN7rocprim17ROCPRIM_400000_NS6detail17trampoline_kernelINS0_14default_configENS1_35adjacent_difference_config_selectorILb1EiEEZNS1_24adjacent_difference_implIS3_Lb1ELb0EPiN6thrust23THRUST_200600_302600_NS16discard_iteratorINS9_11use_defaultEEENS9_5minusIiEEEE10hipError_tPvRmT2_T3_mT4_P12ihipStream_tbEUlT_E_NS1_11comp_targetILNS1_3genE5ELNS1_11target_archE942ELNS1_3gpuE9ELNS1_3repE0EEENS1_30default_config_static_selectorELNS0_4arch9wavefront6targetE1EEEvT1_,comdat
.Lfunc_end745:
	.size	_ZN7rocprim17ROCPRIM_400000_NS6detail17trampoline_kernelINS0_14default_configENS1_35adjacent_difference_config_selectorILb1EiEEZNS1_24adjacent_difference_implIS3_Lb1ELb0EPiN6thrust23THRUST_200600_302600_NS16discard_iteratorINS9_11use_defaultEEENS9_5minusIiEEEE10hipError_tPvRmT2_T3_mT4_P12ihipStream_tbEUlT_E_NS1_11comp_targetILNS1_3genE5ELNS1_11target_archE942ELNS1_3gpuE9ELNS1_3repE0EEENS1_30default_config_static_selectorELNS0_4arch9wavefront6targetE1EEEvT1_, .Lfunc_end745-_ZN7rocprim17ROCPRIM_400000_NS6detail17trampoline_kernelINS0_14default_configENS1_35adjacent_difference_config_selectorILb1EiEEZNS1_24adjacent_difference_implIS3_Lb1ELb0EPiN6thrust23THRUST_200600_302600_NS16discard_iteratorINS9_11use_defaultEEENS9_5minusIiEEEE10hipError_tPvRmT2_T3_mT4_P12ihipStream_tbEUlT_E_NS1_11comp_targetILNS1_3genE5ELNS1_11target_archE942ELNS1_3gpuE9ELNS1_3repE0EEENS1_30default_config_static_selectorELNS0_4arch9wavefront6targetE1EEEvT1_
                                        ; -- End function
	.section	.AMDGPU.csdata,"",@progbits
; Kernel info:
; codeLenInByte = 0
; NumSgprs: 4
; NumVgprs: 0
; NumAgprs: 0
; TotalNumVgprs: 0
; ScratchSize: 0
; MemoryBound: 0
; FloatMode: 240
; IeeeMode: 1
; LDSByteSize: 0 bytes/workgroup (compile time only)
; SGPRBlocks: 0
; VGPRBlocks: 0
; NumSGPRsForWavesPerEU: 4
; NumVGPRsForWavesPerEU: 1
; AccumOffset: 4
; Occupancy: 8
; WaveLimiterHint : 0
; COMPUTE_PGM_RSRC2:SCRATCH_EN: 0
; COMPUTE_PGM_RSRC2:USER_SGPR: 6
; COMPUTE_PGM_RSRC2:TRAP_HANDLER: 0
; COMPUTE_PGM_RSRC2:TGID_X_EN: 1
; COMPUTE_PGM_RSRC2:TGID_Y_EN: 0
; COMPUTE_PGM_RSRC2:TGID_Z_EN: 0
; COMPUTE_PGM_RSRC2:TIDIG_COMP_CNT: 0
; COMPUTE_PGM_RSRC3_GFX90A:ACCUM_OFFSET: 0
; COMPUTE_PGM_RSRC3_GFX90A:TG_SPLIT: 0
	.section	.text._ZN7rocprim17ROCPRIM_400000_NS6detail17trampoline_kernelINS0_14default_configENS1_35adjacent_difference_config_selectorILb1EiEEZNS1_24adjacent_difference_implIS3_Lb1ELb0EPiN6thrust23THRUST_200600_302600_NS16discard_iteratorINS9_11use_defaultEEENS9_5minusIiEEEE10hipError_tPvRmT2_T3_mT4_P12ihipStream_tbEUlT_E_NS1_11comp_targetILNS1_3genE4ELNS1_11target_archE910ELNS1_3gpuE8ELNS1_3repE0EEENS1_30default_config_static_selectorELNS0_4arch9wavefront6targetE1EEEvT1_,"axG",@progbits,_ZN7rocprim17ROCPRIM_400000_NS6detail17trampoline_kernelINS0_14default_configENS1_35adjacent_difference_config_selectorILb1EiEEZNS1_24adjacent_difference_implIS3_Lb1ELb0EPiN6thrust23THRUST_200600_302600_NS16discard_iteratorINS9_11use_defaultEEENS9_5minusIiEEEE10hipError_tPvRmT2_T3_mT4_P12ihipStream_tbEUlT_E_NS1_11comp_targetILNS1_3genE4ELNS1_11target_archE910ELNS1_3gpuE8ELNS1_3repE0EEENS1_30default_config_static_selectorELNS0_4arch9wavefront6targetE1EEEvT1_,comdat
	.protected	_ZN7rocprim17ROCPRIM_400000_NS6detail17trampoline_kernelINS0_14default_configENS1_35adjacent_difference_config_selectorILb1EiEEZNS1_24adjacent_difference_implIS3_Lb1ELb0EPiN6thrust23THRUST_200600_302600_NS16discard_iteratorINS9_11use_defaultEEENS9_5minusIiEEEE10hipError_tPvRmT2_T3_mT4_P12ihipStream_tbEUlT_E_NS1_11comp_targetILNS1_3genE4ELNS1_11target_archE910ELNS1_3gpuE8ELNS1_3repE0EEENS1_30default_config_static_selectorELNS0_4arch9wavefront6targetE1EEEvT1_ ; -- Begin function _ZN7rocprim17ROCPRIM_400000_NS6detail17trampoline_kernelINS0_14default_configENS1_35adjacent_difference_config_selectorILb1EiEEZNS1_24adjacent_difference_implIS3_Lb1ELb0EPiN6thrust23THRUST_200600_302600_NS16discard_iteratorINS9_11use_defaultEEENS9_5minusIiEEEE10hipError_tPvRmT2_T3_mT4_P12ihipStream_tbEUlT_E_NS1_11comp_targetILNS1_3genE4ELNS1_11target_archE910ELNS1_3gpuE8ELNS1_3repE0EEENS1_30default_config_static_selectorELNS0_4arch9wavefront6targetE1EEEvT1_
	.globl	_ZN7rocprim17ROCPRIM_400000_NS6detail17trampoline_kernelINS0_14default_configENS1_35adjacent_difference_config_selectorILb1EiEEZNS1_24adjacent_difference_implIS3_Lb1ELb0EPiN6thrust23THRUST_200600_302600_NS16discard_iteratorINS9_11use_defaultEEENS9_5minusIiEEEE10hipError_tPvRmT2_T3_mT4_P12ihipStream_tbEUlT_E_NS1_11comp_targetILNS1_3genE4ELNS1_11target_archE910ELNS1_3gpuE8ELNS1_3repE0EEENS1_30default_config_static_selectorELNS0_4arch9wavefront6targetE1EEEvT1_
	.p2align	8
	.type	_ZN7rocprim17ROCPRIM_400000_NS6detail17trampoline_kernelINS0_14default_configENS1_35adjacent_difference_config_selectorILb1EiEEZNS1_24adjacent_difference_implIS3_Lb1ELb0EPiN6thrust23THRUST_200600_302600_NS16discard_iteratorINS9_11use_defaultEEENS9_5minusIiEEEE10hipError_tPvRmT2_T3_mT4_P12ihipStream_tbEUlT_E_NS1_11comp_targetILNS1_3genE4ELNS1_11target_archE910ELNS1_3gpuE8ELNS1_3repE0EEENS1_30default_config_static_selectorELNS0_4arch9wavefront6targetE1EEEvT1_,@function
_ZN7rocprim17ROCPRIM_400000_NS6detail17trampoline_kernelINS0_14default_configENS1_35adjacent_difference_config_selectorILb1EiEEZNS1_24adjacent_difference_implIS3_Lb1ELb0EPiN6thrust23THRUST_200600_302600_NS16discard_iteratorINS9_11use_defaultEEENS9_5minusIiEEEE10hipError_tPvRmT2_T3_mT4_P12ihipStream_tbEUlT_E_NS1_11comp_targetILNS1_3genE4ELNS1_11target_archE910ELNS1_3gpuE8ELNS1_3repE0EEENS1_30default_config_static_selectorELNS0_4arch9wavefront6targetE1EEEvT1_: ; @_ZN7rocprim17ROCPRIM_400000_NS6detail17trampoline_kernelINS0_14default_configENS1_35adjacent_difference_config_selectorILb1EiEEZNS1_24adjacent_difference_implIS3_Lb1ELb0EPiN6thrust23THRUST_200600_302600_NS16discard_iteratorINS9_11use_defaultEEENS9_5minusIiEEEE10hipError_tPvRmT2_T3_mT4_P12ihipStream_tbEUlT_E_NS1_11comp_targetILNS1_3genE4ELNS1_11target_archE910ELNS1_3gpuE8ELNS1_3repE0EEENS1_30default_config_static_selectorELNS0_4arch9wavefront6targetE1EEEvT1_
; %bb.0:
	s_load_dwordx4 s[0:3], s[4:5], 0x0
	s_load_dwordx2 s[12:13], s[4:5], 0x20
	s_load_dwordx4 s[8:11], s[4:5], 0x30
	s_mul_i32 s4, s6, 0xa00
	s_mov_b32 s7, 0
	s_waitcnt lgkmcnt(0)
	s_lshl_b64 s[2:3], s[2:3], 2
	s_add_u32 s18, s0, s2
	s_addc_u32 s19, s1, s3
	s_mov_b32 s0, 0x59999780
	s_add_u32 s0, 0xe0, s0
	s_addc_u32 s3, 0, 0
	v_add_co_u32_e64 v1, s[0:1], s0, 2.0
	s_cmp_lg_u64 s[0:1], 0
	s_addc_u32 s0, s3, 0x199999
	v_readfirstlane_b32 s3, v1
	s_mul_hi_u32 s14, s3, 0xfffff600
	s_mul_i32 s1, s0, 0xfffff600
	s_sub_i32 s14, s14, s3
	s_add_i32 s14, s14, s1
	s_mul_i32 s16, s3, 0xfffff600
	s_mul_hi_u32 s1, s3, s14
	s_mul_i32 s15, s3, s14
	s_mul_hi_u32 s3, s3, s16
	s_add_u32 s3, s3, s15
	s_addc_u32 s1, 0, s1
	s_mul_hi_u32 s17, s0, s16
	s_mul_i32 s16, s0, s16
	s_add_u32 s3, s3, s16
	s_mul_hi_u32 s15, s0, s14
	s_addc_u32 s1, s1, s17
	s_addc_u32 s3, s15, 0
	s_mul_i32 s14, s0, s14
	s_add_u32 s1, s1, s14
	s_addc_u32 s3, 0, s3
	v_add_co_u32_e32 v1, vcc, s1, v1
	s_cmp_lg_u64 vcc, 0
	s_addc_u32 s0, s0, s3
	v_readfirstlane_b32 s14, v1
	s_mul_i32 s3, s12, s0
	s_mul_hi_u32 s15, s12, s14
	s_mul_hi_u32 s1, s12, s0
	s_add_u32 s3, s15, s3
	s_addc_u32 s1, 0, s1
	s_mul_hi_u32 s16, s13, s14
	s_mul_i32 s14, s13, s14
	s_add_u32 s3, s3, s14
	s_mul_hi_u32 s15, s13, s0
	s_addc_u32 s1, s1, s16
	s_addc_u32 s3, s15, 0
	s_mul_i32 s0, s13, s0
	s_add_u32 s0, s1, s0
	s_addc_u32 s1, 0, s3
	s_add_u32 s3, s0, 1
	s_addc_u32 s14, s1, 0
	s_add_u32 s15, s0, 2
	s_mul_i32 s17, s1, 0xa00
	s_mul_hi_u32 s20, s0, 0xa00
	s_addc_u32 s16, s1, 0
	s_add_i32 s20, s20, s17
	s_mul_i32 s17, s0, 0xa00
	v_mov_b32_e32 v1, s17
	v_sub_co_u32_e32 v1, vcc, s12, v1
	s_movk_i32 s2, 0xa00
	s_cmp_lg_u64 vcc, 0
	s_subb_u32 s17, s13, s20
	v_subrev_co_u32_e32 v2, vcc, s2, v1
	s_cmp_lg_u64 vcc, 0
	s_subb_u32 s2, s17, 0
	v_readfirstlane_b32 s20, v2
	s_cmpk_gt_u32 s20, 0x9ff
	s_cselect_b32 s20, -1, 0
	s_cmp_eq_u32 s2, 0
	s_cselect_b32 s2, s20, -1
	s_cmp_lg_u32 s2, 0
	s_cselect_b32 s2, s15, s3
	s_cselect_b32 s3, s16, s14
	v_readfirstlane_b32 s14, v1
	s_cmpk_gt_u32 s14, 0x9ff
	s_cselect_b32 s14, -1, 0
	s_cmp_eq_u32 s17, 0
	s_cselect_b32 s14, s14, -1
	s_cmp_lg_u32 s14, 0
	s_cselect_b32 s3, s3, s1
	s_cselect_b32 s2, s2, s0
	s_mul_i32 s0, s3, 0xa00
	s_mul_hi_u32 s1, s2, 0xa00
	s_add_i32 s1, s1, s0
	s_mul_i32 s0, s2, 0xa00
	s_sub_u32 s0, s12, s0
	s_subb_u32 s1, s13, s1
	s_cmp_lg_u64 s[0:1], 0
	s_cselect_b64 s[0:1], -1, 0
	v_cndmask_b32_e64 v1, 0, 1, s[0:1]
	v_mov_b32_e32 v2, s3
	v_add_co_u32_e32 v8, vcc, s2, v1
	v_addc_co_u32_e32 v9, vcc, 0, v2, vcc
	s_add_u32 s2, s10, s6
	v_add_co_u32_e32 v10, vcc, -1, v8
	s_addc_u32 s3, s11, 0
	v_addc_co_u32_e32 v11, vcc, -1, v9, vcc
	v_cmp_ge_u64_e64 s[0:1], s[2:3], v[10:11]
	s_movk_i32 s5, 0xf600
	s_mov_b64 s[14:15], -1
	s_and_b64 vcc, exec, s[0:1]
	s_cbranch_vccz .LBB746_12
; %bb.1:
	v_mul_lo_u32 v1, v10, s5
	s_mov_b32 s5, s7
	s_lshl_b64 s[14:15], s[4:5], 2
	v_add_u32_e32 v1, s12, v1
	s_add_u32 s14, s18, s14
	s_addc_u32 s15, s19, s15
	v_cmp_lt_u32_e32 vcc, v0, v1
                                        ; implicit-def: $vgpr2_vgpr3_vgpr4_vgpr5_vgpr6
	s_and_saveexec_b64 s[16:17], vcc
	s_cbranch_execz .LBB746_3
; %bb.2:
	v_lshlrev_b32_e32 v2, 2, v0
	global_load_dword v2, v2, s[14:15]
.LBB746_3:
	s_or_b64 exec, exec, s[16:17]
	v_or_b32_e32 v7, 0x200, v0
	v_cmp_lt_u32_e32 vcc, v7, v1
	s_and_saveexec_b64 s[16:17], vcc
	s_cbranch_execz .LBB746_5
; %bb.4:
	v_lshlrev_b32_e32 v3, 2, v0
	global_load_dword v3, v3, s[14:15] offset:2048
.LBB746_5:
	s_or_b64 exec, exec, s[16:17]
	v_or_b32_e32 v7, 0x400, v0
	v_cmp_lt_u32_e32 vcc, v7, v1
	s_and_saveexec_b64 s[16:17], vcc
	s_cbranch_execz .LBB746_7
; %bb.6:
	v_lshlrev_b32_e32 v4, 2, v7
	global_load_dword v4, v4, s[14:15]
.LBB746_7:
	s_or_b64 exec, exec, s[16:17]
	v_or_b32_e32 v7, 0x600, v0
	v_cmp_lt_u32_e32 vcc, v7, v1
	s_and_saveexec_b64 s[16:17], vcc
	s_cbranch_execz .LBB746_9
; %bb.8:
	v_lshlrev_b32_e32 v5, 2, v7
	global_load_dword v5, v5, s[14:15]
.LBB746_9:
	;; [unrolled: 9-line block ×3, first 2 shown]
	s_or_b64 exec, exec, s[16:17]
	v_lshlrev_b32_e32 v1, 2, v0
	s_mov_b64 s[14:15], 0
	s_waitcnt vmcnt(0)
	ds_write2st64_b32 v1, v2, v3 offset1:8
	ds_write2st64_b32 v1, v4, v5 offset0:16 offset1:24
	ds_write_b32 v1, v6 offset:8192
	s_waitcnt lgkmcnt(0)
	s_barrier
.LBB746_12:
	s_and_b64 vcc, exec, s[14:15]
	v_lshlrev_b32_e32 v12, 2, v0
	s_cbranch_vccz .LBB746_14
; %bb.13:
	s_mov_b32 s5, 0
	s_lshl_b64 s[4:5], s[4:5], 2
	s_add_u32 s4, s18, s4
	s_addc_u32 s5, s19, s5
	v_mov_b32_e32 v1, s5
	v_add_co_u32_e32 v4, vcc, s4, v12
	v_addc_co_u32_e32 v1, vcc, 0, v1, vcc
	v_add_co_u32_e32 v2, vcc, 0x1000, v4
	v_addc_co_u32_e32 v3, vcc, 0, v1, vcc
	global_load_dword v5, v12, s[4:5]
	global_load_dword v6, v12, s[4:5] offset:2048
	global_load_dword v7, v[2:3], off
	global_load_dword v13, v[2:3], off offset:2048
	v_add_co_u32_e32 v2, vcc, 0x2000, v4
	v_addc_co_u32_e32 v3, vcc, 0, v1, vcc
	global_load_dword v1, v[2:3], off
	s_waitcnt vmcnt(3)
	ds_write2st64_b32 v12, v5, v6 offset1:8
	s_waitcnt vmcnt(1)
	ds_write2st64_b32 v12, v7, v13 offset0:16 offset1:24
	s_waitcnt vmcnt(0)
	ds_write_b32 v12, v1 offset:8192
	s_waitcnt lgkmcnt(0)
	s_barrier
.LBB746_14:
	v_mul_u32_u24_e32 v1, 5, v0
	v_lshlrev_b32_e32 v1, 2, v1
	ds_read_b32 v2, v1
	ds_read2_b32 v[4:5], v1 offset0:1 offset1:2
	ds_read2_b32 v[6:7], v1 offset0:3 offset1:4
	s_cmp_eq_u64 s[2:3], 0
	s_waitcnt lgkmcnt(0)
	s_barrier
	s_cbranch_scc1 .LBB746_19
; %bb.15:
	s_lshl_b64 s[4:5], s[10:11], 2
	s_add_u32 s8, s8, s4
	s_addc_u32 s9, s9, s5
	s_lshl_b64 s[4:5], s[6:7], 2
	s_add_u32 s4, s8, s4
	s_addc_u32 s5, s9, s5
	s_add_u32 s4, s4, -4
	s_addc_u32 s5, s5, -1
	s_load_dword s6, s[4:5], 0x0
	v_cmp_eq_u64_e32 vcc, s[2:3], v[10:11]
	s_cbranch_vccnz .LBB746_21
; %bb.16:
	v_cmp_ne_u32_e32 vcc, 0, v0
	s_waitcnt lgkmcnt(0)
	v_mov_b32_e32 v13, s6
	v_mov_b32_e32 v14, 0
	ds_write_b32 v12, v7
	s_waitcnt lgkmcnt(0)
	s_barrier
	s_and_saveexec_b64 s[4:5], vcc
	s_cbranch_execz .LBB746_18
; %bb.17:
	v_add_u32_e32 v1, -4, v12
	ds_read_b32 v13, v1
	v_mov_b32_e32 v14, v0
.LBB746_18:
	s_or_b64 exec, exec, s[4:5]
	v_sub_u32_e32 v1, v7, v6
	v_sub_u32_e32 v3, v6, v5
	;; [unrolled: 1-line block ×4, first 2 shown]
	s_cbranch_execz .LBB746_22
	s_branch .LBB746_25
.LBB746_19:
	s_mov_b64 s[4:5], 0
                                        ; implicit-def: $vgpr1
                                        ; implicit-def: $vgpr3
                                        ; implicit-def: $vgpr10
                                        ; implicit-def: $vgpr11
                                        ; implicit-def: $vgpr13
                                        ; implicit-def: $vgpr14
	s_branch .LBB746_26
.LBB746_20:
                                        ; implicit-def: $vgpr8
	s_and_saveexec_b64 s[2:3], s[4:5]
	s_cbranch_execnz .LBB746_35
	s_branch .LBB746_36
.LBB746_21:
                                        ; implicit-def: $vgpr1
                                        ; implicit-def: $vgpr3
                                        ; implicit-def: $vgpr10
                                        ; implicit-def: $vgpr11
                                        ; implicit-def: $vgpr13
                                        ; implicit-def: $vgpr14
.LBB746_22:
	s_waitcnt lgkmcnt(0)
	v_mul_u32_u24_e32 v13, 5, v0
	v_cmp_ne_u32_e32 vcc, 0, v0
	v_mov_b32_e32 v14, s6
	ds_write_b32 v12, v7
	s_waitcnt lgkmcnt(0)
	s_barrier
	s_and_saveexec_b64 s[4:5], vcc
	s_cbranch_execz .LBB746_24
; %bb.23:
	v_add_u32_e32 v1, -4, v12
	ds_read_b32 v14, v1
.LBB746_24:
	s_or_b64 exec, exec, s[4:5]
	s_mulk_i32 s2, 0xf600
	s_add_i32 s2, s2, s12
	v_add_u32_e32 v1, 4, v13
	v_sub_u32_e32 v3, v7, v6
	v_cmp_gt_u32_e32 vcc, s2, v1
	v_cndmask_b32_e32 v1, v7, v3, vcc
	v_add_u32_e32 v3, 3, v13
	v_sub_u32_e32 v10, v6, v5
	v_cmp_gt_u32_e32 vcc, s2, v3
	v_cndmask_b32_e32 v3, v6, v10, vcc
	;; [unrolled: 4-line block ×4, first 2 shown]
	v_cmp_gt_u32_e32 vcc, s2, v13
	s_waitcnt lgkmcnt(0)
	v_cndmask_b32_e32 v13, 0, v14, vcc
	v_mov_b32_e32 v14, v0
.LBB746_25:
	s_mov_b64 s[4:5], -1
	s_cbranch_execnz .LBB746_20
.LBB746_26:
	v_cmp_ne_u64_e32 vcc, 1, v[8:9]
	s_and_b64 vcc, exec, vcc
	v_sub_u32_e32 v3, v6, v5
	v_sub_u32_e32 v1, v7, v6
	v_sub_u32_e32 v11, v4, v2
	v_sub_u32_e32 v10, v5, v4
	v_cmp_ne_u32_e64 s[2:3], 0, v0
	s_cbranch_vccz .LBB746_31
; %bb.27:
	s_mov_b32 s8, 0
	ds_write_b32 v12, v7
	s_waitcnt lgkmcnt(0)
	s_barrier
	s_waitcnt lgkmcnt(0)
                                        ; implicit-def: $vgpr13
                                        ; implicit-def: $vgpr14
	s_and_saveexec_b64 s[6:7], s[2:3]
	s_cbranch_execz .LBB746_29
; %bb.28:
	v_add_u32_e32 v8, -4, v12
	ds_read_b32 v13, v8
	s_or_b64 s[4:5], s[4:5], exec
	v_mov_b32_e32 v14, v0
.LBB746_29:
	s_or_b64 exec, exec, s[6:7]
.LBB746_30:
	v_mov_b32_e32 v8, s8
	s_and_saveexec_b64 s[2:3], s[4:5]
	s_cbranch_execnz .LBB746_35
	s_branch .LBB746_36
.LBB746_31:
                                        ; implicit-def: $vgpr13
                                        ; implicit-def: $vgpr14
                                        ; implicit-def: $sgpr8
	s_cbranch_execz .LBB746_30
; %bb.32:
	v_mad_u32_u24 v9, v0, 5, 4
	v_cmp_gt_u32_e32 vcc, s12, v9
	ds_write_b32 v12, v7
	v_cndmask_b32_e32 v1, v7, v1, vcc
	v_mad_u32_u24 v7, v0, 5, 3
	v_cmp_gt_u32_e32 vcc, s12, v7
	v_cndmask_b32_e32 v3, v6, v3, vcc
	v_mad_u32_u24 v6, v0, 5, 2
	v_cmp_gt_u32_e32 vcc, s12, v6
	v_cndmask_b32_e32 v10, v5, v10, vcc
	v_mad_u32_u24 v5, v0, 5, 1
	v_mul_u32_u24_e32 v8, 5, v0
	v_cmp_gt_u32_e32 vcc, s12, v5
	v_cndmask_b32_e32 v11, v4, v11, vcc
	v_cmp_ne_u32_e32 vcc, 0, v0
	v_cmp_gt_u32_e64 s[2:3], s12, v8
	s_waitcnt lgkmcnt(0)
	s_and_b64 s[6:7], vcc, s[2:3]
	s_barrier
	s_waitcnt lgkmcnt(0)
                                        ; implicit-def: $vgpr13
	s_and_saveexec_b64 s[2:3], s[6:7]
	s_cbranch_execz .LBB746_34
; %bb.33:
	v_add_u32_e32 v4, -4, v12
	ds_read_b32 v13, v4
	s_or_b64 s[4:5], s[4:5], exec
.LBB746_34:
	s_or_b64 exec, exec, s[2:3]
	v_mov_b32_e32 v14, v0
	v_mov_b32_e32 v8, v0
	s_and_saveexec_b64 s[2:3], s[4:5]
	s_cbranch_execz .LBB746_36
.LBB746_35:
	s_waitcnt lgkmcnt(0)
	v_sub_u32_e32 v2, v2, v13
	v_mov_b32_e32 v8, v14
.LBB746_36:
	s_or_b64 exec, exec, s[2:3]
	v_mul_i32_i24_e32 v0, 20, v8
	s_mov_b64 s[2:3], -1
	s_and_b64 vcc, exec, s[0:1]
	s_waitcnt lgkmcnt(0)
	s_barrier
	ds_write2_b32 v0, v2, v11 offset1:1
	ds_write2_b32 v0, v10, v3 offset0:2 offset1:3
	ds_write_b32 v0, v1 offset:16
	s_waitcnt lgkmcnt(0)
	s_cbranch_vccnz .LBB746_39
; %bb.37:
	s_andn2_b64 vcc, exec, s[2:3]
	s_cbranch_vccz .LBB746_40
.LBB746_38:
	s_endpgm
.LBB746_39:
	s_barrier
	s_cbranch_execnz .LBB746_38
.LBB746_40:
	s_barrier
	s_endpgm
	.section	.rodata,"a",@progbits
	.p2align	6, 0x0
	.amdhsa_kernel _ZN7rocprim17ROCPRIM_400000_NS6detail17trampoline_kernelINS0_14default_configENS1_35adjacent_difference_config_selectorILb1EiEEZNS1_24adjacent_difference_implIS3_Lb1ELb0EPiN6thrust23THRUST_200600_302600_NS16discard_iteratorINS9_11use_defaultEEENS9_5minusIiEEEE10hipError_tPvRmT2_T3_mT4_P12ihipStream_tbEUlT_E_NS1_11comp_targetILNS1_3genE4ELNS1_11target_archE910ELNS1_3gpuE8ELNS1_3repE0EEENS1_30default_config_static_selectorELNS0_4arch9wavefront6targetE1EEEvT1_
		.amdhsa_group_segment_fixed_size 10240
		.amdhsa_private_segment_fixed_size 0
		.amdhsa_kernarg_size 64
		.amdhsa_user_sgpr_count 6
		.amdhsa_user_sgpr_private_segment_buffer 1
		.amdhsa_user_sgpr_dispatch_ptr 0
		.amdhsa_user_sgpr_queue_ptr 0
		.amdhsa_user_sgpr_kernarg_segment_ptr 1
		.amdhsa_user_sgpr_dispatch_id 0
		.amdhsa_user_sgpr_flat_scratch_init 0
		.amdhsa_user_sgpr_kernarg_preload_length 0
		.amdhsa_user_sgpr_kernarg_preload_offset 0
		.amdhsa_user_sgpr_private_segment_size 0
		.amdhsa_uses_dynamic_stack 0
		.amdhsa_system_sgpr_private_segment_wavefront_offset 0
		.amdhsa_system_sgpr_workgroup_id_x 1
		.amdhsa_system_sgpr_workgroup_id_y 0
		.amdhsa_system_sgpr_workgroup_id_z 0
		.amdhsa_system_sgpr_workgroup_info 0
		.amdhsa_system_vgpr_workitem_id 0
		.amdhsa_next_free_vgpr 16
		.amdhsa_next_free_sgpr 21
		.amdhsa_accum_offset 16
		.amdhsa_reserve_vcc 1
		.amdhsa_reserve_flat_scratch 0
		.amdhsa_float_round_mode_32 0
		.amdhsa_float_round_mode_16_64 0
		.amdhsa_float_denorm_mode_32 3
		.amdhsa_float_denorm_mode_16_64 3
		.amdhsa_dx10_clamp 1
		.amdhsa_ieee_mode 1
		.amdhsa_fp16_overflow 0
		.amdhsa_tg_split 0
		.amdhsa_exception_fp_ieee_invalid_op 0
		.amdhsa_exception_fp_denorm_src 0
		.amdhsa_exception_fp_ieee_div_zero 0
		.amdhsa_exception_fp_ieee_overflow 0
		.amdhsa_exception_fp_ieee_underflow 0
		.amdhsa_exception_fp_ieee_inexact 0
		.amdhsa_exception_int_div_zero 0
	.end_amdhsa_kernel
	.section	.text._ZN7rocprim17ROCPRIM_400000_NS6detail17trampoline_kernelINS0_14default_configENS1_35adjacent_difference_config_selectorILb1EiEEZNS1_24adjacent_difference_implIS3_Lb1ELb0EPiN6thrust23THRUST_200600_302600_NS16discard_iteratorINS9_11use_defaultEEENS9_5minusIiEEEE10hipError_tPvRmT2_T3_mT4_P12ihipStream_tbEUlT_E_NS1_11comp_targetILNS1_3genE4ELNS1_11target_archE910ELNS1_3gpuE8ELNS1_3repE0EEENS1_30default_config_static_selectorELNS0_4arch9wavefront6targetE1EEEvT1_,"axG",@progbits,_ZN7rocprim17ROCPRIM_400000_NS6detail17trampoline_kernelINS0_14default_configENS1_35adjacent_difference_config_selectorILb1EiEEZNS1_24adjacent_difference_implIS3_Lb1ELb0EPiN6thrust23THRUST_200600_302600_NS16discard_iteratorINS9_11use_defaultEEENS9_5minusIiEEEE10hipError_tPvRmT2_T3_mT4_P12ihipStream_tbEUlT_E_NS1_11comp_targetILNS1_3genE4ELNS1_11target_archE910ELNS1_3gpuE8ELNS1_3repE0EEENS1_30default_config_static_selectorELNS0_4arch9wavefront6targetE1EEEvT1_,comdat
.Lfunc_end746:
	.size	_ZN7rocprim17ROCPRIM_400000_NS6detail17trampoline_kernelINS0_14default_configENS1_35adjacent_difference_config_selectorILb1EiEEZNS1_24adjacent_difference_implIS3_Lb1ELb0EPiN6thrust23THRUST_200600_302600_NS16discard_iteratorINS9_11use_defaultEEENS9_5minusIiEEEE10hipError_tPvRmT2_T3_mT4_P12ihipStream_tbEUlT_E_NS1_11comp_targetILNS1_3genE4ELNS1_11target_archE910ELNS1_3gpuE8ELNS1_3repE0EEENS1_30default_config_static_selectorELNS0_4arch9wavefront6targetE1EEEvT1_, .Lfunc_end746-_ZN7rocprim17ROCPRIM_400000_NS6detail17trampoline_kernelINS0_14default_configENS1_35adjacent_difference_config_selectorILb1EiEEZNS1_24adjacent_difference_implIS3_Lb1ELb0EPiN6thrust23THRUST_200600_302600_NS16discard_iteratorINS9_11use_defaultEEENS9_5minusIiEEEE10hipError_tPvRmT2_T3_mT4_P12ihipStream_tbEUlT_E_NS1_11comp_targetILNS1_3genE4ELNS1_11target_archE910ELNS1_3gpuE8ELNS1_3repE0EEENS1_30default_config_static_selectorELNS0_4arch9wavefront6targetE1EEEvT1_
                                        ; -- End function
	.section	.AMDGPU.csdata,"",@progbits
; Kernel info:
; codeLenInByte = 1600
; NumSgprs: 25
; NumVgprs: 16
; NumAgprs: 0
; TotalNumVgprs: 16
; ScratchSize: 0
; MemoryBound: 0
; FloatMode: 240
; IeeeMode: 1
; LDSByteSize: 10240 bytes/workgroup (compile time only)
; SGPRBlocks: 3
; VGPRBlocks: 1
; NumSGPRsForWavesPerEU: 25
; NumVGPRsForWavesPerEU: 16
; AccumOffset: 16
; Occupancy: 8
; WaveLimiterHint : 1
; COMPUTE_PGM_RSRC2:SCRATCH_EN: 0
; COMPUTE_PGM_RSRC2:USER_SGPR: 6
; COMPUTE_PGM_RSRC2:TRAP_HANDLER: 0
; COMPUTE_PGM_RSRC2:TGID_X_EN: 1
; COMPUTE_PGM_RSRC2:TGID_Y_EN: 0
; COMPUTE_PGM_RSRC2:TGID_Z_EN: 0
; COMPUTE_PGM_RSRC2:TIDIG_COMP_CNT: 0
; COMPUTE_PGM_RSRC3_GFX90A:ACCUM_OFFSET: 3
; COMPUTE_PGM_RSRC3_GFX90A:TG_SPLIT: 0
	.section	.text._ZN7rocprim17ROCPRIM_400000_NS6detail17trampoline_kernelINS0_14default_configENS1_35adjacent_difference_config_selectorILb1EiEEZNS1_24adjacent_difference_implIS3_Lb1ELb0EPiN6thrust23THRUST_200600_302600_NS16discard_iteratorINS9_11use_defaultEEENS9_5minusIiEEEE10hipError_tPvRmT2_T3_mT4_P12ihipStream_tbEUlT_E_NS1_11comp_targetILNS1_3genE3ELNS1_11target_archE908ELNS1_3gpuE7ELNS1_3repE0EEENS1_30default_config_static_selectorELNS0_4arch9wavefront6targetE1EEEvT1_,"axG",@progbits,_ZN7rocprim17ROCPRIM_400000_NS6detail17trampoline_kernelINS0_14default_configENS1_35adjacent_difference_config_selectorILb1EiEEZNS1_24adjacent_difference_implIS3_Lb1ELb0EPiN6thrust23THRUST_200600_302600_NS16discard_iteratorINS9_11use_defaultEEENS9_5minusIiEEEE10hipError_tPvRmT2_T3_mT4_P12ihipStream_tbEUlT_E_NS1_11comp_targetILNS1_3genE3ELNS1_11target_archE908ELNS1_3gpuE7ELNS1_3repE0EEENS1_30default_config_static_selectorELNS0_4arch9wavefront6targetE1EEEvT1_,comdat
	.protected	_ZN7rocprim17ROCPRIM_400000_NS6detail17trampoline_kernelINS0_14default_configENS1_35adjacent_difference_config_selectorILb1EiEEZNS1_24adjacent_difference_implIS3_Lb1ELb0EPiN6thrust23THRUST_200600_302600_NS16discard_iteratorINS9_11use_defaultEEENS9_5minusIiEEEE10hipError_tPvRmT2_T3_mT4_P12ihipStream_tbEUlT_E_NS1_11comp_targetILNS1_3genE3ELNS1_11target_archE908ELNS1_3gpuE7ELNS1_3repE0EEENS1_30default_config_static_selectorELNS0_4arch9wavefront6targetE1EEEvT1_ ; -- Begin function _ZN7rocprim17ROCPRIM_400000_NS6detail17trampoline_kernelINS0_14default_configENS1_35adjacent_difference_config_selectorILb1EiEEZNS1_24adjacent_difference_implIS3_Lb1ELb0EPiN6thrust23THRUST_200600_302600_NS16discard_iteratorINS9_11use_defaultEEENS9_5minusIiEEEE10hipError_tPvRmT2_T3_mT4_P12ihipStream_tbEUlT_E_NS1_11comp_targetILNS1_3genE3ELNS1_11target_archE908ELNS1_3gpuE7ELNS1_3repE0EEENS1_30default_config_static_selectorELNS0_4arch9wavefront6targetE1EEEvT1_
	.globl	_ZN7rocprim17ROCPRIM_400000_NS6detail17trampoline_kernelINS0_14default_configENS1_35adjacent_difference_config_selectorILb1EiEEZNS1_24adjacent_difference_implIS3_Lb1ELb0EPiN6thrust23THRUST_200600_302600_NS16discard_iteratorINS9_11use_defaultEEENS9_5minusIiEEEE10hipError_tPvRmT2_T3_mT4_P12ihipStream_tbEUlT_E_NS1_11comp_targetILNS1_3genE3ELNS1_11target_archE908ELNS1_3gpuE7ELNS1_3repE0EEENS1_30default_config_static_selectorELNS0_4arch9wavefront6targetE1EEEvT1_
	.p2align	8
	.type	_ZN7rocprim17ROCPRIM_400000_NS6detail17trampoline_kernelINS0_14default_configENS1_35adjacent_difference_config_selectorILb1EiEEZNS1_24adjacent_difference_implIS3_Lb1ELb0EPiN6thrust23THRUST_200600_302600_NS16discard_iteratorINS9_11use_defaultEEENS9_5minusIiEEEE10hipError_tPvRmT2_T3_mT4_P12ihipStream_tbEUlT_E_NS1_11comp_targetILNS1_3genE3ELNS1_11target_archE908ELNS1_3gpuE7ELNS1_3repE0EEENS1_30default_config_static_selectorELNS0_4arch9wavefront6targetE1EEEvT1_,@function
_ZN7rocprim17ROCPRIM_400000_NS6detail17trampoline_kernelINS0_14default_configENS1_35adjacent_difference_config_selectorILb1EiEEZNS1_24adjacent_difference_implIS3_Lb1ELb0EPiN6thrust23THRUST_200600_302600_NS16discard_iteratorINS9_11use_defaultEEENS9_5minusIiEEEE10hipError_tPvRmT2_T3_mT4_P12ihipStream_tbEUlT_E_NS1_11comp_targetILNS1_3genE3ELNS1_11target_archE908ELNS1_3gpuE7ELNS1_3repE0EEENS1_30default_config_static_selectorELNS0_4arch9wavefront6targetE1EEEvT1_: ; @_ZN7rocprim17ROCPRIM_400000_NS6detail17trampoline_kernelINS0_14default_configENS1_35adjacent_difference_config_selectorILb1EiEEZNS1_24adjacent_difference_implIS3_Lb1ELb0EPiN6thrust23THRUST_200600_302600_NS16discard_iteratorINS9_11use_defaultEEENS9_5minusIiEEEE10hipError_tPvRmT2_T3_mT4_P12ihipStream_tbEUlT_E_NS1_11comp_targetILNS1_3genE3ELNS1_11target_archE908ELNS1_3gpuE7ELNS1_3repE0EEENS1_30default_config_static_selectorELNS0_4arch9wavefront6targetE1EEEvT1_
; %bb.0:
	.section	.rodata,"a",@progbits
	.p2align	6, 0x0
	.amdhsa_kernel _ZN7rocprim17ROCPRIM_400000_NS6detail17trampoline_kernelINS0_14default_configENS1_35adjacent_difference_config_selectorILb1EiEEZNS1_24adjacent_difference_implIS3_Lb1ELb0EPiN6thrust23THRUST_200600_302600_NS16discard_iteratorINS9_11use_defaultEEENS9_5minusIiEEEE10hipError_tPvRmT2_T3_mT4_P12ihipStream_tbEUlT_E_NS1_11comp_targetILNS1_3genE3ELNS1_11target_archE908ELNS1_3gpuE7ELNS1_3repE0EEENS1_30default_config_static_selectorELNS0_4arch9wavefront6targetE1EEEvT1_
		.amdhsa_group_segment_fixed_size 0
		.amdhsa_private_segment_fixed_size 0
		.amdhsa_kernarg_size 64
		.amdhsa_user_sgpr_count 6
		.amdhsa_user_sgpr_private_segment_buffer 1
		.amdhsa_user_sgpr_dispatch_ptr 0
		.amdhsa_user_sgpr_queue_ptr 0
		.amdhsa_user_sgpr_kernarg_segment_ptr 1
		.amdhsa_user_sgpr_dispatch_id 0
		.amdhsa_user_sgpr_flat_scratch_init 0
		.amdhsa_user_sgpr_kernarg_preload_length 0
		.amdhsa_user_sgpr_kernarg_preload_offset 0
		.amdhsa_user_sgpr_private_segment_size 0
		.amdhsa_uses_dynamic_stack 0
		.amdhsa_system_sgpr_private_segment_wavefront_offset 0
		.amdhsa_system_sgpr_workgroup_id_x 1
		.amdhsa_system_sgpr_workgroup_id_y 0
		.amdhsa_system_sgpr_workgroup_id_z 0
		.amdhsa_system_sgpr_workgroup_info 0
		.amdhsa_system_vgpr_workitem_id 0
		.amdhsa_next_free_vgpr 1
		.amdhsa_next_free_sgpr 0
		.amdhsa_accum_offset 4
		.amdhsa_reserve_vcc 0
		.amdhsa_reserve_flat_scratch 0
		.amdhsa_float_round_mode_32 0
		.amdhsa_float_round_mode_16_64 0
		.amdhsa_float_denorm_mode_32 3
		.amdhsa_float_denorm_mode_16_64 3
		.amdhsa_dx10_clamp 1
		.amdhsa_ieee_mode 1
		.amdhsa_fp16_overflow 0
		.amdhsa_tg_split 0
		.amdhsa_exception_fp_ieee_invalid_op 0
		.amdhsa_exception_fp_denorm_src 0
		.amdhsa_exception_fp_ieee_div_zero 0
		.amdhsa_exception_fp_ieee_overflow 0
		.amdhsa_exception_fp_ieee_underflow 0
		.amdhsa_exception_fp_ieee_inexact 0
		.amdhsa_exception_int_div_zero 0
	.end_amdhsa_kernel
	.section	.text._ZN7rocprim17ROCPRIM_400000_NS6detail17trampoline_kernelINS0_14default_configENS1_35adjacent_difference_config_selectorILb1EiEEZNS1_24adjacent_difference_implIS3_Lb1ELb0EPiN6thrust23THRUST_200600_302600_NS16discard_iteratorINS9_11use_defaultEEENS9_5minusIiEEEE10hipError_tPvRmT2_T3_mT4_P12ihipStream_tbEUlT_E_NS1_11comp_targetILNS1_3genE3ELNS1_11target_archE908ELNS1_3gpuE7ELNS1_3repE0EEENS1_30default_config_static_selectorELNS0_4arch9wavefront6targetE1EEEvT1_,"axG",@progbits,_ZN7rocprim17ROCPRIM_400000_NS6detail17trampoline_kernelINS0_14default_configENS1_35adjacent_difference_config_selectorILb1EiEEZNS1_24adjacent_difference_implIS3_Lb1ELb0EPiN6thrust23THRUST_200600_302600_NS16discard_iteratorINS9_11use_defaultEEENS9_5minusIiEEEE10hipError_tPvRmT2_T3_mT4_P12ihipStream_tbEUlT_E_NS1_11comp_targetILNS1_3genE3ELNS1_11target_archE908ELNS1_3gpuE7ELNS1_3repE0EEENS1_30default_config_static_selectorELNS0_4arch9wavefront6targetE1EEEvT1_,comdat
.Lfunc_end747:
	.size	_ZN7rocprim17ROCPRIM_400000_NS6detail17trampoline_kernelINS0_14default_configENS1_35adjacent_difference_config_selectorILb1EiEEZNS1_24adjacent_difference_implIS3_Lb1ELb0EPiN6thrust23THRUST_200600_302600_NS16discard_iteratorINS9_11use_defaultEEENS9_5minusIiEEEE10hipError_tPvRmT2_T3_mT4_P12ihipStream_tbEUlT_E_NS1_11comp_targetILNS1_3genE3ELNS1_11target_archE908ELNS1_3gpuE7ELNS1_3repE0EEENS1_30default_config_static_selectorELNS0_4arch9wavefront6targetE1EEEvT1_, .Lfunc_end747-_ZN7rocprim17ROCPRIM_400000_NS6detail17trampoline_kernelINS0_14default_configENS1_35adjacent_difference_config_selectorILb1EiEEZNS1_24adjacent_difference_implIS3_Lb1ELb0EPiN6thrust23THRUST_200600_302600_NS16discard_iteratorINS9_11use_defaultEEENS9_5minusIiEEEE10hipError_tPvRmT2_T3_mT4_P12ihipStream_tbEUlT_E_NS1_11comp_targetILNS1_3genE3ELNS1_11target_archE908ELNS1_3gpuE7ELNS1_3repE0EEENS1_30default_config_static_selectorELNS0_4arch9wavefront6targetE1EEEvT1_
                                        ; -- End function
	.section	.AMDGPU.csdata,"",@progbits
; Kernel info:
; codeLenInByte = 0
; NumSgprs: 4
; NumVgprs: 0
; NumAgprs: 0
; TotalNumVgprs: 0
; ScratchSize: 0
; MemoryBound: 0
; FloatMode: 240
; IeeeMode: 1
; LDSByteSize: 0 bytes/workgroup (compile time only)
; SGPRBlocks: 0
; VGPRBlocks: 0
; NumSGPRsForWavesPerEU: 4
; NumVGPRsForWavesPerEU: 1
; AccumOffset: 4
; Occupancy: 8
; WaveLimiterHint : 0
; COMPUTE_PGM_RSRC2:SCRATCH_EN: 0
; COMPUTE_PGM_RSRC2:USER_SGPR: 6
; COMPUTE_PGM_RSRC2:TRAP_HANDLER: 0
; COMPUTE_PGM_RSRC2:TGID_X_EN: 1
; COMPUTE_PGM_RSRC2:TGID_Y_EN: 0
; COMPUTE_PGM_RSRC2:TGID_Z_EN: 0
; COMPUTE_PGM_RSRC2:TIDIG_COMP_CNT: 0
; COMPUTE_PGM_RSRC3_GFX90A:ACCUM_OFFSET: 0
; COMPUTE_PGM_RSRC3_GFX90A:TG_SPLIT: 0
	.section	.text._ZN7rocprim17ROCPRIM_400000_NS6detail17trampoline_kernelINS0_14default_configENS1_35adjacent_difference_config_selectorILb1EiEEZNS1_24adjacent_difference_implIS3_Lb1ELb0EPiN6thrust23THRUST_200600_302600_NS16discard_iteratorINS9_11use_defaultEEENS9_5minusIiEEEE10hipError_tPvRmT2_T3_mT4_P12ihipStream_tbEUlT_E_NS1_11comp_targetILNS1_3genE2ELNS1_11target_archE906ELNS1_3gpuE6ELNS1_3repE0EEENS1_30default_config_static_selectorELNS0_4arch9wavefront6targetE1EEEvT1_,"axG",@progbits,_ZN7rocprim17ROCPRIM_400000_NS6detail17trampoline_kernelINS0_14default_configENS1_35adjacent_difference_config_selectorILb1EiEEZNS1_24adjacent_difference_implIS3_Lb1ELb0EPiN6thrust23THRUST_200600_302600_NS16discard_iteratorINS9_11use_defaultEEENS9_5minusIiEEEE10hipError_tPvRmT2_T3_mT4_P12ihipStream_tbEUlT_E_NS1_11comp_targetILNS1_3genE2ELNS1_11target_archE906ELNS1_3gpuE6ELNS1_3repE0EEENS1_30default_config_static_selectorELNS0_4arch9wavefront6targetE1EEEvT1_,comdat
	.protected	_ZN7rocprim17ROCPRIM_400000_NS6detail17trampoline_kernelINS0_14default_configENS1_35adjacent_difference_config_selectorILb1EiEEZNS1_24adjacent_difference_implIS3_Lb1ELb0EPiN6thrust23THRUST_200600_302600_NS16discard_iteratorINS9_11use_defaultEEENS9_5minusIiEEEE10hipError_tPvRmT2_T3_mT4_P12ihipStream_tbEUlT_E_NS1_11comp_targetILNS1_3genE2ELNS1_11target_archE906ELNS1_3gpuE6ELNS1_3repE0EEENS1_30default_config_static_selectorELNS0_4arch9wavefront6targetE1EEEvT1_ ; -- Begin function _ZN7rocprim17ROCPRIM_400000_NS6detail17trampoline_kernelINS0_14default_configENS1_35adjacent_difference_config_selectorILb1EiEEZNS1_24adjacent_difference_implIS3_Lb1ELb0EPiN6thrust23THRUST_200600_302600_NS16discard_iteratorINS9_11use_defaultEEENS9_5minusIiEEEE10hipError_tPvRmT2_T3_mT4_P12ihipStream_tbEUlT_E_NS1_11comp_targetILNS1_3genE2ELNS1_11target_archE906ELNS1_3gpuE6ELNS1_3repE0EEENS1_30default_config_static_selectorELNS0_4arch9wavefront6targetE1EEEvT1_
	.globl	_ZN7rocprim17ROCPRIM_400000_NS6detail17trampoline_kernelINS0_14default_configENS1_35adjacent_difference_config_selectorILb1EiEEZNS1_24adjacent_difference_implIS3_Lb1ELb0EPiN6thrust23THRUST_200600_302600_NS16discard_iteratorINS9_11use_defaultEEENS9_5minusIiEEEE10hipError_tPvRmT2_T3_mT4_P12ihipStream_tbEUlT_E_NS1_11comp_targetILNS1_3genE2ELNS1_11target_archE906ELNS1_3gpuE6ELNS1_3repE0EEENS1_30default_config_static_selectorELNS0_4arch9wavefront6targetE1EEEvT1_
	.p2align	8
	.type	_ZN7rocprim17ROCPRIM_400000_NS6detail17trampoline_kernelINS0_14default_configENS1_35adjacent_difference_config_selectorILb1EiEEZNS1_24adjacent_difference_implIS3_Lb1ELb0EPiN6thrust23THRUST_200600_302600_NS16discard_iteratorINS9_11use_defaultEEENS9_5minusIiEEEE10hipError_tPvRmT2_T3_mT4_P12ihipStream_tbEUlT_E_NS1_11comp_targetILNS1_3genE2ELNS1_11target_archE906ELNS1_3gpuE6ELNS1_3repE0EEENS1_30default_config_static_selectorELNS0_4arch9wavefront6targetE1EEEvT1_,@function
_ZN7rocprim17ROCPRIM_400000_NS6detail17trampoline_kernelINS0_14default_configENS1_35adjacent_difference_config_selectorILb1EiEEZNS1_24adjacent_difference_implIS3_Lb1ELb0EPiN6thrust23THRUST_200600_302600_NS16discard_iteratorINS9_11use_defaultEEENS9_5minusIiEEEE10hipError_tPvRmT2_T3_mT4_P12ihipStream_tbEUlT_E_NS1_11comp_targetILNS1_3genE2ELNS1_11target_archE906ELNS1_3gpuE6ELNS1_3repE0EEENS1_30default_config_static_selectorELNS0_4arch9wavefront6targetE1EEEvT1_: ; @_ZN7rocprim17ROCPRIM_400000_NS6detail17trampoline_kernelINS0_14default_configENS1_35adjacent_difference_config_selectorILb1EiEEZNS1_24adjacent_difference_implIS3_Lb1ELb0EPiN6thrust23THRUST_200600_302600_NS16discard_iteratorINS9_11use_defaultEEENS9_5minusIiEEEE10hipError_tPvRmT2_T3_mT4_P12ihipStream_tbEUlT_E_NS1_11comp_targetILNS1_3genE2ELNS1_11target_archE906ELNS1_3gpuE6ELNS1_3repE0EEENS1_30default_config_static_selectorELNS0_4arch9wavefront6targetE1EEEvT1_
; %bb.0:
	.section	.rodata,"a",@progbits
	.p2align	6, 0x0
	.amdhsa_kernel _ZN7rocprim17ROCPRIM_400000_NS6detail17trampoline_kernelINS0_14default_configENS1_35adjacent_difference_config_selectorILb1EiEEZNS1_24adjacent_difference_implIS3_Lb1ELb0EPiN6thrust23THRUST_200600_302600_NS16discard_iteratorINS9_11use_defaultEEENS9_5minusIiEEEE10hipError_tPvRmT2_T3_mT4_P12ihipStream_tbEUlT_E_NS1_11comp_targetILNS1_3genE2ELNS1_11target_archE906ELNS1_3gpuE6ELNS1_3repE0EEENS1_30default_config_static_selectorELNS0_4arch9wavefront6targetE1EEEvT1_
		.amdhsa_group_segment_fixed_size 0
		.amdhsa_private_segment_fixed_size 0
		.amdhsa_kernarg_size 64
		.amdhsa_user_sgpr_count 6
		.amdhsa_user_sgpr_private_segment_buffer 1
		.amdhsa_user_sgpr_dispatch_ptr 0
		.amdhsa_user_sgpr_queue_ptr 0
		.amdhsa_user_sgpr_kernarg_segment_ptr 1
		.amdhsa_user_sgpr_dispatch_id 0
		.amdhsa_user_sgpr_flat_scratch_init 0
		.amdhsa_user_sgpr_kernarg_preload_length 0
		.amdhsa_user_sgpr_kernarg_preload_offset 0
		.amdhsa_user_sgpr_private_segment_size 0
		.amdhsa_uses_dynamic_stack 0
		.amdhsa_system_sgpr_private_segment_wavefront_offset 0
		.amdhsa_system_sgpr_workgroup_id_x 1
		.amdhsa_system_sgpr_workgroup_id_y 0
		.amdhsa_system_sgpr_workgroup_id_z 0
		.amdhsa_system_sgpr_workgroup_info 0
		.amdhsa_system_vgpr_workitem_id 0
		.amdhsa_next_free_vgpr 1
		.amdhsa_next_free_sgpr 0
		.amdhsa_accum_offset 4
		.amdhsa_reserve_vcc 0
		.amdhsa_reserve_flat_scratch 0
		.amdhsa_float_round_mode_32 0
		.amdhsa_float_round_mode_16_64 0
		.amdhsa_float_denorm_mode_32 3
		.amdhsa_float_denorm_mode_16_64 3
		.amdhsa_dx10_clamp 1
		.amdhsa_ieee_mode 1
		.amdhsa_fp16_overflow 0
		.amdhsa_tg_split 0
		.amdhsa_exception_fp_ieee_invalid_op 0
		.amdhsa_exception_fp_denorm_src 0
		.amdhsa_exception_fp_ieee_div_zero 0
		.amdhsa_exception_fp_ieee_overflow 0
		.amdhsa_exception_fp_ieee_underflow 0
		.amdhsa_exception_fp_ieee_inexact 0
		.amdhsa_exception_int_div_zero 0
	.end_amdhsa_kernel
	.section	.text._ZN7rocprim17ROCPRIM_400000_NS6detail17trampoline_kernelINS0_14default_configENS1_35adjacent_difference_config_selectorILb1EiEEZNS1_24adjacent_difference_implIS3_Lb1ELb0EPiN6thrust23THRUST_200600_302600_NS16discard_iteratorINS9_11use_defaultEEENS9_5minusIiEEEE10hipError_tPvRmT2_T3_mT4_P12ihipStream_tbEUlT_E_NS1_11comp_targetILNS1_3genE2ELNS1_11target_archE906ELNS1_3gpuE6ELNS1_3repE0EEENS1_30default_config_static_selectorELNS0_4arch9wavefront6targetE1EEEvT1_,"axG",@progbits,_ZN7rocprim17ROCPRIM_400000_NS6detail17trampoline_kernelINS0_14default_configENS1_35adjacent_difference_config_selectorILb1EiEEZNS1_24adjacent_difference_implIS3_Lb1ELb0EPiN6thrust23THRUST_200600_302600_NS16discard_iteratorINS9_11use_defaultEEENS9_5minusIiEEEE10hipError_tPvRmT2_T3_mT4_P12ihipStream_tbEUlT_E_NS1_11comp_targetILNS1_3genE2ELNS1_11target_archE906ELNS1_3gpuE6ELNS1_3repE0EEENS1_30default_config_static_selectorELNS0_4arch9wavefront6targetE1EEEvT1_,comdat
.Lfunc_end748:
	.size	_ZN7rocprim17ROCPRIM_400000_NS6detail17trampoline_kernelINS0_14default_configENS1_35adjacent_difference_config_selectorILb1EiEEZNS1_24adjacent_difference_implIS3_Lb1ELb0EPiN6thrust23THRUST_200600_302600_NS16discard_iteratorINS9_11use_defaultEEENS9_5minusIiEEEE10hipError_tPvRmT2_T3_mT4_P12ihipStream_tbEUlT_E_NS1_11comp_targetILNS1_3genE2ELNS1_11target_archE906ELNS1_3gpuE6ELNS1_3repE0EEENS1_30default_config_static_selectorELNS0_4arch9wavefront6targetE1EEEvT1_, .Lfunc_end748-_ZN7rocprim17ROCPRIM_400000_NS6detail17trampoline_kernelINS0_14default_configENS1_35adjacent_difference_config_selectorILb1EiEEZNS1_24adjacent_difference_implIS3_Lb1ELb0EPiN6thrust23THRUST_200600_302600_NS16discard_iteratorINS9_11use_defaultEEENS9_5minusIiEEEE10hipError_tPvRmT2_T3_mT4_P12ihipStream_tbEUlT_E_NS1_11comp_targetILNS1_3genE2ELNS1_11target_archE906ELNS1_3gpuE6ELNS1_3repE0EEENS1_30default_config_static_selectorELNS0_4arch9wavefront6targetE1EEEvT1_
                                        ; -- End function
	.section	.AMDGPU.csdata,"",@progbits
; Kernel info:
; codeLenInByte = 0
; NumSgprs: 4
; NumVgprs: 0
; NumAgprs: 0
; TotalNumVgprs: 0
; ScratchSize: 0
; MemoryBound: 0
; FloatMode: 240
; IeeeMode: 1
; LDSByteSize: 0 bytes/workgroup (compile time only)
; SGPRBlocks: 0
; VGPRBlocks: 0
; NumSGPRsForWavesPerEU: 4
; NumVGPRsForWavesPerEU: 1
; AccumOffset: 4
; Occupancy: 8
; WaveLimiterHint : 0
; COMPUTE_PGM_RSRC2:SCRATCH_EN: 0
; COMPUTE_PGM_RSRC2:USER_SGPR: 6
; COMPUTE_PGM_RSRC2:TRAP_HANDLER: 0
; COMPUTE_PGM_RSRC2:TGID_X_EN: 1
; COMPUTE_PGM_RSRC2:TGID_Y_EN: 0
; COMPUTE_PGM_RSRC2:TGID_Z_EN: 0
; COMPUTE_PGM_RSRC2:TIDIG_COMP_CNT: 0
; COMPUTE_PGM_RSRC3_GFX90A:ACCUM_OFFSET: 0
; COMPUTE_PGM_RSRC3_GFX90A:TG_SPLIT: 0
	.section	.text._ZN7rocprim17ROCPRIM_400000_NS6detail17trampoline_kernelINS0_14default_configENS1_35adjacent_difference_config_selectorILb1EiEEZNS1_24adjacent_difference_implIS3_Lb1ELb0EPiN6thrust23THRUST_200600_302600_NS16discard_iteratorINS9_11use_defaultEEENS9_5minusIiEEEE10hipError_tPvRmT2_T3_mT4_P12ihipStream_tbEUlT_E_NS1_11comp_targetILNS1_3genE9ELNS1_11target_archE1100ELNS1_3gpuE3ELNS1_3repE0EEENS1_30default_config_static_selectorELNS0_4arch9wavefront6targetE1EEEvT1_,"axG",@progbits,_ZN7rocprim17ROCPRIM_400000_NS6detail17trampoline_kernelINS0_14default_configENS1_35adjacent_difference_config_selectorILb1EiEEZNS1_24adjacent_difference_implIS3_Lb1ELb0EPiN6thrust23THRUST_200600_302600_NS16discard_iteratorINS9_11use_defaultEEENS9_5minusIiEEEE10hipError_tPvRmT2_T3_mT4_P12ihipStream_tbEUlT_E_NS1_11comp_targetILNS1_3genE9ELNS1_11target_archE1100ELNS1_3gpuE3ELNS1_3repE0EEENS1_30default_config_static_selectorELNS0_4arch9wavefront6targetE1EEEvT1_,comdat
	.protected	_ZN7rocprim17ROCPRIM_400000_NS6detail17trampoline_kernelINS0_14default_configENS1_35adjacent_difference_config_selectorILb1EiEEZNS1_24adjacent_difference_implIS3_Lb1ELb0EPiN6thrust23THRUST_200600_302600_NS16discard_iteratorINS9_11use_defaultEEENS9_5minusIiEEEE10hipError_tPvRmT2_T3_mT4_P12ihipStream_tbEUlT_E_NS1_11comp_targetILNS1_3genE9ELNS1_11target_archE1100ELNS1_3gpuE3ELNS1_3repE0EEENS1_30default_config_static_selectorELNS0_4arch9wavefront6targetE1EEEvT1_ ; -- Begin function _ZN7rocprim17ROCPRIM_400000_NS6detail17trampoline_kernelINS0_14default_configENS1_35adjacent_difference_config_selectorILb1EiEEZNS1_24adjacent_difference_implIS3_Lb1ELb0EPiN6thrust23THRUST_200600_302600_NS16discard_iteratorINS9_11use_defaultEEENS9_5minusIiEEEE10hipError_tPvRmT2_T3_mT4_P12ihipStream_tbEUlT_E_NS1_11comp_targetILNS1_3genE9ELNS1_11target_archE1100ELNS1_3gpuE3ELNS1_3repE0EEENS1_30default_config_static_selectorELNS0_4arch9wavefront6targetE1EEEvT1_
	.globl	_ZN7rocprim17ROCPRIM_400000_NS6detail17trampoline_kernelINS0_14default_configENS1_35adjacent_difference_config_selectorILb1EiEEZNS1_24adjacent_difference_implIS3_Lb1ELb0EPiN6thrust23THRUST_200600_302600_NS16discard_iteratorINS9_11use_defaultEEENS9_5minusIiEEEE10hipError_tPvRmT2_T3_mT4_P12ihipStream_tbEUlT_E_NS1_11comp_targetILNS1_3genE9ELNS1_11target_archE1100ELNS1_3gpuE3ELNS1_3repE0EEENS1_30default_config_static_selectorELNS0_4arch9wavefront6targetE1EEEvT1_
	.p2align	8
	.type	_ZN7rocprim17ROCPRIM_400000_NS6detail17trampoline_kernelINS0_14default_configENS1_35adjacent_difference_config_selectorILb1EiEEZNS1_24adjacent_difference_implIS3_Lb1ELb0EPiN6thrust23THRUST_200600_302600_NS16discard_iteratorINS9_11use_defaultEEENS9_5minusIiEEEE10hipError_tPvRmT2_T3_mT4_P12ihipStream_tbEUlT_E_NS1_11comp_targetILNS1_3genE9ELNS1_11target_archE1100ELNS1_3gpuE3ELNS1_3repE0EEENS1_30default_config_static_selectorELNS0_4arch9wavefront6targetE1EEEvT1_,@function
_ZN7rocprim17ROCPRIM_400000_NS6detail17trampoline_kernelINS0_14default_configENS1_35adjacent_difference_config_selectorILb1EiEEZNS1_24adjacent_difference_implIS3_Lb1ELb0EPiN6thrust23THRUST_200600_302600_NS16discard_iteratorINS9_11use_defaultEEENS9_5minusIiEEEE10hipError_tPvRmT2_T3_mT4_P12ihipStream_tbEUlT_E_NS1_11comp_targetILNS1_3genE9ELNS1_11target_archE1100ELNS1_3gpuE3ELNS1_3repE0EEENS1_30default_config_static_selectorELNS0_4arch9wavefront6targetE1EEEvT1_: ; @_ZN7rocprim17ROCPRIM_400000_NS6detail17trampoline_kernelINS0_14default_configENS1_35adjacent_difference_config_selectorILb1EiEEZNS1_24adjacent_difference_implIS3_Lb1ELb0EPiN6thrust23THRUST_200600_302600_NS16discard_iteratorINS9_11use_defaultEEENS9_5minusIiEEEE10hipError_tPvRmT2_T3_mT4_P12ihipStream_tbEUlT_E_NS1_11comp_targetILNS1_3genE9ELNS1_11target_archE1100ELNS1_3gpuE3ELNS1_3repE0EEENS1_30default_config_static_selectorELNS0_4arch9wavefront6targetE1EEEvT1_
; %bb.0:
	.section	.rodata,"a",@progbits
	.p2align	6, 0x0
	.amdhsa_kernel _ZN7rocprim17ROCPRIM_400000_NS6detail17trampoline_kernelINS0_14default_configENS1_35adjacent_difference_config_selectorILb1EiEEZNS1_24adjacent_difference_implIS3_Lb1ELb0EPiN6thrust23THRUST_200600_302600_NS16discard_iteratorINS9_11use_defaultEEENS9_5minusIiEEEE10hipError_tPvRmT2_T3_mT4_P12ihipStream_tbEUlT_E_NS1_11comp_targetILNS1_3genE9ELNS1_11target_archE1100ELNS1_3gpuE3ELNS1_3repE0EEENS1_30default_config_static_selectorELNS0_4arch9wavefront6targetE1EEEvT1_
		.amdhsa_group_segment_fixed_size 0
		.amdhsa_private_segment_fixed_size 0
		.amdhsa_kernarg_size 64
		.amdhsa_user_sgpr_count 6
		.amdhsa_user_sgpr_private_segment_buffer 1
		.amdhsa_user_sgpr_dispatch_ptr 0
		.amdhsa_user_sgpr_queue_ptr 0
		.amdhsa_user_sgpr_kernarg_segment_ptr 1
		.amdhsa_user_sgpr_dispatch_id 0
		.amdhsa_user_sgpr_flat_scratch_init 0
		.amdhsa_user_sgpr_kernarg_preload_length 0
		.amdhsa_user_sgpr_kernarg_preload_offset 0
		.amdhsa_user_sgpr_private_segment_size 0
		.amdhsa_uses_dynamic_stack 0
		.amdhsa_system_sgpr_private_segment_wavefront_offset 0
		.amdhsa_system_sgpr_workgroup_id_x 1
		.amdhsa_system_sgpr_workgroup_id_y 0
		.amdhsa_system_sgpr_workgroup_id_z 0
		.amdhsa_system_sgpr_workgroup_info 0
		.amdhsa_system_vgpr_workitem_id 0
		.amdhsa_next_free_vgpr 1
		.amdhsa_next_free_sgpr 0
		.amdhsa_accum_offset 4
		.amdhsa_reserve_vcc 0
		.amdhsa_reserve_flat_scratch 0
		.amdhsa_float_round_mode_32 0
		.amdhsa_float_round_mode_16_64 0
		.amdhsa_float_denorm_mode_32 3
		.amdhsa_float_denorm_mode_16_64 3
		.amdhsa_dx10_clamp 1
		.amdhsa_ieee_mode 1
		.amdhsa_fp16_overflow 0
		.amdhsa_tg_split 0
		.amdhsa_exception_fp_ieee_invalid_op 0
		.amdhsa_exception_fp_denorm_src 0
		.amdhsa_exception_fp_ieee_div_zero 0
		.amdhsa_exception_fp_ieee_overflow 0
		.amdhsa_exception_fp_ieee_underflow 0
		.amdhsa_exception_fp_ieee_inexact 0
		.amdhsa_exception_int_div_zero 0
	.end_amdhsa_kernel
	.section	.text._ZN7rocprim17ROCPRIM_400000_NS6detail17trampoline_kernelINS0_14default_configENS1_35adjacent_difference_config_selectorILb1EiEEZNS1_24adjacent_difference_implIS3_Lb1ELb0EPiN6thrust23THRUST_200600_302600_NS16discard_iteratorINS9_11use_defaultEEENS9_5minusIiEEEE10hipError_tPvRmT2_T3_mT4_P12ihipStream_tbEUlT_E_NS1_11comp_targetILNS1_3genE9ELNS1_11target_archE1100ELNS1_3gpuE3ELNS1_3repE0EEENS1_30default_config_static_selectorELNS0_4arch9wavefront6targetE1EEEvT1_,"axG",@progbits,_ZN7rocprim17ROCPRIM_400000_NS6detail17trampoline_kernelINS0_14default_configENS1_35adjacent_difference_config_selectorILb1EiEEZNS1_24adjacent_difference_implIS3_Lb1ELb0EPiN6thrust23THRUST_200600_302600_NS16discard_iteratorINS9_11use_defaultEEENS9_5minusIiEEEE10hipError_tPvRmT2_T3_mT4_P12ihipStream_tbEUlT_E_NS1_11comp_targetILNS1_3genE9ELNS1_11target_archE1100ELNS1_3gpuE3ELNS1_3repE0EEENS1_30default_config_static_selectorELNS0_4arch9wavefront6targetE1EEEvT1_,comdat
.Lfunc_end749:
	.size	_ZN7rocprim17ROCPRIM_400000_NS6detail17trampoline_kernelINS0_14default_configENS1_35adjacent_difference_config_selectorILb1EiEEZNS1_24adjacent_difference_implIS3_Lb1ELb0EPiN6thrust23THRUST_200600_302600_NS16discard_iteratorINS9_11use_defaultEEENS9_5minusIiEEEE10hipError_tPvRmT2_T3_mT4_P12ihipStream_tbEUlT_E_NS1_11comp_targetILNS1_3genE9ELNS1_11target_archE1100ELNS1_3gpuE3ELNS1_3repE0EEENS1_30default_config_static_selectorELNS0_4arch9wavefront6targetE1EEEvT1_, .Lfunc_end749-_ZN7rocprim17ROCPRIM_400000_NS6detail17trampoline_kernelINS0_14default_configENS1_35adjacent_difference_config_selectorILb1EiEEZNS1_24adjacent_difference_implIS3_Lb1ELb0EPiN6thrust23THRUST_200600_302600_NS16discard_iteratorINS9_11use_defaultEEENS9_5minusIiEEEE10hipError_tPvRmT2_T3_mT4_P12ihipStream_tbEUlT_E_NS1_11comp_targetILNS1_3genE9ELNS1_11target_archE1100ELNS1_3gpuE3ELNS1_3repE0EEENS1_30default_config_static_selectorELNS0_4arch9wavefront6targetE1EEEvT1_
                                        ; -- End function
	.section	.AMDGPU.csdata,"",@progbits
; Kernel info:
; codeLenInByte = 0
; NumSgprs: 4
; NumVgprs: 0
; NumAgprs: 0
; TotalNumVgprs: 0
; ScratchSize: 0
; MemoryBound: 0
; FloatMode: 240
; IeeeMode: 1
; LDSByteSize: 0 bytes/workgroup (compile time only)
; SGPRBlocks: 0
; VGPRBlocks: 0
; NumSGPRsForWavesPerEU: 4
; NumVGPRsForWavesPerEU: 1
; AccumOffset: 4
; Occupancy: 8
; WaveLimiterHint : 0
; COMPUTE_PGM_RSRC2:SCRATCH_EN: 0
; COMPUTE_PGM_RSRC2:USER_SGPR: 6
; COMPUTE_PGM_RSRC2:TRAP_HANDLER: 0
; COMPUTE_PGM_RSRC2:TGID_X_EN: 1
; COMPUTE_PGM_RSRC2:TGID_Y_EN: 0
; COMPUTE_PGM_RSRC2:TGID_Z_EN: 0
; COMPUTE_PGM_RSRC2:TIDIG_COMP_CNT: 0
; COMPUTE_PGM_RSRC3_GFX90A:ACCUM_OFFSET: 0
; COMPUTE_PGM_RSRC3_GFX90A:TG_SPLIT: 0
	.section	.text._ZN7rocprim17ROCPRIM_400000_NS6detail17trampoline_kernelINS0_14default_configENS1_35adjacent_difference_config_selectorILb1EiEEZNS1_24adjacent_difference_implIS3_Lb1ELb0EPiN6thrust23THRUST_200600_302600_NS16discard_iteratorINS9_11use_defaultEEENS9_5minusIiEEEE10hipError_tPvRmT2_T3_mT4_P12ihipStream_tbEUlT_E_NS1_11comp_targetILNS1_3genE8ELNS1_11target_archE1030ELNS1_3gpuE2ELNS1_3repE0EEENS1_30default_config_static_selectorELNS0_4arch9wavefront6targetE1EEEvT1_,"axG",@progbits,_ZN7rocprim17ROCPRIM_400000_NS6detail17trampoline_kernelINS0_14default_configENS1_35adjacent_difference_config_selectorILb1EiEEZNS1_24adjacent_difference_implIS3_Lb1ELb0EPiN6thrust23THRUST_200600_302600_NS16discard_iteratorINS9_11use_defaultEEENS9_5minusIiEEEE10hipError_tPvRmT2_T3_mT4_P12ihipStream_tbEUlT_E_NS1_11comp_targetILNS1_3genE8ELNS1_11target_archE1030ELNS1_3gpuE2ELNS1_3repE0EEENS1_30default_config_static_selectorELNS0_4arch9wavefront6targetE1EEEvT1_,comdat
	.protected	_ZN7rocprim17ROCPRIM_400000_NS6detail17trampoline_kernelINS0_14default_configENS1_35adjacent_difference_config_selectorILb1EiEEZNS1_24adjacent_difference_implIS3_Lb1ELb0EPiN6thrust23THRUST_200600_302600_NS16discard_iteratorINS9_11use_defaultEEENS9_5minusIiEEEE10hipError_tPvRmT2_T3_mT4_P12ihipStream_tbEUlT_E_NS1_11comp_targetILNS1_3genE8ELNS1_11target_archE1030ELNS1_3gpuE2ELNS1_3repE0EEENS1_30default_config_static_selectorELNS0_4arch9wavefront6targetE1EEEvT1_ ; -- Begin function _ZN7rocprim17ROCPRIM_400000_NS6detail17trampoline_kernelINS0_14default_configENS1_35adjacent_difference_config_selectorILb1EiEEZNS1_24adjacent_difference_implIS3_Lb1ELb0EPiN6thrust23THRUST_200600_302600_NS16discard_iteratorINS9_11use_defaultEEENS9_5minusIiEEEE10hipError_tPvRmT2_T3_mT4_P12ihipStream_tbEUlT_E_NS1_11comp_targetILNS1_3genE8ELNS1_11target_archE1030ELNS1_3gpuE2ELNS1_3repE0EEENS1_30default_config_static_selectorELNS0_4arch9wavefront6targetE1EEEvT1_
	.globl	_ZN7rocprim17ROCPRIM_400000_NS6detail17trampoline_kernelINS0_14default_configENS1_35adjacent_difference_config_selectorILb1EiEEZNS1_24adjacent_difference_implIS3_Lb1ELb0EPiN6thrust23THRUST_200600_302600_NS16discard_iteratorINS9_11use_defaultEEENS9_5minusIiEEEE10hipError_tPvRmT2_T3_mT4_P12ihipStream_tbEUlT_E_NS1_11comp_targetILNS1_3genE8ELNS1_11target_archE1030ELNS1_3gpuE2ELNS1_3repE0EEENS1_30default_config_static_selectorELNS0_4arch9wavefront6targetE1EEEvT1_
	.p2align	8
	.type	_ZN7rocprim17ROCPRIM_400000_NS6detail17trampoline_kernelINS0_14default_configENS1_35adjacent_difference_config_selectorILb1EiEEZNS1_24adjacent_difference_implIS3_Lb1ELb0EPiN6thrust23THRUST_200600_302600_NS16discard_iteratorINS9_11use_defaultEEENS9_5minusIiEEEE10hipError_tPvRmT2_T3_mT4_P12ihipStream_tbEUlT_E_NS1_11comp_targetILNS1_3genE8ELNS1_11target_archE1030ELNS1_3gpuE2ELNS1_3repE0EEENS1_30default_config_static_selectorELNS0_4arch9wavefront6targetE1EEEvT1_,@function
_ZN7rocprim17ROCPRIM_400000_NS6detail17trampoline_kernelINS0_14default_configENS1_35adjacent_difference_config_selectorILb1EiEEZNS1_24adjacent_difference_implIS3_Lb1ELb0EPiN6thrust23THRUST_200600_302600_NS16discard_iteratorINS9_11use_defaultEEENS9_5minusIiEEEE10hipError_tPvRmT2_T3_mT4_P12ihipStream_tbEUlT_E_NS1_11comp_targetILNS1_3genE8ELNS1_11target_archE1030ELNS1_3gpuE2ELNS1_3repE0EEENS1_30default_config_static_selectorELNS0_4arch9wavefront6targetE1EEEvT1_: ; @_ZN7rocprim17ROCPRIM_400000_NS6detail17trampoline_kernelINS0_14default_configENS1_35adjacent_difference_config_selectorILb1EiEEZNS1_24adjacent_difference_implIS3_Lb1ELb0EPiN6thrust23THRUST_200600_302600_NS16discard_iteratorINS9_11use_defaultEEENS9_5minusIiEEEE10hipError_tPvRmT2_T3_mT4_P12ihipStream_tbEUlT_E_NS1_11comp_targetILNS1_3genE8ELNS1_11target_archE1030ELNS1_3gpuE2ELNS1_3repE0EEENS1_30default_config_static_selectorELNS0_4arch9wavefront6targetE1EEEvT1_
; %bb.0:
	.section	.rodata,"a",@progbits
	.p2align	6, 0x0
	.amdhsa_kernel _ZN7rocprim17ROCPRIM_400000_NS6detail17trampoline_kernelINS0_14default_configENS1_35adjacent_difference_config_selectorILb1EiEEZNS1_24adjacent_difference_implIS3_Lb1ELb0EPiN6thrust23THRUST_200600_302600_NS16discard_iteratorINS9_11use_defaultEEENS9_5minusIiEEEE10hipError_tPvRmT2_T3_mT4_P12ihipStream_tbEUlT_E_NS1_11comp_targetILNS1_3genE8ELNS1_11target_archE1030ELNS1_3gpuE2ELNS1_3repE0EEENS1_30default_config_static_selectorELNS0_4arch9wavefront6targetE1EEEvT1_
		.amdhsa_group_segment_fixed_size 0
		.amdhsa_private_segment_fixed_size 0
		.amdhsa_kernarg_size 64
		.amdhsa_user_sgpr_count 6
		.amdhsa_user_sgpr_private_segment_buffer 1
		.amdhsa_user_sgpr_dispatch_ptr 0
		.amdhsa_user_sgpr_queue_ptr 0
		.amdhsa_user_sgpr_kernarg_segment_ptr 1
		.amdhsa_user_sgpr_dispatch_id 0
		.amdhsa_user_sgpr_flat_scratch_init 0
		.amdhsa_user_sgpr_kernarg_preload_length 0
		.amdhsa_user_sgpr_kernarg_preload_offset 0
		.amdhsa_user_sgpr_private_segment_size 0
		.amdhsa_uses_dynamic_stack 0
		.amdhsa_system_sgpr_private_segment_wavefront_offset 0
		.amdhsa_system_sgpr_workgroup_id_x 1
		.amdhsa_system_sgpr_workgroup_id_y 0
		.amdhsa_system_sgpr_workgroup_id_z 0
		.amdhsa_system_sgpr_workgroup_info 0
		.amdhsa_system_vgpr_workitem_id 0
		.amdhsa_next_free_vgpr 1
		.amdhsa_next_free_sgpr 0
		.amdhsa_accum_offset 4
		.amdhsa_reserve_vcc 0
		.amdhsa_reserve_flat_scratch 0
		.amdhsa_float_round_mode_32 0
		.amdhsa_float_round_mode_16_64 0
		.amdhsa_float_denorm_mode_32 3
		.amdhsa_float_denorm_mode_16_64 3
		.amdhsa_dx10_clamp 1
		.amdhsa_ieee_mode 1
		.amdhsa_fp16_overflow 0
		.amdhsa_tg_split 0
		.amdhsa_exception_fp_ieee_invalid_op 0
		.amdhsa_exception_fp_denorm_src 0
		.amdhsa_exception_fp_ieee_div_zero 0
		.amdhsa_exception_fp_ieee_overflow 0
		.amdhsa_exception_fp_ieee_underflow 0
		.amdhsa_exception_fp_ieee_inexact 0
		.amdhsa_exception_int_div_zero 0
	.end_amdhsa_kernel
	.section	.text._ZN7rocprim17ROCPRIM_400000_NS6detail17trampoline_kernelINS0_14default_configENS1_35adjacent_difference_config_selectorILb1EiEEZNS1_24adjacent_difference_implIS3_Lb1ELb0EPiN6thrust23THRUST_200600_302600_NS16discard_iteratorINS9_11use_defaultEEENS9_5minusIiEEEE10hipError_tPvRmT2_T3_mT4_P12ihipStream_tbEUlT_E_NS1_11comp_targetILNS1_3genE8ELNS1_11target_archE1030ELNS1_3gpuE2ELNS1_3repE0EEENS1_30default_config_static_selectorELNS0_4arch9wavefront6targetE1EEEvT1_,"axG",@progbits,_ZN7rocprim17ROCPRIM_400000_NS6detail17trampoline_kernelINS0_14default_configENS1_35adjacent_difference_config_selectorILb1EiEEZNS1_24adjacent_difference_implIS3_Lb1ELb0EPiN6thrust23THRUST_200600_302600_NS16discard_iteratorINS9_11use_defaultEEENS9_5minusIiEEEE10hipError_tPvRmT2_T3_mT4_P12ihipStream_tbEUlT_E_NS1_11comp_targetILNS1_3genE8ELNS1_11target_archE1030ELNS1_3gpuE2ELNS1_3repE0EEENS1_30default_config_static_selectorELNS0_4arch9wavefront6targetE1EEEvT1_,comdat
.Lfunc_end750:
	.size	_ZN7rocprim17ROCPRIM_400000_NS6detail17trampoline_kernelINS0_14default_configENS1_35adjacent_difference_config_selectorILb1EiEEZNS1_24adjacent_difference_implIS3_Lb1ELb0EPiN6thrust23THRUST_200600_302600_NS16discard_iteratorINS9_11use_defaultEEENS9_5minusIiEEEE10hipError_tPvRmT2_T3_mT4_P12ihipStream_tbEUlT_E_NS1_11comp_targetILNS1_3genE8ELNS1_11target_archE1030ELNS1_3gpuE2ELNS1_3repE0EEENS1_30default_config_static_selectorELNS0_4arch9wavefront6targetE1EEEvT1_, .Lfunc_end750-_ZN7rocprim17ROCPRIM_400000_NS6detail17trampoline_kernelINS0_14default_configENS1_35adjacent_difference_config_selectorILb1EiEEZNS1_24adjacent_difference_implIS3_Lb1ELb0EPiN6thrust23THRUST_200600_302600_NS16discard_iteratorINS9_11use_defaultEEENS9_5minusIiEEEE10hipError_tPvRmT2_T3_mT4_P12ihipStream_tbEUlT_E_NS1_11comp_targetILNS1_3genE8ELNS1_11target_archE1030ELNS1_3gpuE2ELNS1_3repE0EEENS1_30default_config_static_selectorELNS0_4arch9wavefront6targetE1EEEvT1_
                                        ; -- End function
	.section	.AMDGPU.csdata,"",@progbits
; Kernel info:
; codeLenInByte = 0
; NumSgprs: 4
; NumVgprs: 0
; NumAgprs: 0
; TotalNumVgprs: 0
; ScratchSize: 0
; MemoryBound: 0
; FloatMode: 240
; IeeeMode: 1
; LDSByteSize: 0 bytes/workgroup (compile time only)
; SGPRBlocks: 0
; VGPRBlocks: 0
; NumSGPRsForWavesPerEU: 4
; NumVGPRsForWavesPerEU: 1
; AccumOffset: 4
; Occupancy: 8
; WaveLimiterHint : 0
; COMPUTE_PGM_RSRC2:SCRATCH_EN: 0
; COMPUTE_PGM_RSRC2:USER_SGPR: 6
; COMPUTE_PGM_RSRC2:TRAP_HANDLER: 0
; COMPUTE_PGM_RSRC2:TGID_X_EN: 1
; COMPUTE_PGM_RSRC2:TGID_Y_EN: 0
; COMPUTE_PGM_RSRC2:TGID_Z_EN: 0
; COMPUTE_PGM_RSRC2:TIDIG_COMP_CNT: 0
; COMPUTE_PGM_RSRC3_GFX90A:ACCUM_OFFSET: 0
; COMPUTE_PGM_RSRC3_GFX90A:TG_SPLIT: 0
	.section	.text._ZN7rocprim17ROCPRIM_400000_NS6detail17trampoline_kernelINS0_14default_configENS1_25transform_config_selectorIjLb0EEEZNS1_14transform_implILb0ES3_S5_NS0_18transform_iteratorINS0_17counting_iteratorImlEEZNS1_24adjacent_difference_implIS3_Lb1ELb0EPjN6thrust23THRUST_200600_302600_NS16discard_iteratorINSD_11use_defaultEEENSD_5minusIjEEEE10hipError_tPvRmT2_T3_mT4_P12ihipStream_tbEUlmE_jEESB_NS0_8identityIvEEEESJ_SM_SN_mSO_SQ_bEUlT_E_NS1_11comp_targetILNS1_3genE0ELNS1_11target_archE4294967295ELNS1_3gpuE0ELNS1_3repE0EEENS1_30default_config_static_selectorELNS0_4arch9wavefront6targetE1EEEvT1_,"axG",@progbits,_ZN7rocprim17ROCPRIM_400000_NS6detail17trampoline_kernelINS0_14default_configENS1_25transform_config_selectorIjLb0EEEZNS1_14transform_implILb0ES3_S5_NS0_18transform_iteratorINS0_17counting_iteratorImlEEZNS1_24adjacent_difference_implIS3_Lb1ELb0EPjN6thrust23THRUST_200600_302600_NS16discard_iteratorINSD_11use_defaultEEENSD_5minusIjEEEE10hipError_tPvRmT2_T3_mT4_P12ihipStream_tbEUlmE_jEESB_NS0_8identityIvEEEESJ_SM_SN_mSO_SQ_bEUlT_E_NS1_11comp_targetILNS1_3genE0ELNS1_11target_archE4294967295ELNS1_3gpuE0ELNS1_3repE0EEENS1_30default_config_static_selectorELNS0_4arch9wavefront6targetE1EEEvT1_,comdat
	.protected	_ZN7rocprim17ROCPRIM_400000_NS6detail17trampoline_kernelINS0_14default_configENS1_25transform_config_selectorIjLb0EEEZNS1_14transform_implILb0ES3_S5_NS0_18transform_iteratorINS0_17counting_iteratorImlEEZNS1_24adjacent_difference_implIS3_Lb1ELb0EPjN6thrust23THRUST_200600_302600_NS16discard_iteratorINSD_11use_defaultEEENSD_5minusIjEEEE10hipError_tPvRmT2_T3_mT4_P12ihipStream_tbEUlmE_jEESB_NS0_8identityIvEEEESJ_SM_SN_mSO_SQ_bEUlT_E_NS1_11comp_targetILNS1_3genE0ELNS1_11target_archE4294967295ELNS1_3gpuE0ELNS1_3repE0EEENS1_30default_config_static_selectorELNS0_4arch9wavefront6targetE1EEEvT1_ ; -- Begin function _ZN7rocprim17ROCPRIM_400000_NS6detail17trampoline_kernelINS0_14default_configENS1_25transform_config_selectorIjLb0EEEZNS1_14transform_implILb0ES3_S5_NS0_18transform_iteratorINS0_17counting_iteratorImlEEZNS1_24adjacent_difference_implIS3_Lb1ELb0EPjN6thrust23THRUST_200600_302600_NS16discard_iteratorINSD_11use_defaultEEENSD_5minusIjEEEE10hipError_tPvRmT2_T3_mT4_P12ihipStream_tbEUlmE_jEESB_NS0_8identityIvEEEESJ_SM_SN_mSO_SQ_bEUlT_E_NS1_11comp_targetILNS1_3genE0ELNS1_11target_archE4294967295ELNS1_3gpuE0ELNS1_3repE0EEENS1_30default_config_static_selectorELNS0_4arch9wavefront6targetE1EEEvT1_
	.globl	_ZN7rocprim17ROCPRIM_400000_NS6detail17trampoline_kernelINS0_14default_configENS1_25transform_config_selectorIjLb0EEEZNS1_14transform_implILb0ES3_S5_NS0_18transform_iteratorINS0_17counting_iteratorImlEEZNS1_24adjacent_difference_implIS3_Lb1ELb0EPjN6thrust23THRUST_200600_302600_NS16discard_iteratorINSD_11use_defaultEEENSD_5minusIjEEEE10hipError_tPvRmT2_T3_mT4_P12ihipStream_tbEUlmE_jEESB_NS0_8identityIvEEEESJ_SM_SN_mSO_SQ_bEUlT_E_NS1_11comp_targetILNS1_3genE0ELNS1_11target_archE4294967295ELNS1_3gpuE0ELNS1_3repE0EEENS1_30default_config_static_selectorELNS0_4arch9wavefront6targetE1EEEvT1_
	.p2align	8
	.type	_ZN7rocprim17ROCPRIM_400000_NS6detail17trampoline_kernelINS0_14default_configENS1_25transform_config_selectorIjLb0EEEZNS1_14transform_implILb0ES3_S5_NS0_18transform_iteratorINS0_17counting_iteratorImlEEZNS1_24adjacent_difference_implIS3_Lb1ELb0EPjN6thrust23THRUST_200600_302600_NS16discard_iteratorINSD_11use_defaultEEENSD_5minusIjEEEE10hipError_tPvRmT2_T3_mT4_P12ihipStream_tbEUlmE_jEESB_NS0_8identityIvEEEESJ_SM_SN_mSO_SQ_bEUlT_E_NS1_11comp_targetILNS1_3genE0ELNS1_11target_archE4294967295ELNS1_3gpuE0ELNS1_3repE0EEENS1_30default_config_static_selectorELNS0_4arch9wavefront6targetE1EEEvT1_,@function
_ZN7rocprim17ROCPRIM_400000_NS6detail17trampoline_kernelINS0_14default_configENS1_25transform_config_selectorIjLb0EEEZNS1_14transform_implILb0ES3_S5_NS0_18transform_iteratorINS0_17counting_iteratorImlEEZNS1_24adjacent_difference_implIS3_Lb1ELb0EPjN6thrust23THRUST_200600_302600_NS16discard_iteratorINSD_11use_defaultEEENSD_5minusIjEEEE10hipError_tPvRmT2_T3_mT4_P12ihipStream_tbEUlmE_jEESB_NS0_8identityIvEEEESJ_SM_SN_mSO_SQ_bEUlT_E_NS1_11comp_targetILNS1_3genE0ELNS1_11target_archE4294967295ELNS1_3gpuE0ELNS1_3repE0EEENS1_30default_config_static_selectorELNS0_4arch9wavefront6targetE1EEEvT1_: ; @_ZN7rocprim17ROCPRIM_400000_NS6detail17trampoline_kernelINS0_14default_configENS1_25transform_config_selectorIjLb0EEEZNS1_14transform_implILb0ES3_S5_NS0_18transform_iteratorINS0_17counting_iteratorImlEEZNS1_24adjacent_difference_implIS3_Lb1ELb0EPjN6thrust23THRUST_200600_302600_NS16discard_iteratorINSD_11use_defaultEEENSD_5minusIjEEEE10hipError_tPvRmT2_T3_mT4_P12ihipStream_tbEUlmE_jEESB_NS0_8identityIvEEEESJ_SM_SN_mSO_SQ_bEUlT_E_NS1_11comp_targetILNS1_3genE0ELNS1_11target_archE4294967295ELNS1_3gpuE0ELNS1_3repE0EEENS1_30default_config_static_selectorELNS0_4arch9wavefront6targetE1EEEvT1_
; %bb.0:
	.section	.rodata,"a",@progbits
	.p2align	6, 0x0
	.amdhsa_kernel _ZN7rocprim17ROCPRIM_400000_NS6detail17trampoline_kernelINS0_14default_configENS1_25transform_config_selectorIjLb0EEEZNS1_14transform_implILb0ES3_S5_NS0_18transform_iteratorINS0_17counting_iteratorImlEEZNS1_24adjacent_difference_implIS3_Lb1ELb0EPjN6thrust23THRUST_200600_302600_NS16discard_iteratorINSD_11use_defaultEEENSD_5minusIjEEEE10hipError_tPvRmT2_T3_mT4_P12ihipStream_tbEUlmE_jEESB_NS0_8identityIvEEEESJ_SM_SN_mSO_SQ_bEUlT_E_NS1_11comp_targetILNS1_3genE0ELNS1_11target_archE4294967295ELNS1_3gpuE0ELNS1_3repE0EEENS1_30default_config_static_selectorELNS0_4arch9wavefront6targetE1EEEvT1_
		.amdhsa_group_segment_fixed_size 0
		.amdhsa_private_segment_fixed_size 0
		.amdhsa_kernarg_size 56
		.amdhsa_user_sgpr_count 6
		.amdhsa_user_sgpr_private_segment_buffer 1
		.amdhsa_user_sgpr_dispatch_ptr 0
		.amdhsa_user_sgpr_queue_ptr 0
		.amdhsa_user_sgpr_kernarg_segment_ptr 1
		.amdhsa_user_sgpr_dispatch_id 0
		.amdhsa_user_sgpr_flat_scratch_init 0
		.amdhsa_user_sgpr_kernarg_preload_length 0
		.amdhsa_user_sgpr_kernarg_preload_offset 0
		.amdhsa_user_sgpr_private_segment_size 0
		.amdhsa_uses_dynamic_stack 0
		.amdhsa_system_sgpr_private_segment_wavefront_offset 0
		.amdhsa_system_sgpr_workgroup_id_x 1
		.amdhsa_system_sgpr_workgroup_id_y 0
		.amdhsa_system_sgpr_workgroup_id_z 0
		.amdhsa_system_sgpr_workgroup_info 0
		.amdhsa_system_vgpr_workitem_id 0
		.amdhsa_next_free_vgpr 1
		.amdhsa_next_free_sgpr 0
		.amdhsa_accum_offset 4
		.amdhsa_reserve_vcc 0
		.amdhsa_reserve_flat_scratch 0
		.amdhsa_float_round_mode_32 0
		.amdhsa_float_round_mode_16_64 0
		.amdhsa_float_denorm_mode_32 3
		.amdhsa_float_denorm_mode_16_64 3
		.amdhsa_dx10_clamp 1
		.amdhsa_ieee_mode 1
		.amdhsa_fp16_overflow 0
		.amdhsa_tg_split 0
		.amdhsa_exception_fp_ieee_invalid_op 0
		.amdhsa_exception_fp_denorm_src 0
		.amdhsa_exception_fp_ieee_div_zero 0
		.amdhsa_exception_fp_ieee_overflow 0
		.amdhsa_exception_fp_ieee_underflow 0
		.amdhsa_exception_fp_ieee_inexact 0
		.amdhsa_exception_int_div_zero 0
	.end_amdhsa_kernel
	.section	.text._ZN7rocprim17ROCPRIM_400000_NS6detail17trampoline_kernelINS0_14default_configENS1_25transform_config_selectorIjLb0EEEZNS1_14transform_implILb0ES3_S5_NS0_18transform_iteratorINS0_17counting_iteratorImlEEZNS1_24adjacent_difference_implIS3_Lb1ELb0EPjN6thrust23THRUST_200600_302600_NS16discard_iteratorINSD_11use_defaultEEENSD_5minusIjEEEE10hipError_tPvRmT2_T3_mT4_P12ihipStream_tbEUlmE_jEESB_NS0_8identityIvEEEESJ_SM_SN_mSO_SQ_bEUlT_E_NS1_11comp_targetILNS1_3genE0ELNS1_11target_archE4294967295ELNS1_3gpuE0ELNS1_3repE0EEENS1_30default_config_static_selectorELNS0_4arch9wavefront6targetE1EEEvT1_,"axG",@progbits,_ZN7rocprim17ROCPRIM_400000_NS6detail17trampoline_kernelINS0_14default_configENS1_25transform_config_selectorIjLb0EEEZNS1_14transform_implILb0ES3_S5_NS0_18transform_iteratorINS0_17counting_iteratorImlEEZNS1_24adjacent_difference_implIS3_Lb1ELb0EPjN6thrust23THRUST_200600_302600_NS16discard_iteratorINSD_11use_defaultEEENSD_5minusIjEEEE10hipError_tPvRmT2_T3_mT4_P12ihipStream_tbEUlmE_jEESB_NS0_8identityIvEEEESJ_SM_SN_mSO_SQ_bEUlT_E_NS1_11comp_targetILNS1_3genE0ELNS1_11target_archE4294967295ELNS1_3gpuE0ELNS1_3repE0EEENS1_30default_config_static_selectorELNS0_4arch9wavefront6targetE1EEEvT1_,comdat
.Lfunc_end751:
	.size	_ZN7rocprim17ROCPRIM_400000_NS6detail17trampoline_kernelINS0_14default_configENS1_25transform_config_selectorIjLb0EEEZNS1_14transform_implILb0ES3_S5_NS0_18transform_iteratorINS0_17counting_iteratorImlEEZNS1_24adjacent_difference_implIS3_Lb1ELb0EPjN6thrust23THRUST_200600_302600_NS16discard_iteratorINSD_11use_defaultEEENSD_5minusIjEEEE10hipError_tPvRmT2_T3_mT4_P12ihipStream_tbEUlmE_jEESB_NS0_8identityIvEEEESJ_SM_SN_mSO_SQ_bEUlT_E_NS1_11comp_targetILNS1_3genE0ELNS1_11target_archE4294967295ELNS1_3gpuE0ELNS1_3repE0EEENS1_30default_config_static_selectorELNS0_4arch9wavefront6targetE1EEEvT1_, .Lfunc_end751-_ZN7rocprim17ROCPRIM_400000_NS6detail17trampoline_kernelINS0_14default_configENS1_25transform_config_selectorIjLb0EEEZNS1_14transform_implILb0ES3_S5_NS0_18transform_iteratorINS0_17counting_iteratorImlEEZNS1_24adjacent_difference_implIS3_Lb1ELb0EPjN6thrust23THRUST_200600_302600_NS16discard_iteratorINSD_11use_defaultEEENSD_5minusIjEEEE10hipError_tPvRmT2_T3_mT4_P12ihipStream_tbEUlmE_jEESB_NS0_8identityIvEEEESJ_SM_SN_mSO_SQ_bEUlT_E_NS1_11comp_targetILNS1_3genE0ELNS1_11target_archE4294967295ELNS1_3gpuE0ELNS1_3repE0EEENS1_30default_config_static_selectorELNS0_4arch9wavefront6targetE1EEEvT1_
                                        ; -- End function
	.section	.AMDGPU.csdata,"",@progbits
; Kernel info:
; codeLenInByte = 0
; NumSgprs: 4
; NumVgprs: 0
; NumAgprs: 0
; TotalNumVgprs: 0
; ScratchSize: 0
; MemoryBound: 0
; FloatMode: 240
; IeeeMode: 1
; LDSByteSize: 0 bytes/workgroup (compile time only)
; SGPRBlocks: 0
; VGPRBlocks: 0
; NumSGPRsForWavesPerEU: 4
; NumVGPRsForWavesPerEU: 1
; AccumOffset: 4
; Occupancy: 8
; WaveLimiterHint : 0
; COMPUTE_PGM_RSRC2:SCRATCH_EN: 0
; COMPUTE_PGM_RSRC2:USER_SGPR: 6
; COMPUTE_PGM_RSRC2:TRAP_HANDLER: 0
; COMPUTE_PGM_RSRC2:TGID_X_EN: 1
; COMPUTE_PGM_RSRC2:TGID_Y_EN: 0
; COMPUTE_PGM_RSRC2:TGID_Z_EN: 0
; COMPUTE_PGM_RSRC2:TIDIG_COMP_CNT: 0
; COMPUTE_PGM_RSRC3_GFX90A:ACCUM_OFFSET: 0
; COMPUTE_PGM_RSRC3_GFX90A:TG_SPLIT: 0
	.section	.text._ZN7rocprim17ROCPRIM_400000_NS6detail17trampoline_kernelINS0_14default_configENS1_25transform_config_selectorIjLb0EEEZNS1_14transform_implILb0ES3_S5_NS0_18transform_iteratorINS0_17counting_iteratorImlEEZNS1_24adjacent_difference_implIS3_Lb1ELb0EPjN6thrust23THRUST_200600_302600_NS16discard_iteratorINSD_11use_defaultEEENSD_5minusIjEEEE10hipError_tPvRmT2_T3_mT4_P12ihipStream_tbEUlmE_jEESB_NS0_8identityIvEEEESJ_SM_SN_mSO_SQ_bEUlT_E_NS1_11comp_targetILNS1_3genE5ELNS1_11target_archE942ELNS1_3gpuE9ELNS1_3repE0EEENS1_30default_config_static_selectorELNS0_4arch9wavefront6targetE1EEEvT1_,"axG",@progbits,_ZN7rocprim17ROCPRIM_400000_NS6detail17trampoline_kernelINS0_14default_configENS1_25transform_config_selectorIjLb0EEEZNS1_14transform_implILb0ES3_S5_NS0_18transform_iteratorINS0_17counting_iteratorImlEEZNS1_24adjacent_difference_implIS3_Lb1ELb0EPjN6thrust23THRUST_200600_302600_NS16discard_iteratorINSD_11use_defaultEEENSD_5minusIjEEEE10hipError_tPvRmT2_T3_mT4_P12ihipStream_tbEUlmE_jEESB_NS0_8identityIvEEEESJ_SM_SN_mSO_SQ_bEUlT_E_NS1_11comp_targetILNS1_3genE5ELNS1_11target_archE942ELNS1_3gpuE9ELNS1_3repE0EEENS1_30default_config_static_selectorELNS0_4arch9wavefront6targetE1EEEvT1_,comdat
	.protected	_ZN7rocprim17ROCPRIM_400000_NS6detail17trampoline_kernelINS0_14default_configENS1_25transform_config_selectorIjLb0EEEZNS1_14transform_implILb0ES3_S5_NS0_18transform_iteratorINS0_17counting_iteratorImlEEZNS1_24adjacent_difference_implIS3_Lb1ELb0EPjN6thrust23THRUST_200600_302600_NS16discard_iteratorINSD_11use_defaultEEENSD_5minusIjEEEE10hipError_tPvRmT2_T3_mT4_P12ihipStream_tbEUlmE_jEESB_NS0_8identityIvEEEESJ_SM_SN_mSO_SQ_bEUlT_E_NS1_11comp_targetILNS1_3genE5ELNS1_11target_archE942ELNS1_3gpuE9ELNS1_3repE0EEENS1_30default_config_static_selectorELNS0_4arch9wavefront6targetE1EEEvT1_ ; -- Begin function _ZN7rocprim17ROCPRIM_400000_NS6detail17trampoline_kernelINS0_14default_configENS1_25transform_config_selectorIjLb0EEEZNS1_14transform_implILb0ES3_S5_NS0_18transform_iteratorINS0_17counting_iteratorImlEEZNS1_24adjacent_difference_implIS3_Lb1ELb0EPjN6thrust23THRUST_200600_302600_NS16discard_iteratorINSD_11use_defaultEEENSD_5minusIjEEEE10hipError_tPvRmT2_T3_mT4_P12ihipStream_tbEUlmE_jEESB_NS0_8identityIvEEEESJ_SM_SN_mSO_SQ_bEUlT_E_NS1_11comp_targetILNS1_3genE5ELNS1_11target_archE942ELNS1_3gpuE9ELNS1_3repE0EEENS1_30default_config_static_selectorELNS0_4arch9wavefront6targetE1EEEvT1_
	.globl	_ZN7rocprim17ROCPRIM_400000_NS6detail17trampoline_kernelINS0_14default_configENS1_25transform_config_selectorIjLb0EEEZNS1_14transform_implILb0ES3_S5_NS0_18transform_iteratorINS0_17counting_iteratorImlEEZNS1_24adjacent_difference_implIS3_Lb1ELb0EPjN6thrust23THRUST_200600_302600_NS16discard_iteratorINSD_11use_defaultEEENSD_5minusIjEEEE10hipError_tPvRmT2_T3_mT4_P12ihipStream_tbEUlmE_jEESB_NS0_8identityIvEEEESJ_SM_SN_mSO_SQ_bEUlT_E_NS1_11comp_targetILNS1_3genE5ELNS1_11target_archE942ELNS1_3gpuE9ELNS1_3repE0EEENS1_30default_config_static_selectorELNS0_4arch9wavefront6targetE1EEEvT1_
	.p2align	8
	.type	_ZN7rocprim17ROCPRIM_400000_NS6detail17trampoline_kernelINS0_14default_configENS1_25transform_config_selectorIjLb0EEEZNS1_14transform_implILb0ES3_S5_NS0_18transform_iteratorINS0_17counting_iteratorImlEEZNS1_24adjacent_difference_implIS3_Lb1ELb0EPjN6thrust23THRUST_200600_302600_NS16discard_iteratorINSD_11use_defaultEEENSD_5minusIjEEEE10hipError_tPvRmT2_T3_mT4_P12ihipStream_tbEUlmE_jEESB_NS0_8identityIvEEEESJ_SM_SN_mSO_SQ_bEUlT_E_NS1_11comp_targetILNS1_3genE5ELNS1_11target_archE942ELNS1_3gpuE9ELNS1_3repE0EEENS1_30default_config_static_selectorELNS0_4arch9wavefront6targetE1EEEvT1_,@function
_ZN7rocprim17ROCPRIM_400000_NS6detail17trampoline_kernelINS0_14default_configENS1_25transform_config_selectorIjLb0EEEZNS1_14transform_implILb0ES3_S5_NS0_18transform_iteratorINS0_17counting_iteratorImlEEZNS1_24adjacent_difference_implIS3_Lb1ELb0EPjN6thrust23THRUST_200600_302600_NS16discard_iteratorINSD_11use_defaultEEENSD_5minusIjEEEE10hipError_tPvRmT2_T3_mT4_P12ihipStream_tbEUlmE_jEESB_NS0_8identityIvEEEESJ_SM_SN_mSO_SQ_bEUlT_E_NS1_11comp_targetILNS1_3genE5ELNS1_11target_archE942ELNS1_3gpuE9ELNS1_3repE0EEENS1_30default_config_static_selectorELNS0_4arch9wavefront6targetE1EEEvT1_: ; @_ZN7rocprim17ROCPRIM_400000_NS6detail17trampoline_kernelINS0_14default_configENS1_25transform_config_selectorIjLb0EEEZNS1_14transform_implILb0ES3_S5_NS0_18transform_iteratorINS0_17counting_iteratorImlEEZNS1_24adjacent_difference_implIS3_Lb1ELb0EPjN6thrust23THRUST_200600_302600_NS16discard_iteratorINSD_11use_defaultEEENSD_5minusIjEEEE10hipError_tPvRmT2_T3_mT4_P12ihipStream_tbEUlmE_jEESB_NS0_8identityIvEEEESJ_SM_SN_mSO_SQ_bEUlT_E_NS1_11comp_targetILNS1_3genE5ELNS1_11target_archE942ELNS1_3gpuE9ELNS1_3repE0EEENS1_30default_config_static_selectorELNS0_4arch9wavefront6targetE1EEEvT1_
; %bb.0:
	.section	.rodata,"a",@progbits
	.p2align	6, 0x0
	.amdhsa_kernel _ZN7rocprim17ROCPRIM_400000_NS6detail17trampoline_kernelINS0_14default_configENS1_25transform_config_selectorIjLb0EEEZNS1_14transform_implILb0ES3_S5_NS0_18transform_iteratorINS0_17counting_iteratorImlEEZNS1_24adjacent_difference_implIS3_Lb1ELb0EPjN6thrust23THRUST_200600_302600_NS16discard_iteratorINSD_11use_defaultEEENSD_5minusIjEEEE10hipError_tPvRmT2_T3_mT4_P12ihipStream_tbEUlmE_jEESB_NS0_8identityIvEEEESJ_SM_SN_mSO_SQ_bEUlT_E_NS1_11comp_targetILNS1_3genE5ELNS1_11target_archE942ELNS1_3gpuE9ELNS1_3repE0EEENS1_30default_config_static_selectorELNS0_4arch9wavefront6targetE1EEEvT1_
		.amdhsa_group_segment_fixed_size 0
		.amdhsa_private_segment_fixed_size 0
		.amdhsa_kernarg_size 56
		.amdhsa_user_sgpr_count 6
		.amdhsa_user_sgpr_private_segment_buffer 1
		.amdhsa_user_sgpr_dispatch_ptr 0
		.amdhsa_user_sgpr_queue_ptr 0
		.amdhsa_user_sgpr_kernarg_segment_ptr 1
		.amdhsa_user_sgpr_dispatch_id 0
		.amdhsa_user_sgpr_flat_scratch_init 0
		.amdhsa_user_sgpr_kernarg_preload_length 0
		.amdhsa_user_sgpr_kernarg_preload_offset 0
		.amdhsa_user_sgpr_private_segment_size 0
		.amdhsa_uses_dynamic_stack 0
		.amdhsa_system_sgpr_private_segment_wavefront_offset 0
		.amdhsa_system_sgpr_workgroup_id_x 1
		.amdhsa_system_sgpr_workgroup_id_y 0
		.amdhsa_system_sgpr_workgroup_id_z 0
		.amdhsa_system_sgpr_workgroup_info 0
		.amdhsa_system_vgpr_workitem_id 0
		.amdhsa_next_free_vgpr 1
		.amdhsa_next_free_sgpr 0
		.amdhsa_accum_offset 4
		.amdhsa_reserve_vcc 0
		.amdhsa_reserve_flat_scratch 0
		.amdhsa_float_round_mode_32 0
		.amdhsa_float_round_mode_16_64 0
		.amdhsa_float_denorm_mode_32 3
		.amdhsa_float_denorm_mode_16_64 3
		.amdhsa_dx10_clamp 1
		.amdhsa_ieee_mode 1
		.amdhsa_fp16_overflow 0
		.amdhsa_tg_split 0
		.amdhsa_exception_fp_ieee_invalid_op 0
		.amdhsa_exception_fp_denorm_src 0
		.amdhsa_exception_fp_ieee_div_zero 0
		.amdhsa_exception_fp_ieee_overflow 0
		.amdhsa_exception_fp_ieee_underflow 0
		.amdhsa_exception_fp_ieee_inexact 0
		.amdhsa_exception_int_div_zero 0
	.end_amdhsa_kernel
	.section	.text._ZN7rocprim17ROCPRIM_400000_NS6detail17trampoline_kernelINS0_14default_configENS1_25transform_config_selectorIjLb0EEEZNS1_14transform_implILb0ES3_S5_NS0_18transform_iteratorINS0_17counting_iteratorImlEEZNS1_24adjacent_difference_implIS3_Lb1ELb0EPjN6thrust23THRUST_200600_302600_NS16discard_iteratorINSD_11use_defaultEEENSD_5minusIjEEEE10hipError_tPvRmT2_T3_mT4_P12ihipStream_tbEUlmE_jEESB_NS0_8identityIvEEEESJ_SM_SN_mSO_SQ_bEUlT_E_NS1_11comp_targetILNS1_3genE5ELNS1_11target_archE942ELNS1_3gpuE9ELNS1_3repE0EEENS1_30default_config_static_selectorELNS0_4arch9wavefront6targetE1EEEvT1_,"axG",@progbits,_ZN7rocprim17ROCPRIM_400000_NS6detail17trampoline_kernelINS0_14default_configENS1_25transform_config_selectorIjLb0EEEZNS1_14transform_implILb0ES3_S5_NS0_18transform_iteratorINS0_17counting_iteratorImlEEZNS1_24adjacent_difference_implIS3_Lb1ELb0EPjN6thrust23THRUST_200600_302600_NS16discard_iteratorINSD_11use_defaultEEENSD_5minusIjEEEE10hipError_tPvRmT2_T3_mT4_P12ihipStream_tbEUlmE_jEESB_NS0_8identityIvEEEESJ_SM_SN_mSO_SQ_bEUlT_E_NS1_11comp_targetILNS1_3genE5ELNS1_11target_archE942ELNS1_3gpuE9ELNS1_3repE0EEENS1_30default_config_static_selectorELNS0_4arch9wavefront6targetE1EEEvT1_,comdat
.Lfunc_end752:
	.size	_ZN7rocprim17ROCPRIM_400000_NS6detail17trampoline_kernelINS0_14default_configENS1_25transform_config_selectorIjLb0EEEZNS1_14transform_implILb0ES3_S5_NS0_18transform_iteratorINS0_17counting_iteratorImlEEZNS1_24adjacent_difference_implIS3_Lb1ELb0EPjN6thrust23THRUST_200600_302600_NS16discard_iteratorINSD_11use_defaultEEENSD_5minusIjEEEE10hipError_tPvRmT2_T3_mT4_P12ihipStream_tbEUlmE_jEESB_NS0_8identityIvEEEESJ_SM_SN_mSO_SQ_bEUlT_E_NS1_11comp_targetILNS1_3genE5ELNS1_11target_archE942ELNS1_3gpuE9ELNS1_3repE0EEENS1_30default_config_static_selectorELNS0_4arch9wavefront6targetE1EEEvT1_, .Lfunc_end752-_ZN7rocprim17ROCPRIM_400000_NS6detail17trampoline_kernelINS0_14default_configENS1_25transform_config_selectorIjLb0EEEZNS1_14transform_implILb0ES3_S5_NS0_18transform_iteratorINS0_17counting_iteratorImlEEZNS1_24adjacent_difference_implIS3_Lb1ELb0EPjN6thrust23THRUST_200600_302600_NS16discard_iteratorINSD_11use_defaultEEENSD_5minusIjEEEE10hipError_tPvRmT2_T3_mT4_P12ihipStream_tbEUlmE_jEESB_NS0_8identityIvEEEESJ_SM_SN_mSO_SQ_bEUlT_E_NS1_11comp_targetILNS1_3genE5ELNS1_11target_archE942ELNS1_3gpuE9ELNS1_3repE0EEENS1_30default_config_static_selectorELNS0_4arch9wavefront6targetE1EEEvT1_
                                        ; -- End function
	.section	.AMDGPU.csdata,"",@progbits
; Kernel info:
; codeLenInByte = 0
; NumSgprs: 4
; NumVgprs: 0
; NumAgprs: 0
; TotalNumVgprs: 0
; ScratchSize: 0
; MemoryBound: 0
; FloatMode: 240
; IeeeMode: 1
; LDSByteSize: 0 bytes/workgroup (compile time only)
; SGPRBlocks: 0
; VGPRBlocks: 0
; NumSGPRsForWavesPerEU: 4
; NumVGPRsForWavesPerEU: 1
; AccumOffset: 4
; Occupancy: 8
; WaveLimiterHint : 0
; COMPUTE_PGM_RSRC2:SCRATCH_EN: 0
; COMPUTE_PGM_RSRC2:USER_SGPR: 6
; COMPUTE_PGM_RSRC2:TRAP_HANDLER: 0
; COMPUTE_PGM_RSRC2:TGID_X_EN: 1
; COMPUTE_PGM_RSRC2:TGID_Y_EN: 0
; COMPUTE_PGM_RSRC2:TGID_Z_EN: 0
; COMPUTE_PGM_RSRC2:TIDIG_COMP_CNT: 0
; COMPUTE_PGM_RSRC3_GFX90A:ACCUM_OFFSET: 0
; COMPUTE_PGM_RSRC3_GFX90A:TG_SPLIT: 0
	.section	.text._ZN7rocprim17ROCPRIM_400000_NS6detail17trampoline_kernelINS0_14default_configENS1_25transform_config_selectorIjLb0EEEZNS1_14transform_implILb0ES3_S5_NS0_18transform_iteratorINS0_17counting_iteratorImlEEZNS1_24adjacent_difference_implIS3_Lb1ELb0EPjN6thrust23THRUST_200600_302600_NS16discard_iteratorINSD_11use_defaultEEENSD_5minusIjEEEE10hipError_tPvRmT2_T3_mT4_P12ihipStream_tbEUlmE_jEESB_NS0_8identityIvEEEESJ_SM_SN_mSO_SQ_bEUlT_E_NS1_11comp_targetILNS1_3genE4ELNS1_11target_archE910ELNS1_3gpuE8ELNS1_3repE0EEENS1_30default_config_static_selectorELNS0_4arch9wavefront6targetE1EEEvT1_,"axG",@progbits,_ZN7rocprim17ROCPRIM_400000_NS6detail17trampoline_kernelINS0_14default_configENS1_25transform_config_selectorIjLb0EEEZNS1_14transform_implILb0ES3_S5_NS0_18transform_iteratorINS0_17counting_iteratorImlEEZNS1_24adjacent_difference_implIS3_Lb1ELb0EPjN6thrust23THRUST_200600_302600_NS16discard_iteratorINSD_11use_defaultEEENSD_5minusIjEEEE10hipError_tPvRmT2_T3_mT4_P12ihipStream_tbEUlmE_jEESB_NS0_8identityIvEEEESJ_SM_SN_mSO_SQ_bEUlT_E_NS1_11comp_targetILNS1_3genE4ELNS1_11target_archE910ELNS1_3gpuE8ELNS1_3repE0EEENS1_30default_config_static_selectorELNS0_4arch9wavefront6targetE1EEEvT1_,comdat
	.protected	_ZN7rocprim17ROCPRIM_400000_NS6detail17trampoline_kernelINS0_14default_configENS1_25transform_config_selectorIjLb0EEEZNS1_14transform_implILb0ES3_S5_NS0_18transform_iteratorINS0_17counting_iteratorImlEEZNS1_24adjacent_difference_implIS3_Lb1ELb0EPjN6thrust23THRUST_200600_302600_NS16discard_iteratorINSD_11use_defaultEEENSD_5minusIjEEEE10hipError_tPvRmT2_T3_mT4_P12ihipStream_tbEUlmE_jEESB_NS0_8identityIvEEEESJ_SM_SN_mSO_SQ_bEUlT_E_NS1_11comp_targetILNS1_3genE4ELNS1_11target_archE910ELNS1_3gpuE8ELNS1_3repE0EEENS1_30default_config_static_selectorELNS0_4arch9wavefront6targetE1EEEvT1_ ; -- Begin function _ZN7rocprim17ROCPRIM_400000_NS6detail17trampoline_kernelINS0_14default_configENS1_25transform_config_selectorIjLb0EEEZNS1_14transform_implILb0ES3_S5_NS0_18transform_iteratorINS0_17counting_iteratorImlEEZNS1_24adjacent_difference_implIS3_Lb1ELb0EPjN6thrust23THRUST_200600_302600_NS16discard_iteratorINSD_11use_defaultEEENSD_5minusIjEEEE10hipError_tPvRmT2_T3_mT4_P12ihipStream_tbEUlmE_jEESB_NS0_8identityIvEEEESJ_SM_SN_mSO_SQ_bEUlT_E_NS1_11comp_targetILNS1_3genE4ELNS1_11target_archE910ELNS1_3gpuE8ELNS1_3repE0EEENS1_30default_config_static_selectorELNS0_4arch9wavefront6targetE1EEEvT1_
	.globl	_ZN7rocprim17ROCPRIM_400000_NS6detail17trampoline_kernelINS0_14default_configENS1_25transform_config_selectorIjLb0EEEZNS1_14transform_implILb0ES3_S5_NS0_18transform_iteratorINS0_17counting_iteratorImlEEZNS1_24adjacent_difference_implIS3_Lb1ELb0EPjN6thrust23THRUST_200600_302600_NS16discard_iteratorINSD_11use_defaultEEENSD_5minusIjEEEE10hipError_tPvRmT2_T3_mT4_P12ihipStream_tbEUlmE_jEESB_NS0_8identityIvEEEESJ_SM_SN_mSO_SQ_bEUlT_E_NS1_11comp_targetILNS1_3genE4ELNS1_11target_archE910ELNS1_3gpuE8ELNS1_3repE0EEENS1_30default_config_static_selectorELNS0_4arch9wavefront6targetE1EEEvT1_
	.p2align	8
	.type	_ZN7rocprim17ROCPRIM_400000_NS6detail17trampoline_kernelINS0_14default_configENS1_25transform_config_selectorIjLb0EEEZNS1_14transform_implILb0ES3_S5_NS0_18transform_iteratorINS0_17counting_iteratorImlEEZNS1_24adjacent_difference_implIS3_Lb1ELb0EPjN6thrust23THRUST_200600_302600_NS16discard_iteratorINSD_11use_defaultEEENSD_5minusIjEEEE10hipError_tPvRmT2_T3_mT4_P12ihipStream_tbEUlmE_jEESB_NS0_8identityIvEEEESJ_SM_SN_mSO_SQ_bEUlT_E_NS1_11comp_targetILNS1_3genE4ELNS1_11target_archE910ELNS1_3gpuE8ELNS1_3repE0EEENS1_30default_config_static_selectorELNS0_4arch9wavefront6targetE1EEEvT1_,@function
_ZN7rocprim17ROCPRIM_400000_NS6detail17trampoline_kernelINS0_14default_configENS1_25transform_config_selectorIjLb0EEEZNS1_14transform_implILb0ES3_S5_NS0_18transform_iteratorINS0_17counting_iteratorImlEEZNS1_24adjacent_difference_implIS3_Lb1ELb0EPjN6thrust23THRUST_200600_302600_NS16discard_iteratorINSD_11use_defaultEEENSD_5minusIjEEEE10hipError_tPvRmT2_T3_mT4_P12ihipStream_tbEUlmE_jEESB_NS0_8identityIvEEEESJ_SM_SN_mSO_SQ_bEUlT_E_NS1_11comp_targetILNS1_3genE4ELNS1_11target_archE910ELNS1_3gpuE8ELNS1_3repE0EEENS1_30default_config_static_selectorELNS0_4arch9wavefront6targetE1EEEvT1_: ; @_ZN7rocprim17ROCPRIM_400000_NS6detail17trampoline_kernelINS0_14default_configENS1_25transform_config_selectorIjLb0EEEZNS1_14transform_implILb0ES3_S5_NS0_18transform_iteratorINS0_17counting_iteratorImlEEZNS1_24adjacent_difference_implIS3_Lb1ELb0EPjN6thrust23THRUST_200600_302600_NS16discard_iteratorINSD_11use_defaultEEENSD_5minusIjEEEE10hipError_tPvRmT2_T3_mT4_P12ihipStream_tbEUlmE_jEESB_NS0_8identityIvEEEESJ_SM_SN_mSO_SQ_bEUlT_E_NS1_11comp_targetILNS1_3genE4ELNS1_11target_archE910ELNS1_3gpuE8ELNS1_3repE0EEENS1_30default_config_static_selectorELNS0_4arch9wavefront6targetE1EEEvT1_
; %bb.0:
	s_load_dwordx4 s[0:3], s[4:5], 0x18
	s_load_dwordx2 s[14:15], s[4:5], 0x28
	s_load_dwordx4 s[8:11], s[4:5], 0x0
	s_load_dword s12, s[4:5], 0x10
	s_waitcnt lgkmcnt(0)
	s_load_dword s3, s[4:5], 0x38
                                        ; kill: killed $sgpr4_sgpr5
	s_lshl_b64 s[4:5], s[0:1], 2
	s_add_u32 s14, s14, s4
	s_addc_u32 s15, s15, s5
	s_lshl_b32 s4, s6, 11
	s_waitcnt lgkmcnt(0)
	s_add_i32 s3, s3, -1
	s_add_u32 s7, s8, s4
	s_addc_u32 s8, s9, 0
	s_add_u32 s16, s7, s0
	s_addc_u32 s17, s8, s1
	s_mov_b32 s5, 0
	s_cmp_lg_u32 s6, s3
	v_lshlrev_b32_e32 v1, 2, v0
	s_cbranch_scc0 .LBB753_2
; %bb.1:
	v_mov_b32_e32 v2, s17
	v_add_co_u32_e32 v3, vcc, s16, v0
	v_addc_co_u32_e32 v5, vcc, 0, v2, vcc
	v_mad_u64_u32 v[2:3], s[0:1], v3, s12, 0
	v_mov_b32_e32 v4, v3
	v_mad_u64_u32 v[4:5], s[0:1], v5, s12, v[4:5]
	v_mov_b32_e32 v3, v4
	v_lshlrev_b64 v[2:3], 2, v[2:3]
	s_mov_b32 s13, s5
	v_mov_b32_e32 v4, s11
	v_add_co_u32_e32 v2, vcc, s10, v2
	v_addc_co_u32_e32 v3, vcc, v4, v3, vcc
	s_lshl_b64 s[0:1], s[12:13], 12
	global_load_dword v6, v[2:3], off
	v_mov_b32_e32 v4, s1
	v_add_co_u32_e32 v2, vcc, s0, v2
	v_addc_co_u32_e32 v3, vcc, v3, v4, vcc
	global_load_dword v3, v[2:3], off
	s_lshl_b64 s[6:7], s[4:5], 2
	s_add_u32 s6, s14, s6
	s_addc_u32 s7, s15, s7
	v_mov_b32_e32 v2, s7
	v_add_co_u32_e32 v4, vcc, s6, v1
	v_addc_co_u32_e32 v5, vcc, 0, v2, vcc
	s_waitcnt vmcnt(1)
	global_store_dword v1, v6, s[6:7]
	s_mov_b64 s[6:7], -1
	s_cbranch_execz .LBB753_3
	s_branch .LBB753_12
.LBB753_2:
	s_mov_b64 s[6:7], 0
                                        ; implicit-def: $vgpr3
                                        ; implicit-def: $vgpr4_vgpr5
.LBB753_3:
	s_sub_i32 s8, s2, s4
	v_cmp_gt_u32_e32 vcc, s8, v0
                                        ; implicit-def: $vgpr2_vgpr3
	s_and_saveexec_b64 s[2:3], vcc
	s_cbranch_execz .LBB753_5
; %bb.4:
	v_mov_b32_e32 v2, s17
	s_waitcnt vmcnt(1)
	v_add_co_u32_e64 v3, s[0:1], s16, v0
	v_addc_co_u32_e64 v5, s[0:1], 0, v2, s[0:1]
	v_mad_u64_u32 v[2:3], s[0:1], v3, s12, 0
	v_mov_b32_e32 v4, v3
	v_mad_u64_u32 v[4:5], s[0:1], v5, s12, v[4:5]
	v_mov_b32_e32 v3, v4
	v_lshlrev_b64 v[2:3], 2, v[2:3]
	v_mov_b32_e32 v4, s11
	v_add_co_u32_e64 v2, s[0:1], s10, v2
	v_addc_co_u32_e64 v3, s[0:1], v4, v3, s[0:1]
	global_load_dword v2, v[2:3], off
.LBB753_5:
	s_or_b64 exec, exec, s[2:3]
	v_or_b32_e32 v0, 0x400, v0
	v_cmp_gt_u32_e64 s[0:1], s8, v0
	s_and_saveexec_b64 s[8:9], s[0:1]
	s_cbranch_execz .LBB753_7
; %bb.6:
	s_waitcnt vmcnt(1)
	v_mov_b32_e32 v3, s17
	v_add_co_u32_e64 v0, s[2:3], s16, v0
	v_addc_co_u32_e64 v3, s[2:3], 0, v3, s[2:3]
	v_mad_u64_u32 v[4:5], s[2:3], v0, s12, 0
	v_mov_b32_e32 v0, v5
	v_mad_u64_u32 v[6:7], s[2:3], v3, s12, v[0:1]
	v_mov_b32_e32 v5, v6
	v_lshlrev_b64 v[4:5], 2, v[4:5]
	v_mov_b32_e32 v0, s11
	v_add_co_u32_e64 v4, s[2:3], s10, v4
	v_addc_co_u32_e64 v5, s[2:3], v0, v5, s[2:3]
	global_load_dword v3, v[4:5], off
.LBB753_7:
	s_or_b64 exec, exec, s[8:9]
	s_lshl_b64 s[2:3], s[4:5], 2
	s_add_u32 s2, s14, s2
	s_addc_u32 s3, s15, s3
	v_mov_b32_e32 v0, s3
	v_add_co_u32_e64 v4, s[2:3], s2, v1
	v_addc_co_u32_e64 v5, s[2:3], 0, v0, s[2:3]
	s_and_saveexec_b64 s[2:3], vcc
	s_cbranch_execz .LBB753_9
; %bb.8:
	s_waitcnt vmcnt(0)
	global_store_dword v[4:5], v2, off
.LBB753_9:
	s_or_b64 exec, exec, s[2:3]
	s_and_saveexec_b64 s[2:3], s[0:1]
; %bb.10:
	s_or_b64 s[6:7], s[6:7], exec
; %bb.11:
	s_or_b64 exec, exec, s[2:3]
.LBB753_12:
	s_and_saveexec_b64 s[0:1], s[6:7]
	s_cbranch_execnz .LBB753_14
; %bb.13:
	s_endpgm
.LBB753_14:
	v_add_co_u32_e32 v0, vcc, 0x1000, v4
	v_addc_co_u32_e32 v1, vcc, 0, v5, vcc
	s_waitcnt vmcnt(0)
	global_store_dword v[0:1], v3, off
	s_endpgm
	.section	.rodata,"a",@progbits
	.p2align	6, 0x0
	.amdhsa_kernel _ZN7rocprim17ROCPRIM_400000_NS6detail17trampoline_kernelINS0_14default_configENS1_25transform_config_selectorIjLb0EEEZNS1_14transform_implILb0ES3_S5_NS0_18transform_iteratorINS0_17counting_iteratorImlEEZNS1_24adjacent_difference_implIS3_Lb1ELb0EPjN6thrust23THRUST_200600_302600_NS16discard_iteratorINSD_11use_defaultEEENSD_5minusIjEEEE10hipError_tPvRmT2_T3_mT4_P12ihipStream_tbEUlmE_jEESB_NS0_8identityIvEEEESJ_SM_SN_mSO_SQ_bEUlT_E_NS1_11comp_targetILNS1_3genE4ELNS1_11target_archE910ELNS1_3gpuE8ELNS1_3repE0EEENS1_30default_config_static_selectorELNS0_4arch9wavefront6targetE1EEEvT1_
		.amdhsa_group_segment_fixed_size 0
		.amdhsa_private_segment_fixed_size 0
		.amdhsa_kernarg_size 312
		.amdhsa_user_sgpr_count 6
		.amdhsa_user_sgpr_private_segment_buffer 1
		.amdhsa_user_sgpr_dispatch_ptr 0
		.amdhsa_user_sgpr_queue_ptr 0
		.amdhsa_user_sgpr_kernarg_segment_ptr 1
		.amdhsa_user_sgpr_dispatch_id 0
		.amdhsa_user_sgpr_flat_scratch_init 0
		.amdhsa_user_sgpr_kernarg_preload_length 0
		.amdhsa_user_sgpr_kernarg_preload_offset 0
		.amdhsa_user_sgpr_private_segment_size 0
		.amdhsa_uses_dynamic_stack 0
		.amdhsa_system_sgpr_private_segment_wavefront_offset 0
		.amdhsa_system_sgpr_workgroup_id_x 1
		.amdhsa_system_sgpr_workgroup_id_y 0
		.amdhsa_system_sgpr_workgroup_id_z 0
		.amdhsa_system_sgpr_workgroup_info 0
		.amdhsa_system_vgpr_workitem_id 0
		.amdhsa_next_free_vgpr 8
		.amdhsa_next_free_sgpr 18
		.amdhsa_accum_offset 8
		.amdhsa_reserve_vcc 1
		.amdhsa_reserve_flat_scratch 0
		.amdhsa_float_round_mode_32 0
		.amdhsa_float_round_mode_16_64 0
		.amdhsa_float_denorm_mode_32 3
		.amdhsa_float_denorm_mode_16_64 3
		.amdhsa_dx10_clamp 1
		.amdhsa_ieee_mode 1
		.amdhsa_fp16_overflow 0
		.amdhsa_tg_split 0
		.amdhsa_exception_fp_ieee_invalid_op 0
		.amdhsa_exception_fp_denorm_src 0
		.amdhsa_exception_fp_ieee_div_zero 0
		.amdhsa_exception_fp_ieee_overflow 0
		.amdhsa_exception_fp_ieee_underflow 0
		.amdhsa_exception_fp_ieee_inexact 0
		.amdhsa_exception_int_div_zero 0
	.end_amdhsa_kernel
	.section	.text._ZN7rocprim17ROCPRIM_400000_NS6detail17trampoline_kernelINS0_14default_configENS1_25transform_config_selectorIjLb0EEEZNS1_14transform_implILb0ES3_S5_NS0_18transform_iteratorINS0_17counting_iteratorImlEEZNS1_24adjacent_difference_implIS3_Lb1ELb0EPjN6thrust23THRUST_200600_302600_NS16discard_iteratorINSD_11use_defaultEEENSD_5minusIjEEEE10hipError_tPvRmT2_T3_mT4_P12ihipStream_tbEUlmE_jEESB_NS0_8identityIvEEEESJ_SM_SN_mSO_SQ_bEUlT_E_NS1_11comp_targetILNS1_3genE4ELNS1_11target_archE910ELNS1_3gpuE8ELNS1_3repE0EEENS1_30default_config_static_selectorELNS0_4arch9wavefront6targetE1EEEvT1_,"axG",@progbits,_ZN7rocprim17ROCPRIM_400000_NS6detail17trampoline_kernelINS0_14default_configENS1_25transform_config_selectorIjLb0EEEZNS1_14transform_implILb0ES3_S5_NS0_18transform_iteratorINS0_17counting_iteratorImlEEZNS1_24adjacent_difference_implIS3_Lb1ELb0EPjN6thrust23THRUST_200600_302600_NS16discard_iteratorINSD_11use_defaultEEENSD_5minusIjEEEE10hipError_tPvRmT2_T3_mT4_P12ihipStream_tbEUlmE_jEESB_NS0_8identityIvEEEESJ_SM_SN_mSO_SQ_bEUlT_E_NS1_11comp_targetILNS1_3genE4ELNS1_11target_archE910ELNS1_3gpuE8ELNS1_3repE0EEENS1_30default_config_static_selectorELNS0_4arch9wavefront6targetE1EEEvT1_,comdat
.Lfunc_end753:
	.size	_ZN7rocprim17ROCPRIM_400000_NS6detail17trampoline_kernelINS0_14default_configENS1_25transform_config_selectorIjLb0EEEZNS1_14transform_implILb0ES3_S5_NS0_18transform_iteratorINS0_17counting_iteratorImlEEZNS1_24adjacent_difference_implIS3_Lb1ELb0EPjN6thrust23THRUST_200600_302600_NS16discard_iteratorINSD_11use_defaultEEENSD_5minusIjEEEE10hipError_tPvRmT2_T3_mT4_P12ihipStream_tbEUlmE_jEESB_NS0_8identityIvEEEESJ_SM_SN_mSO_SQ_bEUlT_E_NS1_11comp_targetILNS1_3genE4ELNS1_11target_archE910ELNS1_3gpuE8ELNS1_3repE0EEENS1_30default_config_static_selectorELNS0_4arch9wavefront6targetE1EEEvT1_, .Lfunc_end753-_ZN7rocprim17ROCPRIM_400000_NS6detail17trampoline_kernelINS0_14default_configENS1_25transform_config_selectorIjLb0EEEZNS1_14transform_implILb0ES3_S5_NS0_18transform_iteratorINS0_17counting_iteratorImlEEZNS1_24adjacent_difference_implIS3_Lb1ELb0EPjN6thrust23THRUST_200600_302600_NS16discard_iteratorINSD_11use_defaultEEENSD_5minusIjEEEE10hipError_tPvRmT2_T3_mT4_P12ihipStream_tbEUlmE_jEESB_NS0_8identityIvEEEESJ_SM_SN_mSO_SQ_bEUlT_E_NS1_11comp_targetILNS1_3genE4ELNS1_11target_archE910ELNS1_3gpuE8ELNS1_3repE0EEENS1_30default_config_static_selectorELNS0_4arch9wavefront6targetE1EEEvT1_
                                        ; -- End function
	.section	.AMDGPU.csdata,"",@progbits
; Kernel info:
; codeLenInByte = 568
; NumSgprs: 22
; NumVgprs: 8
; NumAgprs: 0
; TotalNumVgprs: 8
; ScratchSize: 0
; MemoryBound: 0
; FloatMode: 240
; IeeeMode: 1
; LDSByteSize: 0 bytes/workgroup (compile time only)
; SGPRBlocks: 2
; VGPRBlocks: 0
; NumSGPRsForWavesPerEU: 22
; NumVGPRsForWavesPerEU: 8
; AccumOffset: 8
; Occupancy: 8
; WaveLimiterHint : 0
; COMPUTE_PGM_RSRC2:SCRATCH_EN: 0
; COMPUTE_PGM_RSRC2:USER_SGPR: 6
; COMPUTE_PGM_RSRC2:TRAP_HANDLER: 0
; COMPUTE_PGM_RSRC2:TGID_X_EN: 1
; COMPUTE_PGM_RSRC2:TGID_Y_EN: 0
; COMPUTE_PGM_RSRC2:TGID_Z_EN: 0
; COMPUTE_PGM_RSRC2:TIDIG_COMP_CNT: 0
; COMPUTE_PGM_RSRC3_GFX90A:ACCUM_OFFSET: 1
; COMPUTE_PGM_RSRC3_GFX90A:TG_SPLIT: 0
	.section	.text._ZN7rocprim17ROCPRIM_400000_NS6detail17trampoline_kernelINS0_14default_configENS1_25transform_config_selectorIjLb0EEEZNS1_14transform_implILb0ES3_S5_NS0_18transform_iteratorINS0_17counting_iteratorImlEEZNS1_24adjacent_difference_implIS3_Lb1ELb0EPjN6thrust23THRUST_200600_302600_NS16discard_iteratorINSD_11use_defaultEEENSD_5minusIjEEEE10hipError_tPvRmT2_T3_mT4_P12ihipStream_tbEUlmE_jEESB_NS0_8identityIvEEEESJ_SM_SN_mSO_SQ_bEUlT_E_NS1_11comp_targetILNS1_3genE3ELNS1_11target_archE908ELNS1_3gpuE7ELNS1_3repE0EEENS1_30default_config_static_selectorELNS0_4arch9wavefront6targetE1EEEvT1_,"axG",@progbits,_ZN7rocprim17ROCPRIM_400000_NS6detail17trampoline_kernelINS0_14default_configENS1_25transform_config_selectorIjLb0EEEZNS1_14transform_implILb0ES3_S5_NS0_18transform_iteratorINS0_17counting_iteratorImlEEZNS1_24adjacent_difference_implIS3_Lb1ELb0EPjN6thrust23THRUST_200600_302600_NS16discard_iteratorINSD_11use_defaultEEENSD_5minusIjEEEE10hipError_tPvRmT2_T3_mT4_P12ihipStream_tbEUlmE_jEESB_NS0_8identityIvEEEESJ_SM_SN_mSO_SQ_bEUlT_E_NS1_11comp_targetILNS1_3genE3ELNS1_11target_archE908ELNS1_3gpuE7ELNS1_3repE0EEENS1_30default_config_static_selectorELNS0_4arch9wavefront6targetE1EEEvT1_,comdat
	.protected	_ZN7rocprim17ROCPRIM_400000_NS6detail17trampoline_kernelINS0_14default_configENS1_25transform_config_selectorIjLb0EEEZNS1_14transform_implILb0ES3_S5_NS0_18transform_iteratorINS0_17counting_iteratorImlEEZNS1_24adjacent_difference_implIS3_Lb1ELb0EPjN6thrust23THRUST_200600_302600_NS16discard_iteratorINSD_11use_defaultEEENSD_5minusIjEEEE10hipError_tPvRmT2_T3_mT4_P12ihipStream_tbEUlmE_jEESB_NS0_8identityIvEEEESJ_SM_SN_mSO_SQ_bEUlT_E_NS1_11comp_targetILNS1_3genE3ELNS1_11target_archE908ELNS1_3gpuE7ELNS1_3repE0EEENS1_30default_config_static_selectorELNS0_4arch9wavefront6targetE1EEEvT1_ ; -- Begin function _ZN7rocprim17ROCPRIM_400000_NS6detail17trampoline_kernelINS0_14default_configENS1_25transform_config_selectorIjLb0EEEZNS1_14transform_implILb0ES3_S5_NS0_18transform_iteratorINS0_17counting_iteratorImlEEZNS1_24adjacent_difference_implIS3_Lb1ELb0EPjN6thrust23THRUST_200600_302600_NS16discard_iteratorINSD_11use_defaultEEENSD_5minusIjEEEE10hipError_tPvRmT2_T3_mT4_P12ihipStream_tbEUlmE_jEESB_NS0_8identityIvEEEESJ_SM_SN_mSO_SQ_bEUlT_E_NS1_11comp_targetILNS1_3genE3ELNS1_11target_archE908ELNS1_3gpuE7ELNS1_3repE0EEENS1_30default_config_static_selectorELNS0_4arch9wavefront6targetE1EEEvT1_
	.globl	_ZN7rocprim17ROCPRIM_400000_NS6detail17trampoline_kernelINS0_14default_configENS1_25transform_config_selectorIjLb0EEEZNS1_14transform_implILb0ES3_S5_NS0_18transform_iteratorINS0_17counting_iteratorImlEEZNS1_24adjacent_difference_implIS3_Lb1ELb0EPjN6thrust23THRUST_200600_302600_NS16discard_iteratorINSD_11use_defaultEEENSD_5minusIjEEEE10hipError_tPvRmT2_T3_mT4_P12ihipStream_tbEUlmE_jEESB_NS0_8identityIvEEEESJ_SM_SN_mSO_SQ_bEUlT_E_NS1_11comp_targetILNS1_3genE3ELNS1_11target_archE908ELNS1_3gpuE7ELNS1_3repE0EEENS1_30default_config_static_selectorELNS0_4arch9wavefront6targetE1EEEvT1_
	.p2align	8
	.type	_ZN7rocprim17ROCPRIM_400000_NS6detail17trampoline_kernelINS0_14default_configENS1_25transform_config_selectorIjLb0EEEZNS1_14transform_implILb0ES3_S5_NS0_18transform_iteratorINS0_17counting_iteratorImlEEZNS1_24adjacent_difference_implIS3_Lb1ELb0EPjN6thrust23THRUST_200600_302600_NS16discard_iteratorINSD_11use_defaultEEENSD_5minusIjEEEE10hipError_tPvRmT2_T3_mT4_P12ihipStream_tbEUlmE_jEESB_NS0_8identityIvEEEESJ_SM_SN_mSO_SQ_bEUlT_E_NS1_11comp_targetILNS1_3genE3ELNS1_11target_archE908ELNS1_3gpuE7ELNS1_3repE0EEENS1_30default_config_static_selectorELNS0_4arch9wavefront6targetE1EEEvT1_,@function
_ZN7rocprim17ROCPRIM_400000_NS6detail17trampoline_kernelINS0_14default_configENS1_25transform_config_selectorIjLb0EEEZNS1_14transform_implILb0ES3_S5_NS0_18transform_iteratorINS0_17counting_iteratorImlEEZNS1_24adjacent_difference_implIS3_Lb1ELb0EPjN6thrust23THRUST_200600_302600_NS16discard_iteratorINSD_11use_defaultEEENSD_5minusIjEEEE10hipError_tPvRmT2_T3_mT4_P12ihipStream_tbEUlmE_jEESB_NS0_8identityIvEEEESJ_SM_SN_mSO_SQ_bEUlT_E_NS1_11comp_targetILNS1_3genE3ELNS1_11target_archE908ELNS1_3gpuE7ELNS1_3repE0EEENS1_30default_config_static_selectorELNS0_4arch9wavefront6targetE1EEEvT1_: ; @_ZN7rocprim17ROCPRIM_400000_NS6detail17trampoline_kernelINS0_14default_configENS1_25transform_config_selectorIjLb0EEEZNS1_14transform_implILb0ES3_S5_NS0_18transform_iteratorINS0_17counting_iteratorImlEEZNS1_24adjacent_difference_implIS3_Lb1ELb0EPjN6thrust23THRUST_200600_302600_NS16discard_iteratorINSD_11use_defaultEEENSD_5minusIjEEEE10hipError_tPvRmT2_T3_mT4_P12ihipStream_tbEUlmE_jEESB_NS0_8identityIvEEEESJ_SM_SN_mSO_SQ_bEUlT_E_NS1_11comp_targetILNS1_3genE3ELNS1_11target_archE908ELNS1_3gpuE7ELNS1_3repE0EEENS1_30default_config_static_selectorELNS0_4arch9wavefront6targetE1EEEvT1_
; %bb.0:
	.section	.rodata,"a",@progbits
	.p2align	6, 0x0
	.amdhsa_kernel _ZN7rocprim17ROCPRIM_400000_NS6detail17trampoline_kernelINS0_14default_configENS1_25transform_config_selectorIjLb0EEEZNS1_14transform_implILb0ES3_S5_NS0_18transform_iteratorINS0_17counting_iteratorImlEEZNS1_24adjacent_difference_implIS3_Lb1ELb0EPjN6thrust23THRUST_200600_302600_NS16discard_iteratorINSD_11use_defaultEEENSD_5minusIjEEEE10hipError_tPvRmT2_T3_mT4_P12ihipStream_tbEUlmE_jEESB_NS0_8identityIvEEEESJ_SM_SN_mSO_SQ_bEUlT_E_NS1_11comp_targetILNS1_3genE3ELNS1_11target_archE908ELNS1_3gpuE7ELNS1_3repE0EEENS1_30default_config_static_selectorELNS0_4arch9wavefront6targetE1EEEvT1_
		.amdhsa_group_segment_fixed_size 0
		.amdhsa_private_segment_fixed_size 0
		.amdhsa_kernarg_size 56
		.amdhsa_user_sgpr_count 6
		.amdhsa_user_sgpr_private_segment_buffer 1
		.amdhsa_user_sgpr_dispatch_ptr 0
		.amdhsa_user_sgpr_queue_ptr 0
		.amdhsa_user_sgpr_kernarg_segment_ptr 1
		.amdhsa_user_sgpr_dispatch_id 0
		.amdhsa_user_sgpr_flat_scratch_init 0
		.amdhsa_user_sgpr_kernarg_preload_length 0
		.amdhsa_user_sgpr_kernarg_preload_offset 0
		.amdhsa_user_sgpr_private_segment_size 0
		.amdhsa_uses_dynamic_stack 0
		.amdhsa_system_sgpr_private_segment_wavefront_offset 0
		.amdhsa_system_sgpr_workgroup_id_x 1
		.amdhsa_system_sgpr_workgroup_id_y 0
		.amdhsa_system_sgpr_workgroup_id_z 0
		.amdhsa_system_sgpr_workgroup_info 0
		.amdhsa_system_vgpr_workitem_id 0
		.amdhsa_next_free_vgpr 1
		.amdhsa_next_free_sgpr 0
		.amdhsa_accum_offset 4
		.amdhsa_reserve_vcc 0
		.amdhsa_reserve_flat_scratch 0
		.amdhsa_float_round_mode_32 0
		.amdhsa_float_round_mode_16_64 0
		.amdhsa_float_denorm_mode_32 3
		.amdhsa_float_denorm_mode_16_64 3
		.amdhsa_dx10_clamp 1
		.amdhsa_ieee_mode 1
		.amdhsa_fp16_overflow 0
		.amdhsa_tg_split 0
		.amdhsa_exception_fp_ieee_invalid_op 0
		.amdhsa_exception_fp_denorm_src 0
		.amdhsa_exception_fp_ieee_div_zero 0
		.amdhsa_exception_fp_ieee_overflow 0
		.amdhsa_exception_fp_ieee_underflow 0
		.amdhsa_exception_fp_ieee_inexact 0
		.amdhsa_exception_int_div_zero 0
	.end_amdhsa_kernel
	.section	.text._ZN7rocprim17ROCPRIM_400000_NS6detail17trampoline_kernelINS0_14default_configENS1_25transform_config_selectorIjLb0EEEZNS1_14transform_implILb0ES3_S5_NS0_18transform_iteratorINS0_17counting_iteratorImlEEZNS1_24adjacent_difference_implIS3_Lb1ELb0EPjN6thrust23THRUST_200600_302600_NS16discard_iteratorINSD_11use_defaultEEENSD_5minusIjEEEE10hipError_tPvRmT2_T3_mT4_P12ihipStream_tbEUlmE_jEESB_NS0_8identityIvEEEESJ_SM_SN_mSO_SQ_bEUlT_E_NS1_11comp_targetILNS1_3genE3ELNS1_11target_archE908ELNS1_3gpuE7ELNS1_3repE0EEENS1_30default_config_static_selectorELNS0_4arch9wavefront6targetE1EEEvT1_,"axG",@progbits,_ZN7rocprim17ROCPRIM_400000_NS6detail17trampoline_kernelINS0_14default_configENS1_25transform_config_selectorIjLb0EEEZNS1_14transform_implILb0ES3_S5_NS0_18transform_iteratorINS0_17counting_iteratorImlEEZNS1_24adjacent_difference_implIS3_Lb1ELb0EPjN6thrust23THRUST_200600_302600_NS16discard_iteratorINSD_11use_defaultEEENSD_5minusIjEEEE10hipError_tPvRmT2_T3_mT4_P12ihipStream_tbEUlmE_jEESB_NS0_8identityIvEEEESJ_SM_SN_mSO_SQ_bEUlT_E_NS1_11comp_targetILNS1_3genE3ELNS1_11target_archE908ELNS1_3gpuE7ELNS1_3repE0EEENS1_30default_config_static_selectorELNS0_4arch9wavefront6targetE1EEEvT1_,comdat
.Lfunc_end754:
	.size	_ZN7rocprim17ROCPRIM_400000_NS6detail17trampoline_kernelINS0_14default_configENS1_25transform_config_selectorIjLb0EEEZNS1_14transform_implILb0ES3_S5_NS0_18transform_iteratorINS0_17counting_iteratorImlEEZNS1_24adjacent_difference_implIS3_Lb1ELb0EPjN6thrust23THRUST_200600_302600_NS16discard_iteratorINSD_11use_defaultEEENSD_5minusIjEEEE10hipError_tPvRmT2_T3_mT4_P12ihipStream_tbEUlmE_jEESB_NS0_8identityIvEEEESJ_SM_SN_mSO_SQ_bEUlT_E_NS1_11comp_targetILNS1_3genE3ELNS1_11target_archE908ELNS1_3gpuE7ELNS1_3repE0EEENS1_30default_config_static_selectorELNS0_4arch9wavefront6targetE1EEEvT1_, .Lfunc_end754-_ZN7rocprim17ROCPRIM_400000_NS6detail17trampoline_kernelINS0_14default_configENS1_25transform_config_selectorIjLb0EEEZNS1_14transform_implILb0ES3_S5_NS0_18transform_iteratorINS0_17counting_iteratorImlEEZNS1_24adjacent_difference_implIS3_Lb1ELb0EPjN6thrust23THRUST_200600_302600_NS16discard_iteratorINSD_11use_defaultEEENSD_5minusIjEEEE10hipError_tPvRmT2_T3_mT4_P12ihipStream_tbEUlmE_jEESB_NS0_8identityIvEEEESJ_SM_SN_mSO_SQ_bEUlT_E_NS1_11comp_targetILNS1_3genE3ELNS1_11target_archE908ELNS1_3gpuE7ELNS1_3repE0EEENS1_30default_config_static_selectorELNS0_4arch9wavefront6targetE1EEEvT1_
                                        ; -- End function
	.section	.AMDGPU.csdata,"",@progbits
; Kernel info:
; codeLenInByte = 0
; NumSgprs: 4
; NumVgprs: 0
; NumAgprs: 0
; TotalNumVgprs: 0
; ScratchSize: 0
; MemoryBound: 0
; FloatMode: 240
; IeeeMode: 1
; LDSByteSize: 0 bytes/workgroup (compile time only)
; SGPRBlocks: 0
; VGPRBlocks: 0
; NumSGPRsForWavesPerEU: 4
; NumVGPRsForWavesPerEU: 1
; AccumOffset: 4
; Occupancy: 8
; WaveLimiterHint : 0
; COMPUTE_PGM_RSRC2:SCRATCH_EN: 0
; COMPUTE_PGM_RSRC2:USER_SGPR: 6
; COMPUTE_PGM_RSRC2:TRAP_HANDLER: 0
; COMPUTE_PGM_RSRC2:TGID_X_EN: 1
; COMPUTE_PGM_RSRC2:TGID_Y_EN: 0
; COMPUTE_PGM_RSRC2:TGID_Z_EN: 0
; COMPUTE_PGM_RSRC2:TIDIG_COMP_CNT: 0
; COMPUTE_PGM_RSRC3_GFX90A:ACCUM_OFFSET: 0
; COMPUTE_PGM_RSRC3_GFX90A:TG_SPLIT: 0
	.section	.text._ZN7rocprim17ROCPRIM_400000_NS6detail17trampoline_kernelINS0_14default_configENS1_25transform_config_selectorIjLb0EEEZNS1_14transform_implILb0ES3_S5_NS0_18transform_iteratorINS0_17counting_iteratorImlEEZNS1_24adjacent_difference_implIS3_Lb1ELb0EPjN6thrust23THRUST_200600_302600_NS16discard_iteratorINSD_11use_defaultEEENSD_5minusIjEEEE10hipError_tPvRmT2_T3_mT4_P12ihipStream_tbEUlmE_jEESB_NS0_8identityIvEEEESJ_SM_SN_mSO_SQ_bEUlT_E_NS1_11comp_targetILNS1_3genE2ELNS1_11target_archE906ELNS1_3gpuE6ELNS1_3repE0EEENS1_30default_config_static_selectorELNS0_4arch9wavefront6targetE1EEEvT1_,"axG",@progbits,_ZN7rocprim17ROCPRIM_400000_NS6detail17trampoline_kernelINS0_14default_configENS1_25transform_config_selectorIjLb0EEEZNS1_14transform_implILb0ES3_S5_NS0_18transform_iteratorINS0_17counting_iteratorImlEEZNS1_24adjacent_difference_implIS3_Lb1ELb0EPjN6thrust23THRUST_200600_302600_NS16discard_iteratorINSD_11use_defaultEEENSD_5minusIjEEEE10hipError_tPvRmT2_T3_mT4_P12ihipStream_tbEUlmE_jEESB_NS0_8identityIvEEEESJ_SM_SN_mSO_SQ_bEUlT_E_NS1_11comp_targetILNS1_3genE2ELNS1_11target_archE906ELNS1_3gpuE6ELNS1_3repE0EEENS1_30default_config_static_selectorELNS0_4arch9wavefront6targetE1EEEvT1_,comdat
	.protected	_ZN7rocprim17ROCPRIM_400000_NS6detail17trampoline_kernelINS0_14default_configENS1_25transform_config_selectorIjLb0EEEZNS1_14transform_implILb0ES3_S5_NS0_18transform_iteratorINS0_17counting_iteratorImlEEZNS1_24adjacent_difference_implIS3_Lb1ELb0EPjN6thrust23THRUST_200600_302600_NS16discard_iteratorINSD_11use_defaultEEENSD_5minusIjEEEE10hipError_tPvRmT2_T3_mT4_P12ihipStream_tbEUlmE_jEESB_NS0_8identityIvEEEESJ_SM_SN_mSO_SQ_bEUlT_E_NS1_11comp_targetILNS1_3genE2ELNS1_11target_archE906ELNS1_3gpuE6ELNS1_3repE0EEENS1_30default_config_static_selectorELNS0_4arch9wavefront6targetE1EEEvT1_ ; -- Begin function _ZN7rocprim17ROCPRIM_400000_NS6detail17trampoline_kernelINS0_14default_configENS1_25transform_config_selectorIjLb0EEEZNS1_14transform_implILb0ES3_S5_NS0_18transform_iteratorINS0_17counting_iteratorImlEEZNS1_24adjacent_difference_implIS3_Lb1ELb0EPjN6thrust23THRUST_200600_302600_NS16discard_iteratorINSD_11use_defaultEEENSD_5minusIjEEEE10hipError_tPvRmT2_T3_mT4_P12ihipStream_tbEUlmE_jEESB_NS0_8identityIvEEEESJ_SM_SN_mSO_SQ_bEUlT_E_NS1_11comp_targetILNS1_3genE2ELNS1_11target_archE906ELNS1_3gpuE6ELNS1_3repE0EEENS1_30default_config_static_selectorELNS0_4arch9wavefront6targetE1EEEvT1_
	.globl	_ZN7rocprim17ROCPRIM_400000_NS6detail17trampoline_kernelINS0_14default_configENS1_25transform_config_selectorIjLb0EEEZNS1_14transform_implILb0ES3_S5_NS0_18transform_iteratorINS0_17counting_iteratorImlEEZNS1_24adjacent_difference_implIS3_Lb1ELb0EPjN6thrust23THRUST_200600_302600_NS16discard_iteratorINSD_11use_defaultEEENSD_5minusIjEEEE10hipError_tPvRmT2_T3_mT4_P12ihipStream_tbEUlmE_jEESB_NS0_8identityIvEEEESJ_SM_SN_mSO_SQ_bEUlT_E_NS1_11comp_targetILNS1_3genE2ELNS1_11target_archE906ELNS1_3gpuE6ELNS1_3repE0EEENS1_30default_config_static_selectorELNS0_4arch9wavefront6targetE1EEEvT1_
	.p2align	8
	.type	_ZN7rocprim17ROCPRIM_400000_NS6detail17trampoline_kernelINS0_14default_configENS1_25transform_config_selectorIjLb0EEEZNS1_14transform_implILb0ES3_S5_NS0_18transform_iteratorINS0_17counting_iteratorImlEEZNS1_24adjacent_difference_implIS3_Lb1ELb0EPjN6thrust23THRUST_200600_302600_NS16discard_iteratorINSD_11use_defaultEEENSD_5minusIjEEEE10hipError_tPvRmT2_T3_mT4_P12ihipStream_tbEUlmE_jEESB_NS0_8identityIvEEEESJ_SM_SN_mSO_SQ_bEUlT_E_NS1_11comp_targetILNS1_3genE2ELNS1_11target_archE906ELNS1_3gpuE6ELNS1_3repE0EEENS1_30default_config_static_selectorELNS0_4arch9wavefront6targetE1EEEvT1_,@function
_ZN7rocprim17ROCPRIM_400000_NS6detail17trampoline_kernelINS0_14default_configENS1_25transform_config_selectorIjLb0EEEZNS1_14transform_implILb0ES3_S5_NS0_18transform_iteratorINS0_17counting_iteratorImlEEZNS1_24adjacent_difference_implIS3_Lb1ELb0EPjN6thrust23THRUST_200600_302600_NS16discard_iteratorINSD_11use_defaultEEENSD_5minusIjEEEE10hipError_tPvRmT2_T3_mT4_P12ihipStream_tbEUlmE_jEESB_NS0_8identityIvEEEESJ_SM_SN_mSO_SQ_bEUlT_E_NS1_11comp_targetILNS1_3genE2ELNS1_11target_archE906ELNS1_3gpuE6ELNS1_3repE0EEENS1_30default_config_static_selectorELNS0_4arch9wavefront6targetE1EEEvT1_: ; @_ZN7rocprim17ROCPRIM_400000_NS6detail17trampoline_kernelINS0_14default_configENS1_25transform_config_selectorIjLb0EEEZNS1_14transform_implILb0ES3_S5_NS0_18transform_iteratorINS0_17counting_iteratorImlEEZNS1_24adjacent_difference_implIS3_Lb1ELb0EPjN6thrust23THRUST_200600_302600_NS16discard_iteratorINSD_11use_defaultEEENSD_5minusIjEEEE10hipError_tPvRmT2_T3_mT4_P12ihipStream_tbEUlmE_jEESB_NS0_8identityIvEEEESJ_SM_SN_mSO_SQ_bEUlT_E_NS1_11comp_targetILNS1_3genE2ELNS1_11target_archE906ELNS1_3gpuE6ELNS1_3repE0EEENS1_30default_config_static_selectorELNS0_4arch9wavefront6targetE1EEEvT1_
; %bb.0:
	.section	.rodata,"a",@progbits
	.p2align	6, 0x0
	.amdhsa_kernel _ZN7rocprim17ROCPRIM_400000_NS6detail17trampoline_kernelINS0_14default_configENS1_25transform_config_selectorIjLb0EEEZNS1_14transform_implILb0ES3_S5_NS0_18transform_iteratorINS0_17counting_iteratorImlEEZNS1_24adjacent_difference_implIS3_Lb1ELb0EPjN6thrust23THRUST_200600_302600_NS16discard_iteratorINSD_11use_defaultEEENSD_5minusIjEEEE10hipError_tPvRmT2_T3_mT4_P12ihipStream_tbEUlmE_jEESB_NS0_8identityIvEEEESJ_SM_SN_mSO_SQ_bEUlT_E_NS1_11comp_targetILNS1_3genE2ELNS1_11target_archE906ELNS1_3gpuE6ELNS1_3repE0EEENS1_30default_config_static_selectorELNS0_4arch9wavefront6targetE1EEEvT1_
		.amdhsa_group_segment_fixed_size 0
		.amdhsa_private_segment_fixed_size 0
		.amdhsa_kernarg_size 56
		.amdhsa_user_sgpr_count 6
		.amdhsa_user_sgpr_private_segment_buffer 1
		.amdhsa_user_sgpr_dispatch_ptr 0
		.amdhsa_user_sgpr_queue_ptr 0
		.amdhsa_user_sgpr_kernarg_segment_ptr 1
		.amdhsa_user_sgpr_dispatch_id 0
		.amdhsa_user_sgpr_flat_scratch_init 0
		.amdhsa_user_sgpr_kernarg_preload_length 0
		.amdhsa_user_sgpr_kernarg_preload_offset 0
		.amdhsa_user_sgpr_private_segment_size 0
		.amdhsa_uses_dynamic_stack 0
		.amdhsa_system_sgpr_private_segment_wavefront_offset 0
		.amdhsa_system_sgpr_workgroup_id_x 1
		.amdhsa_system_sgpr_workgroup_id_y 0
		.amdhsa_system_sgpr_workgroup_id_z 0
		.amdhsa_system_sgpr_workgroup_info 0
		.amdhsa_system_vgpr_workitem_id 0
		.amdhsa_next_free_vgpr 1
		.amdhsa_next_free_sgpr 0
		.amdhsa_accum_offset 4
		.amdhsa_reserve_vcc 0
		.amdhsa_reserve_flat_scratch 0
		.amdhsa_float_round_mode_32 0
		.amdhsa_float_round_mode_16_64 0
		.amdhsa_float_denorm_mode_32 3
		.amdhsa_float_denorm_mode_16_64 3
		.amdhsa_dx10_clamp 1
		.amdhsa_ieee_mode 1
		.amdhsa_fp16_overflow 0
		.amdhsa_tg_split 0
		.amdhsa_exception_fp_ieee_invalid_op 0
		.amdhsa_exception_fp_denorm_src 0
		.amdhsa_exception_fp_ieee_div_zero 0
		.amdhsa_exception_fp_ieee_overflow 0
		.amdhsa_exception_fp_ieee_underflow 0
		.amdhsa_exception_fp_ieee_inexact 0
		.amdhsa_exception_int_div_zero 0
	.end_amdhsa_kernel
	.section	.text._ZN7rocprim17ROCPRIM_400000_NS6detail17trampoline_kernelINS0_14default_configENS1_25transform_config_selectorIjLb0EEEZNS1_14transform_implILb0ES3_S5_NS0_18transform_iteratorINS0_17counting_iteratorImlEEZNS1_24adjacent_difference_implIS3_Lb1ELb0EPjN6thrust23THRUST_200600_302600_NS16discard_iteratorINSD_11use_defaultEEENSD_5minusIjEEEE10hipError_tPvRmT2_T3_mT4_P12ihipStream_tbEUlmE_jEESB_NS0_8identityIvEEEESJ_SM_SN_mSO_SQ_bEUlT_E_NS1_11comp_targetILNS1_3genE2ELNS1_11target_archE906ELNS1_3gpuE6ELNS1_3repE0EEENS1_30default_config_static_selectorELNS0_4arch9wavefront6targetE1EEEvT1_,"axG",@progbits,_ZN7rocprim17ROCPRIM_400000_NS6detail17trampoline_kernelINS0_14default_configENS1_25transform_config_selectorIjLb0EEEZNS1_14transform_implILb0ES3_S5_NS0_18transform_iteratorINS0_17counting_iteratorImlEEZNS1_24adjacent_difference_implIS3_Lb1ELb0EPjN6thrust23THRUST_200600_302600_NS16discard_iteratorINSD_11use_defaultEEENSD_5minusIjEEEE10hipError_tPvRmT2_T3_mT4_P12ihipStream_tbEUlmE_jEESB_NS0_8identityIvEEEESJ_SM_SN_mSO_SQ_bEUlT_E_NS1_11comp_targetILNS1_3genE2ELNS1_11target_archE906ELNS1_3gpuE6ELNS1_3repE0EEENS1_30default_config_static_selectorELNS0_4arch9wavefront6targetE1EEEvT1_,comdat
.Lfunc_end755:
	.size	_ZN7rocprim17ROCPRIM_400000_NS6detail17trampoline_kernelINS0_14default_configENS1_25transform_config_selectorIjLb0EEEZNS1_14transform_implILb0ES3_S5_NS0_18transform_iteratorINS0_17counting_iteratorImlEEZNS1_24adjacent_difference_implIS3_Lb1ELb0EPjN6thrust23THRUST_200600_302600_NS16discard_iteratorINSD_11use_defaultEEENSD_5minusIjEEEE10hipError_tPvRmT2_T3_mT4_P12ihipStream_tbEUlmE_jEESB_NS0_8identityIvEEEESJ_SM_SN_mSO_SQ_bEUlT_E_NS1_11comp_targetILNS1_3genE2ELNS1_11target_archE906ELNS1_3gpuE6ELNS1_3repE0EEENS1_30default_config_static_selectorELNS0_4arch9wavefront6targetE1EEEvT1_, .Lfunc_end755-_ZN7rocprim17ROCPRIM_400000_NS6detail17trampoline_kernelINS0_14default_configENS1_25transform_config_selectorIjLb0EEEZNS1_14transform_implILb0ES3_S5_NS0_18transform_iteratorINS0_17counting_iteratorImlEEZNS1_24adjacent_difference_implIS3_Lb1ELb0EPjN6thrust23THRUST_200600_302600_NS16discard_iteratorINSD_11use_defaultEEENSD_5minusIjEEEE10hipError_tPvRmT2_T3_mT4_P12ihipStream_tbEUlmE_jEESB_NS0_8identityIvEEEESJ_SM_SN_mSO_SQ_bEUlT_E_NS1_11comp_targetILNS1_3genE2ELNS1_11target_archE906ELNS1_3gpuE6ELNS1_3repE0EEENS1_30default_config_static_selectorELNS0_4arch9wavefront6targetE1EEEvT1_
                                        ; -- End function
	.section	.AMDGPU.csdata,"",@progbits
; Kernel info:
; codeLenInByte = 0
; NumSgprs: 4
; NumVgprs: 0
; NumAgprs: 0
; TotalNumVgprs: 0
; ScratchSize: 0
; MemoryBound: 0
; FloatMode: 240
; IeeeMode: 1
; LDSByteSize: 0 bytes/workgroup (compile time only)
; SGPRBlocks: 0
; VGPRBlocks: 0
; NumSGPRsForWavesPerEU: 4
; NumVGPRsForWavesPerEU: 1
; AccumOffset: 4
; Occupancy: 8
; WaveLimiterHint : 0
; COMPUTE_PGM_RSRC2:SCRATCH_EN: 0
; COMPUTE_PGM_RSRC2:USER_SGPR: 6
; COMPUTE_PGM_RSRC2:TRAP_HANDLER: 0
; COMPUTE_PGM_RSRC2:TGID_X_EN: 1
; COMPUTE_PGM_RSRC2:TGID_Y_EN: 0
; COMPUTE_PGM_RSRC2:TGID_Z_EN: 0
; COMPUTE_PGM_RSRC2:TIDIG_COMP_CNT: 0
; COMPUTE_PGM_RSRC3_GFX90A:ACCUM_OFFSET: 0
; COMPUTE_PGM_RSRC3_GFX90A:TG_SPLIT: 0
	.section	.text._ZN7rocprim17ROCPRIM_400000_NS6detail17trampoline_kernelINS0_14default_configENS1_25transform_config_selectorIjLb0EEEZNS1_14transform_implILb0ES3_S5_NS0_18transform_iteratorINS0_17counting_iteratorImlEEZNS1_24adjacent_difference_implIS3_Lb1ELb0EPjN6thrust23THRUST_200600_302600_NS16discard_iteratorINSD_11use_defaultEEENSD_5minusIjEEEE10hipError_tPvRmT2_T3_mT4_P12ihipStream_tbEUlmE_jEESB_NS0_8identityIvEEEESJ_SM_SN_mSO_SQ_bEUlT_E_NS1_11comp_targetILNS1_3genE10ELNS1_11target_archE1201ELNS1_3gpuE5ELNS1_3repE0EEENS1_30default_config_static_selectorELNS0_4arch9wavefront6targetE1EEEvT1_,"axG",@progbits,_ZN7rocprim17ROCPRIM_400000_NS6detail17trampoline_kernelINS0_14default_configENS1_25transform_config_selectorIjLb0EEEZNS1_14transform_implILb0ES3_S5_NS0_18transform_iteratorINS0_17counting_iteratorImlEEZNS1_24adjacent_difference_implIS3_Lb1ELb0EPjN6thrust23THRUST_200600_302600_NS16discard_iteratorINSD_11use_defaultEEENSD_5minusIjEEEE10hipError_tPvRmT2_T3_mT4_P12ihipStream_tbEUlmE_jEESB_NS0_8identityIvEEEESJ_SM_SN_mSO_SQ_bEUlT_E_NS1_11comp_targetILNS1_3genE10ELNS1_11target_archE1201ELNS1_3gpuE5ELNS1_3repE0EEENS1_30default_config_static_selectorELNS0_4arch9wavefront6targetE1EEEvT1_,comdat
	.protected	_ZN7rocprim17ROCPRIM_400000_NS6detail17trampoline_kernelINS0_14default_configENS1_25transform_config_selectorIjLb0EEEZNS1_14transform_implILb0ES3_S5_NS0_18transform_iteratorINS0_17counting_iteratorImlEEZNS1_24adjacent_difference_implIS3_Lb1ELb0EPjN6thrust23THRUST_200600_302600_NS16discard_iteratorINSD_11use_defaultEEENSD_5minusIjEEEE10hipError_tPvRmT2_T3_mT4_P12ihipStream_tbEUlmE_jEESB_NS0_8identityIvEEEESJ_SM_SN_mSO_SQ_bEUlT_E_NS1_11comp_targetILNS1_3genE10ELNS1_11target_archE1201ELNS1_3gpuE5ELNS1_3repE0EEENS1_30default_config_static_selectorELNS0_4arch9wavefront6targetE1EEEvT1_ ; -- Begin function _ZN7rocprim17ROCPRIM_400000_NS6detail17trampoline_kernelINS0_14default_configENS1_25transform_config_selectorIjLb0EEEZNS1_14transform_implILb0ES3_S5_NS0_18transform_iteratorINS0_17counting_iteratorImlEEZNS1_24adjacent_difference_implIS3_Lb1ELb0EPjN6thrust23THRUST_200600_302600_NS16discard_iteratorINSD_11use_defaultEEENSD_5minusIjEEEE10hipError_tPvRmT2_T3_mT4_P12ihipStream_tbEUlmE_jEESB_NS0_8identityIvEEEESJ_SM_SN_mSO_SQ_bEUlT_E_NS1_11comp_targetILNS1_3genE10ELNS1_11target_archE1201ELNS1_3gpuE5ELNS1_3repE0EEENS1_30default_config_static_selectorELNS0_4arch9wavefront6targetE1EEEvT1_
	.globl	_ZN7rocprim17ROCPRIM_400000_NS6detail17trampoline_kernelINS0_14default_configENS1_25transform_config_selectorIjLb0EEEZNS1_14transform_implILb0ES3_S5_NS0_18transform_iteratorINS0_17counting_iteratorImlEEZNS1_24adjacent_difference_implIS3_Lb1ELb0EPjN6thrust23THRUST_200600_302600_NS16discard_iteratorINSD_11use_defaultEEENSD_5minusIjEEEE10hipError_tPvRmT2_T3_mT4_P12ihipStream_tbEUlmE_jEESB_NS0_8identityIvEEEESJ_SM_SN_mSO_SQ_bEUlT_E_NS1_11comp_targetILNS1_3genE10ELNS1_11target_archE1201ELNS1_3gpuE5ELNS1_3repE0EEENS1_30default_config_static_selectorELNS0_4arch9wavefront6targetE1EEEvT1_
	.p2align	8
	.type	_ZN7rocprim17ROCPRIM_400000_NS6detail17trampoline_kernelINS0_14default_configENS1_25transform_config_selectorIjLb0EEEZNS1_14transform_implILb0ES3_S5_NS0_18transform_iteratorINS0_17counting_iteratorImlEEZNS1_24adjacent_difference_implIS3_Lb1ELb0EPjN6thrust23THRUST_200600_302600_NS16discard_iteratorINSD_11use_defaultEEENSD_5minusIjEEEE10hipError_tPvRmT2_T3_mT4_P12ihipStream_tbEUlmE_jEESB_NS0_8identityIvEEEESJ_SM_SN_mSO_SQ_bEUlT_E_NS1_11comp_targetILNS1_3genE10ELNS1_11target_archE1201ELNS1_3gpuE5ELNS1_3repE0EEENS1_30default_config_static_selectorELNS0_4arch9wavefront6targetE1EEEvT1_,@function
_ZN7rocprim17ROCPRIM_400000_NS6detail17trampoline_kernelINS0_14default_configENS1_25transform_config_selectorIjLb0EEEZNS1_14transform_implILb0ES3_S5_NS0_18transform_iteratorINS0_17counting_iteratorImlEEZNS1_24adjacent_difference_implIS3_Lb1ELb0EPjN6thrust23THRUST_200600_302600_NS16discard_iteratorINSD_11use_defaultEEENSD_5minusIjEEEE10hipError_tPvRmT2_T3_mT4_P12ihipStream_tbEUlmE_jEESB_NS0_8identityIvEEEESJ_SM_SN_mSO_SQ_bEUlT_E_NS1_11comp_targetILNS1_3genE10ELNS1_11target_archE1201ELNS1_3gpuE5ELNS1_3repE0EEENS1_30default_config_static_selectorELNS0_4arch9wavefront6targetE1EEEvT1_: ; @_ZN7rocprim17ROCPRIM_400000_NS6detail17trampoline_kernelINS0_14default_configENS1_25transform_config_selectorIjLb0EEEZNS1_14transform_implILb0ES3_S5_NS0_18transform_iteratorINS0_17counting_iteratorImlEEZNS1_24adjacent_difference_implIS3_Lb1ELb0EPjN6thrust23THRUST_200600_302600_NS16discard_iteratorINSD_11use_defaultEEENSD_5minusIjEEEE10hipError_tPvRmT2_T3_mT4_P12ihipStream_tbEUlmE_jEESB_NS0_8identityIvEEEESJ_SM_SN_mSO_SQ_bEUlT_E_NS1_11comp_targetILNS1_3genE10ELNS1_11target_archE1201ELNS1_3gpuE5ELNS1_3repE0EEENS1_30default_config_static_selectorELNS0_4arch9wavefront6targetE1EEEvT1_
; %bb.0:
	.section	.rodata,"a",@progbits
	.p2align	6, 0x0
	.amdhsa_kernel _ZN7rocprim17ROCPRIM_400000_NS6detail17trampoline_kernelINS0_14default_configENS1_25transform_config_selectorIjLb0EEEZNS1_14transform_implILb0ES3_S5_NS0_18transform_iteratorINS0_17counting_iteratorImlEEZNS1_24adjacent_difference_implIS3_Lb1ELb0EPjN6thrust23THRUST_200600_302600_NS16discard_iteratorINSD_11use_defaultEEENSD_5minusIjEEEE10hipError_tPvRmT2_T3_mT4_P12ihipStream_tbEUlmE_jEESB_NS0_8identityIvEEEESJ_SM_SN_mSO_SQ_bEUlT_E_NS1_11comp_targetILNS1_3genE10ELNS1_11target_archE1201ELNS1_3gpuE5ELNS1_3repE0EEENS1_30default_config_static_selectorELNS0_4arch9wavefront6targetE1EEEvT1_
		.amdhsa_group_segment_fixed_size 0
		.amdhsa_private_segment_fixed_size 0
		.amdhsa_kernarg_size 56
		.amdhsa_user_sgpr_count 6
		.amdhsa_user_sgpr_private_segment_buffer 1
		.amdhsa_user_sgpr_dispatch_ptr 0
		.amdhsa_user_sgpr_queue_ptr 0
		.amdhsa_user_sgpr_kernarg_segment_ptr 1
		.amdhsa_user_sgpr_dispatch_id 0
		.amdhsa_user_sgpr_flat_scratch_init 0
		.amdhsa_user_sgpr_kernarg_preload_length 0
		.amdhsa_user_sgpr_kernarg_preload_offset 0
		.amdhsa_user_sgpr_private_segment_size 0
		.amdhsa_uses_dynamic_stack 0
		.amdhsa_system_sgpr_private_segment_wavefront_offset 0
		.amdhsa_system_sgpr_workgroup_id_x 1
		.amdhsa_system_sgpr_workgroup_id_y 0
		.amdhsa_system_sgpr_workgroup_id_z 0
		.amdhsa_system_sgpr_workgroup_info 0
		.amdhsa_system_vgpr_workitem_id 0
		.amdhsa_next_free_vgpr 1
		.amdhsa_next_free_sgpr 0
		.amdhsa_accum_offset 4
		.amdhsa_reserve_vcc 0
		.amdhsa_reserve_flat_scratch 0
		.amdhsa_float_round_mode_32 0
		.amdhsa_float_round_mode_16_64 0
		.amdhsa_float_denorm_mode_32 3
		.amdhsa_float_denorm_mode_16_64 3
		.amdhsa_dx10_clamp 1
		.amdhsa_ieee_mode 1
		.amdhsa_fp16_overflow 0
		.amdhsa_tg_split 0
		.amdhsa_exception_fp_ieee_invalid_op 0
		.amdhsa_exception_fp_denorm_src 0
		.amdhsa_exception_fp_ieee_div_zero 0
		.amdhsa_exception_fp_ieee_overflow 0
		.amdhsa_exception_fp_ieee_underflow 0
		.amdhsa_exception_fp_ieee_inexact 0
		.amdhsa_exception_int_div_zero 0
	.end_amdhsa_kernel
	.section	.text._ZN7rocprim17ROCPRIM_400000_NS6detail17trampoline_kernelINS0_14default_configENS1_25transform_config_selectorIjLb0EEEZNS1_14transform_implILb0ES3_S5_NS0_18transform_iteratorINS0_17counting_iteratorImlEEZNS1_24adjacent_difference_implIS3_Lb1ELb0EPjN6thrust23THRUST_200600_302600_NS16discard_iteratorINSD_11use_defaultEEENSD_5minusIjEEEE10hipError_tPvRmT2_T3_mT4_P12ihipStream_tbEUlmE_jEESB_NS0_8identityIvEEEESJ_SM_SN_mSO_SQ_bEUlT_E_NS1_11comp_targetILNS1_3genE10ELNS1_11target_archE1201ELNS1_3gpuE5ELNS1_3repE0EEENS1_30default_config_static_selectorELNS0_4arch9wavefront6targetE1EEEvT1_,"axG",@progbits,_ZN7rocprim17ROCPRIM_400000_NS6detail17trampoline_kernelINS0_14default_configENS1_25transform_config_selectorIjLb0EEEZNS1_14transform_implILb0ES3_S5_NS0_18transform_iteratorINS0_17counting_iteratorImlEEZNS1_24adjacent_difference_implIS3_Lb1ELb0EPjN6thrust23THRUST_200600_302600_NS16discard_iteratorINSD_11use_defaultEEENSD_5minusIjEEEE10hipError_tPvRmT2_T3_mT4_P12ihipStream_tbEUlmE_jEESB_NS0_8identityIvEEEESJ_SM_SN_mSO_SQ_bEUlT_E_NS1_11comp_targetILNS1_3genE10ELNS1_11target_archE1201ELNS1_3gpuE5ELNS1_3repE0EEENS1_30default_config_static_selectorELNS0_4arch9wavefront6targetE1EEEvT1_,comdat
.Lfunc_end756:
	.size	_ZN7rocprim17ROCPRIM_400000_NS6detail17trampoline_kernelINS0_14default_configENS1_25transform_config_selectorIjLb0EEEZNS1_14transform_implILb0ES3_S5_NS0_18transform_iteratorINS0_17counting_iteratorImlEEZNS1_24adjacent_difference_implIS3_Lb1ELb0EPjN6thrust23THRUST_200600_302600_NS16discard_iteratorINSD_11use_defaultEEENSD_5minusIjEEEE10hipError_tPvRmT2_T3_mT4_P12ihipStream_tbEUlmE_jEESB_NS0_8identityIvEEEESJ_SM_SN_mSO_SQ_bEUlT_E_NS1_11comp_targetILNS1_3genE10ELNS1_11target_archE1201ELNS1_3gpuE5ELNS1_3repE0EEENS1_30default_config_static_selectorELNS0_4arch9wavefront6targetE1EEEvT1_, .Lfunc_end756-_ZN7rocprim17ROCPRIM_400000_NS6detail17trampoline_kernelINS0_14default_configENS1_25transform_config_selectorIjLb0EEEZNS1_14transform_implILb0ES3_S5_NS0_18transform_iteratorINS0_17counting_iteratorImlEEZNS1_24adjacent_difference_implIS3_Lb1ELb0EPjN6thrust23THRUST_200600_302600_NS16discard_iteratorINSD_11use_defaultEEENSD_5minusIjEEEE10hipError_tPvRmT2_T3_mT4_P12ihipStream_tbEUlmE_jEESB_NS0_8identityIvEEEESJ_SM_SN_mSO_SQ_bEUlT_E_NS1_11comp_targetILNS1_3genE10ELNS1_11target_archE1201ELNS1_3gpuE5ELNS1_3repE0EEENS1_30default_config_static_selectorELNS0_4arch9wavefront6targetE1EEEvT1_
                                        ; -- End function
	.section	.AMDGPU.csdata,"",@progbits
; Kernel info:
; codeLenInByte = 0
; NumSgprs: 4
; NumVgprs: 0
; NumAgprs: 0
; TotalNumVgprs: 0
; ScratchSize: 0
; MemoryBound: 0
; FloatMode: 240
; IeeeMode: 1
; LDSByteSize: 0 bytes/workgroup (compile time only)
; SGPRBlocks: 0
; VGPRBlocks: 0
; NumSGPRsForWavesPerEU: 4
; NumVGPRsForWavesPerEU: 1
; AccumOffset: 4
; Occupancy: 8
; WaveLimiterHint : 0
; COMPUTE_PGM_RSRC2:SCRATCH_EN: 0
; COMPUTE_PGM_RSRC2:USER_SGPR: 6
; COMPUTE_PGM_RSRC2:TRAP_HANDLER: 0
; COMPUTE_PGM_RSRC2:TGID_X_EN: 1
; COMPUTE_PGM_RSRC2:TGID_Y_EN: 0
; COMPUTE_PGM_RSRC2:TGID_Z_EN: 0
; COMPUTE_PGM_RSRC2:TIDIG_COMP_CNT: 0
; COMPUTE_PGM_RSRC3_GFX90A:ACCUM_OFFSET: 0
; COMPUTE_PGM_RSRC3_GFX90A:TG_SPLIT: 0
	.section	.text._ZN7rocprim17ROCPRIM_400000_NS6detail17trampoline_kernelINS0_14default_configENS1_25transform_config_selectorIjLb0EEEZNS1_14transform_implILb0ES3_S5_NS0_18transform_iteratorINS0_17counting_iteratorImlEEZNS1_24adjacent_difference_implIS3_Lb1ELb0EPjN6thrust23THRUST_200600_302600_NS16discard_iteratorINSD_11use_defaultEEENSD_5minusIjEEEE10hipError_tPvRmT2_T3_mT4_P12ihipStream_tbEUlmE_jEESB_NS0_8identityIvEEEESJ_SM_SN_mSO_SQ_bEUlT_E_NS1_11comp_targetILNS1_3genE10ELNS1_11target_archE1200ELNS1_3gpuE4ELNS1_3repE0EEENS1_30default_config_static_selectorELNS0_4arch9wavefront6targetE1EEEvT1_,"axG",@progbits,_ZN7rocprim17ROCPRIM_400000_NS6detail17trampoline_kernelINS0_14default_configENS1_25transform_config_selectorIjLb0EEEZNS1_14transform_implILb0ES3_S5_NS0_18transform_iteratorINS0_17counting_iteratorImlEEZNS1_24adjacent_difference_implIS3_Lb1ELb0EPjN6thrust23THRUST_200600_302600_NS16discard_iteratorINSD_11use_defaultEEENSD_5minusIjEEEE10hipError_tPvRmT2_T3_mT4_P12ihipStream_tbEUlmE_jEESB_NS0_8identityIvEEEESJ_SM_SN_mSO_SQ_bEUlT_E_NS1_11comp_targetILNS1_3genE10ELNS1_11target_archE1200ELNS1_3gpuE4ELNS1_3repE0EEENS1_30default_config_static_selectorELNS0_4arch9wavefront6targetE1EEEvT1_,comdat
	.protected	_ZN7rocprim17ROCPRIM_400000_NS6detail17trampoline_kernelINS0_14default_configENS1_25transform_config_selectorIjLb0EEEZNS1_14transform_implILb0ES3_S5_NS0_18transform_iteratorINS0_17counting_iteratorImlEEZNS1_24adjacent_difference_implIS3_Lb1ELb0EPjN6thrust23THRUST_200600_302600_NS16discard_iteratorINSD_11use_defaultEEENSD_5minusIjEEEE10hipError_tPvRmT2_T3_mT4_P12ihipStream_tbEUlmE_jEESB_NS0_8identityIvEEEESJ_SM_SN_mSO_SQ_bEUlT_E_NS1_11comp_targetILNS1_3genE10ELNS1_11target_archE1200ELNS1_3gpuE4ELNS1_3repE0EEENS1_30default_config_static_selectorELNS0_4arch9wavefront6targetE1EEEvT1_ ; -- Begin function _ZN7rocprim17ROCPRIM_400000_NS6detail17trampoline_kernelINS0_14default_configENS1_25transform_config_selectorIjLb0EEEZNS1_14transform_implILb0ES3_S5_NS0_18transform_iteratorINS0_17counting_iteratorImlEEZNS1_24adjacent_difference_implIS3_Lb1ELb0EPjN6thrust23THRUST_200600_302600_NS16discard_iteratorINSD_11use_defaultEEENSD_5minusIjEEEE10hipError_tPvRmT2_T3_mT4_P12ihipStream_tbEUlmE_jEESB_NS0_8identityIvEEEESJ_SM_SN_mSO_SQ_bEUlT_E_NS1_11comp_targetILNS1_3genE10ELNS1_11target_archE1200ELNS1_3gpuE4ELNS1_3repE0EEENS1_30default_config_static_selectorELNS0_4arch9wavefront6targetE1EEEvT1_
	.globl	_ZN7rocprim17ROCPRIM_400000_NS6detail17trampoline_kernelINS0_14default_configENS1_25transform_config_selectorIjLb0EEEZNS1_14transform_implILb0ES3_S5_NS0_18transform_iteratorINS0_17counting_iteratorImlEEZNS1_24adjacent_difference_implIS3_Lb1ELb0EPjN6thrust23THRUST_200600_302600_NS16discard_iteratorINSD_11use_defaultEEENSD_5minusIjEEEE10hipError_tPvRmT2_T3_mT4_P12ihipStream_tbEUlmE_jEESB_NS0_8identityIvEEEESJ_SM_SN_mSO_SQ_bEUlT_E_NS1_11comp_targetILNS1_3genE10ELNS1_11target_archE1200ELNS1_3gpuE4ELNS1_3repE0EEENS1_30default_config_static_selectorELNS0_4arch9wavefront6targetE1EEEvT1_
	.p2align	8
	.type	_ZN7rocprim17ROCPRIM_400000_NS6detail17trampoline_kernelINS0_14default_configENS1_25transform_config_selectorIjLb0EEEZNS1_14transform_implILb0ES3_S5_NS0_18transform_iteratorINS0_17counting_iteratorImlEEZNS1_24adjacent_difference_implIS3_Lb1ELb0EPjN6thrust23THRUST_200600_302600_NS16discard_iteratorINSD_11use_defaultEEENSD_5minusIjEEEE10hipError_tPvRmT2_T3_mT4_P12ihipStream_tbEUlmE_jEESB_NS0_8identityIvEEEESJ_SM_SN_mSO_SQ_bEUlT_E_NS1_11comp_targetILNS1_3genE10ELNS1_11target_archE1200ELNS1_3gpuE4ELNS1_3repE0EEENS1_30default_config_static_selectorELNS0_4arch9wavefront6targetE1EEEvT1_,@function
_ZN7rocprim17ROCPRIM_400000_NS6detail17trampoline_kernelINS0_14default_configENS1_25transform_config_selectorIjLb0EEEZNS1_14transform_implILb0ES3_S5_NS0_18transform_iteratorINS0_17counting_iteratorImlEEZNS1_24adjacent_difference_implIS3_Lb1ELb0EPjN6thrust23THRUST_200600_302600_NS16discard_iteratorINSD_11use_defaultEEENSD_5minusIjEEEE10hipError_tPvRmT2_T3_mT4_P12ihipStream_tbEUlmE_jEESB_NS0_8identityIvEEEESJ_SM_SN_mSO_SQ_bEUlT_E_NS1_11comp_targetILNS1_3genE10ELNS1_11target_archE1200ELNS1_3gpuE4ELNS1_3repE0EEENS1_30default_config_static_selectorELNS0_4arch9wavefront6targetE1EEEvT1_: ; @_ZN7rocprim17ROCPRIM_400000_NS6detail17trampoline_kernelINS0_14default_configENS1_25transform_config_selectorIjLb0EEEZNS1_14transform_implILb0ES3_S5_NS0_18transform_iteratorINS0_17counting_iteratorImlEEZNS1_24adjacent_difference_implIS3_Lb1ELb0EPjN6thrust23THRUST_200600_302600_NS16discard_iteratorINSD_11use_defaultEEENSD_5minusIjEEEE10hipError_tPvRmT2_T3_mT4_P12ihipStream_tbEUlmE_jEESB_NS0_8identityIvEEEESJ_SM_SN_mSO_SQ_bEUlT_E_NS1_11comp_targetILNS1_3genE10ELNS1_11target_archE1200ELNS1_3gpuE4ELNS1_3repE0EEENS1_30default_config_static_selectorELNS0_4arch9wavefront6targetE1EEEvT1_
; %bb.0:
	.section	.rodata,"a",@progbits
	.p2align	6, 0x0
	.amdhsa_kernel _ZN7rocprim17ROCPRIM_400000_NS6detail17trampoline_kernelINS0_14default_configENS1_25transform_config_selectorIjLb0EEEZNS1_14transform_implILb0ES3_S5_NS0_18transform_iteratorINS0_17counting_iteratorImlEEZNS1_24adjacent_difference_implIS3_Lb1ELb0EPjN6thrust23THRUST_200600_302600_NS16discard_iteratorINSD_11use_defaultEEENSD_5minusIjEEEE10hipError_tPvRmT2_T3_mT4_P12ihipStream_tbEUlmE_jEESB_NS0_8identityIvEEEESJ_SM_SN_mSO_SQ_bEUlT_E_NS1_11comp_targetILNS1_3genE10ELNS1_11target_archE1200ELNS1_3gpuE4ELNS1_3repE0EEENS1_30default_config_static_selectorELNS0_4arch9wavefront6targetE1EEEvT1_
		.amdhsa_group_segment_fixed_size 0
		.amdhsa_private_segment_fixed_size 0
		.amdhsa_kernarg_size 56
		.amdhsa_user_sgpr_count 6
		.amdhsa_user_sgpr_private_segment_buffer 1
		.amdhsa_user_sgpr_dispatch_ptr 0
		.amdhsa_user_sgpr_queue_ptr 0
		.amdhsa_user_sgpr_kernarg_segment_ptr 1
		.amdhsa_user_sgpr_dispatch_id 0
		.amdhsa_user_sgpr_flat_scratch_init 0
		.amdhsa_user_sgpr_kernarg_preload_length 0
		.amdhsa_user_sgpr_kernarg_preload_offset 0
		.amdhsa_user_sgpr_private_segment_size 0
		.amdhsa_uses_dynamic_stack 0
		.amdhsa_system_sgpr_private_segment_wavefront_offset 0
		.amdhsa_system_sgpr_workgroup_id_x 1
		.amdhsa_system_sgpr_workgroup_id_y 0
		.amdhsa_system_sgpr_workgroup_id_z 0
		.amdhsa_system_sgpr_workgroup_info 0
		.amdhsa_system_vgpr_workitem_id 0
		.amdhsa_next_free_vgpr 1
		.amdhsa_next_free_sgpr 0
		.amdhsa_accum_offset 4
		.amdhsa_reserve_vcc 0
		.amdhsa_reserve_flat_scratch 0
		.amdhsa_float_round_mode_32 0
		.amdhsa_float_round_mode_16_64 0
		.amdhsa_float_denorm_mode_32 3
		.amdhsa_float_denorm_mode_16_64 3
		.amdhsa_dx10_clamp 1
		.amdhsa_ieee_mode 1
		.amdhsa_fp16_overflow 0
		.amdhsa_tg_split 0
		.amdhsa_exception_fp_ieee_invalid_op 0
		.amdhsa_exception_fp_denorm_src 0
		.amdhsa_exception_fp_ieee_div_zero 0
		.amdhsa_exception_fp_ieee_overflow 0
		.amdhsa_exception_fp_ieee_underflow 0
		.amdhsa_exception_fp_ieee_inexact 0
		.amdhsa_exception_int_div_zero 0
	.end_amdhsa_kernel
	.section	.text._ZN7rocprim17ROCPRIM_400000_NS6detail17trampoline_kernelINS0_14default_configENS1_25transform_config_selectorIjLb0EEEZNS1_14transform_implILb0ES3_S5_NS0_18transform_iteratorINS0_17counting_iteratorImlEEZNS1_24adjacent_difference_implIS3_Lb1ELb0EPjN6thrust23THRUST_200600_302600_NS16discard_iteratorINSD_11use_defaultEEENSD_5minusIjEEEE10hipError_tPvRmT2_T3_mT4_P12ihipStream_tbEUlmE_jEESB_NS0_8identityIvEEEESJ_SM_SN_mSO_SQ_bEUlT_E_NS1_11comp_targetILNS1_3genE10ELNS1_11target_archE1200ELNS1_3gpuE4ELNS1_3repE0EEENS1_30default_config_static_selectorELNS0_4arch9wavefront6targetE1EEEvT1_,"axG",@progbits,_ZN7rocprim17ROCPRIM_400000_NS6detail17trampoline_kernelINS0_14default_configENS1_25transform_config_selectorIjLb0EEEZNS1_14transform_implILb0ES3_S5_NS0_18transform_iteratorINS0_17counting_iteratorImlEEZNS1_24adjacent_difference_implIS3_Lb1ELb0EPjN6thrust23THRUST_200600_302600_NS16discard_iteratorINSD_11use_defaultEEENSD_5minusIjEEEE10hipError_tPvRmT2_T3_mT4_P12ihipStream_tbEUlmE_jEESB_NS0_8identityIvEEEESJ_SM_SN_mSO_SQ_bEUlT_E_NS1_11comp_targetILNS1_3genE10ELNS1_11target_archE1200ELNS1_3gpuE4ELNS1_3repE0EEENS1_30default_config_static_selectorELNS0_4arch9wavefront6targetE1EEEvT1_,comdat
.Lfunc_end757:
	.size	_ZN7rocprim17ROCPRIM_400000_NS6detail17trampoline_kernelINS0_14default_configENS1_25transform_config_selectorIjLb0EEEZNS1_14transform_implILb0ES3_S5_NS0_18transform_iteratorINS0_17counting_iteratorImlEEZNS1_24adjacent_difference_implIS3_Lb1ELb0EPjN6thrust23THRUST_200600_302600_NS16discard_iteratorINSD_11use_defaultEEENSD_5minusIjEEEE10hipError_tPvRmT2_T3_mT4_P12ihipStream_tbEUlmE_jEESB_NS0_8identityIvEEEESJ_SM_SN_mSO_SQ_bEUlT_E_NS1_11comp_targetILNS1_3genE10ELNS1_11target_archE1200ELNS1_3gpuE4ELNS1_3repE0EEENS1_30default_config_static_selectorELNS0_4arch9wavefront6targetE1EEEvT1_, .Lfunc_end757-_ZN7rocprim17ROCPRIM_400000_NS6detail17trampoline_kernelINS0_14default_configENS1_25transform_config_selectorIjLb0EEEZNS1_14transform_implILb0ES3_S5_NS0_18transform_iteratorINS0_17counting_iteratorImlEEZNS1_24adjacent_difference_implIS3_Lb1ELb0EPjN6thrust23THRUST_200600_302600_NS16discard_iteratorINSD_11use_defaultEEENSD_5minusIjEEEE10hipError_tPvRmT2_T3_mT4_P12ihipStream_tbEUlmE_jEESB_NS0_8identityIvEEEESJ_SM_SN_mSO_SQ_bEUlT_E_NS1_11comp_targetILNS1_3genE10ELNS1_11target_archE1200ELNS1_3gpuE4ELNS1_3repE0EEENS1_30default_config_static_selectorELNS0_4arch9wavefront6targetE1EEEvT1_
                                        ; -- End function
	.section	.AMDGPU.csdata,"",@progbits
; Kernel info:
; codeLenInByte = 0
; NumSgprs: 4
; NumVgprs: 0
; NumAgprs: 0
; TotalNumVgprs: 0
; ScratchSize: 0
; MemoryBound: 0
; FloatMode: 240
; IeeeMode: 1
; LDSByteSize: 0 bytes/workgroup (compile time only)
; SGPRBlocks: 0
; VGPRBlocks: 0
; NumSGPRsForWavesPerEU: 4
; NumVGPRsForWavesPerEU: 1
; AccumOffset: 4
; Occupancy: 8
; WaveLimiterHint : 0
; COMPUTE_PGM_RSRC2:SCRATCH_EN: 0
; COMPUTE_PGM_RSRC2:USER_SGPR: 6
; COMPUTE_PGM_RSRC2:TRAP_HANDLER: 0
; COMPUTE_PGM_RSRC2:TGID_X_EN: 1
; COMPUTE_PGM_RSRC2:TGID_Y_EN: 0
; COMPUTE_PGM_RSRC2:TGID_Z_EN: 0
; COMPUTE_PGM_RSRC2:TIDIG_COMP_CNT: 0
; COMPUTE_PGM_RSRC3_GFX90A:ACCUM_OFFSET: 0
; COMPUTE_PGM_RSRC3_GFX90A:TG_SPLIT: 0
	.section	.text._ZN7rocprim17ROCPRIM_400000_NS6detail17trampoline_kernelINS0_14default_configENS1_25transform_config_selectorIjLb0EEEZNS1_14transform_implILb0ES3_S5_NS0_18transform_iteratorINS0_17counting_iteratorImlEEZNS1_24adjacent_difference_implIS3_Lb1ELb0EPjN6thrust23THRUST_200600_302600_NS16discard_iteratorINSD_11use_defaultEEENSD_5minusIjEEEE10hipError_tPvRmT2_T3_mT4_P12ihipStream_tbEUlmE_jEESB_NS0_8identityIvEEEESJ_SM_SN_mSO_SQ_bEUlT_E_NS1_11comp_targetILNS1_3genE9ELNS1_11target_archE1100ELNS1_3gpuE3ELNS1_3repE0EEENS1_30default_config_static_selectorELNS0_4arch9wavefront6targetE1EEEvT1_,"axG",@progbits,_ZN7rocprim17ROCPRIM_400000_NS6detail17trampoline_kernelINS0_14default_configENS1_25transform_config_selectorIjLb0EEEZNS1_14transform_implILb0ES3_S5_NS0_18transform_iteratorINS0_17counting_iteratorImlEEZNS1_24adjacent_difference_implIS3_Lb1ELb0EPjN6thrust23THRUST_200600_302600_NS16discard_iteratorINSD_11use_defaultEEENSD_5minusIjEEEE10hipError_tPvRmT2_T3_mT4_P12ihipStream_tbEUlmE_jEESB_NS0_8identityIvEEEESJ_SM_SN_mSO_SQ_bEUlT_E_NS1_11comp_targetILNS1_3genE9ELNS1_11target_archE1100ELNS1_3gpuE3ELNS1_3repE0EEENS1_30default_config_static_selectorELNS0_4arch9wavefront6targetE1EEEvT1_,comdat
	.protected	_ZN7rocprim17ROCPRIM_400000_NS6detail17trampoline_kernelINS0_14default_configENS1_25transform_config_selectorIjLb0EEEZNS1_14transform_implILb0ES3_S5_NS0_18transform_iteratorINS0_17counting_iteratorImlEEZNS1_24adjacent_difference_implIS3_Lb1ELb0EPjN6thrust23THRUST_200600_302600_NS16discard_iteratorINSD_11use_defaultEEENSD_5minusIjEEEE10hipError_tPvRmT2_T3_mT4_P12ihipStream_tbEUlmE_jEESB_NS0_8identityIvEEEESJ_SM_SN_mSO_SQ_bEUlT_E_NS1_11comp_targetILNS1_3genE9ELNS1_11target_archE1100ELNS1_3gpuE3ELNS1_3repE0EEENS1_30default_config_static_selectorELNS0_4arch9wavefront6targetE1EEEvT1_ ; -- Begin function _ZN7rocprim17ROCPRIM_400000_NS6detail17trampoline_kernelINS0_14default_configENS1_25transform_config_selectorIjLb0EEEZNS1_14transform_implILb0ES3_S5_NS0_18transform_iteratorINS0_17counting_iteratorImlEEZNS1_24adjacent_difference_implIS3_Lb1ELb0EPjN6thrust23THRUST_200600_302600_NS16discard_iteratorINSD_11use_defaultEEENSD_5minusIjEEEE10hipError_tPvRmT2_T3_mT4_P12ihipStream_tbEUlmE_jEESB_NS0_8identityIvEEEESJ_SM_SN_mSO_SQ_bEUlT_E_NS1_11comp_targetILNS1_3genE9ELNS1_11target_archE1100ELNS1_3gpuE3ELNS1_3repE0EEENS1_30default_config_static_selectorELNS0_4arch9wavefront6targetE1EEEvT1_
	.globl	_ZN7rocprim17ROCPRIM_400000_NS6detail17trampoline_kernelINS0_14default_configENS1_25transform_config_selectorIjLb0EEEZNS1_14transform_implILb0ES3_S5_NS0_18transform_iteratorINS0_17counting_iteratorImlEEZNS1_24adjacent_difference_implIS3_Lb1ELb0EPjN6thrust23THRUST_200600_302600_NS16discard_iteratorINSD_11use_defaultEEENSD_5minusIjEEEE10hipError_tPvRmT2_T3_mT4_P12ihipStream_tbEUlmE_jEESB_NS0_8identityIvEEEESJ_SM_SN_mSO_SQ_bEUlT_E_NS1_11comp_targetILNS1_3genE9ELNS1_11target_archE1100ELNS1_3gpuE3ELNS1_3repE0EEENS1_30default_config_static_selectorELNS0_4arch9wavefront6targetE1EEEvT1_
	.p2align	8
	.type	_ZN7rocprim17ROCPRIM_400000_NS6detail17trampoline_kernelINS0_14default_configENS1_25transform_config_selectorIjLb0EEEZNS1_14transform_implILb0ES3_S5_NS0_18transform_iteratorINS0_17counting_iteratorImlEEZNS1_24adjacent_difference_implIS3_Lb1ELb0EPjN6thrust23THRUST_200600_302600_NS16discard_iteratorINSD_11use_defaultEEENSD_5minusIjEEEE10hipError_tPvRmT2_T3_mT4_P12ihipStream_tbEUlmE_jEESB_NS0_8identityIvEEEESJ_SM_SN_mSO_SQ_bEUlT_E_NS1_11comp_targetILNS1_3genE9ELNS1_11target_archE1100ELNS1_3gpuE3ELNS1_3repE0EEENS1_30default_config_static_selectorELNS0_4arch9wavefront6targetE1EEEvT1_,@function
_ZN7rocprim17ROCPRIM_400000_NS6detail17trampoline_kernelINS0_14default_configENS1_25transform_config_selectorIjLb0EEEZNS1_14transform_implILb0ES3_S5_NS0_18transform_iteratorINS0_17counting_iteratorImlEEZNS1_24adjacent_difference_implIS3_Lb1ELb0EPjN6thrust23THRUST_200600_302600_NS16discard_iteratorINSD_11use_defaultEEENSD_5minusIjEEEE10hipError_tPvRmT2_T3_mT4_P12ihipStream_tbEUlmE_jEESB_NS0_8identityIvEEEESJ_SM_SN_mSO_SQ_bEUlT_E_NS1_11comp_targetILNS1_3genE9ELNS1_11target_archE1100ELNS1_3gpuE3ELNS1_3repE0EEENS1_30default_config_static_selectorELNS0_4arch9wavefront6targetE1EEEvT1_: ; @_ZN7rocprim17ROCPRIM_400000_NS6detail17trampoline_kernelINS0_14default_configENS1_25transform_config_selectorIjLb0EEEZNS1_14transform_implILb0ES3_S5_NS0_18transform_iteratorINS0_17counting_iteratorImlEEZNS1_24adjacent_difference_implIS3_Lb1ELb0EPjN6thrust23THRUST_200600_302600_NS16discard_iteratorINSD_11use_defaultEEENSD_5minusIjEEEE10hipError_tPvRmT2_T3_mT4_P12ihipStream_tbEUlmE_jEESB_NS0_8identityIvEEEESJ_SM_SN_mSO_SQ_bEUlT_E_NS1_11comp_targetILNS1_3genE9ELNS1_11target_archE1100ELNS1_3gpuE3ELNS1_3repE0EEENS1_30default_config_static_selectorELNS0_4arch9wavefront6targetE1EEEvT1_
; %bb.0:
	.section	.rodata,"a",@progbits
	.p2align	6, 0x0
	.amdhsa_kernel _ZN7rocprim17ROCPRIM_400000_NS6detail17trampoline_kernelINS0_14default_configENS1_25transform_config_selectorIjLb0EEEZNS1_14transform_implILb0ES3_S5_NS0_18transform_iteratorINS0_17counting_iteratorImlEEZNS1_24adjacent_difference_implIS3_Lb1ELb0EPjN6thrust23THRUST_200600_302600_NS16discard_iteratorINSD_11use_defaultEEENSD_5minusIjEEEE10hipError_tPvRmT2_T3_mT4_P12ihipStream_tbEUlmE_jEESB_NS0_8identityIvEEEESJ_SM_SN_mSO_SQ_bEUlT_E_NS1_11comp_targetILNS1_3genE9ELNS1_11target_archE1100ELNS1_3gpuE3ELNS1_3repE0EEENS1_30default_config_static_selectorELNS0_4arch9wavefront6targetE1EEEvT1_
		.amdhsa_group_segment_fixed_size 0
		.amdhsa_private_segment_fixed_size 0
		.amdhsa_kernarg_size 56
		.amdhsa_user_sgpr_count 6
		.amdhsa_user_sgpr_private_segment_buffer 1
		.amdhsa_user_sgpr_dispatch_ptr 0
		.amdhsa_user_sgpr_queue_ptr 0
		.amdhsa_user_sgpr_kernarg_segment_ptr 1
		.amdhsa_user_sgpr_dispatch_id 0
		.amdhsa_user_sgpr_flat_scratch_init 0
		.amdhsa_user_sgpr_kernarg_preload_length 0
		.amdhsa_user_sgpr_kernarg_preload_offset 0
		.amdhsa_user_sgpr_private_segment_size 0
		.amdhsa_uses_dynamic_stack 0
		.amdhsa_system_sgpr_private_segment_wavefront_offset 0
		.amdhsa_system_sgpr_workgroup_id_x 1
		.amdhsa_system_sgpr_workgroup_id_y 0
		.amdhsa_system_sgpr_workgroup_id_z 0
		.amdhsa_system_sgpr_workgroup_info 0
		.amdhsa_system_vgpr_workitem_id 0
		.amdhsa_next_free_vgpr 1
		.amdhsa_next_free_sgpr 0
		.amdhsa_accum_offset 4
		.amdhsa_reserve_vcc 0
		.amdhsa_reserve_flat_scratch 0
		.amdhsa_float_round_mode_32 0
		.amdhsa_float_round_mode_16_64 0
		.amdhsa_float_denorm_mode_32 3
		.amdhsa_float_denorm_mode_16_64 3
		.amdhsa_dx10_clamp 1
		.amdhsa_ieee_mode 1
		.amdhsa_fp16_overflow 0
		.amdhsa_tg_split 0
		.amdhsa_exception_fp_ieee_invalid_op 0
		.amdhsa_exception_fp_denorm_src 0
		.amdhsa_exception_fp_ieee_div_zero 0
		.amdhsa_exception_fp_ieee_overflow 0
		.amdhsa_exception_fp_ieee_underflow 0
		.amdhsa_exception_fp_ieee_inexact 0
		.amdhsa_exception_int_div_zero 0
	.end_amdhsa_kernel
	.section	.text._ZN7rocprim17ROCPRIM_400000_NS6detail17trampoline_kernelINS0_14default_configENS1_25transform_config_selectorIjLb0EEEZNS1_14transform_implILb0ES3_S5_NS0_18transform_iteratorINS0_17counting_iteratorImlEEZNS1_24adjacent_difference_implIS3_Lb1ELb0EPjN6thrust23THRUST_200600_302600_NS16discard_iteratorINSD_11use_defaultEEENSD_5minusIjEEEE10hipError_tPvRmT2_T3_mT4_P12ihipStream_tbEUlmE_jEESB_NS0_8identityIvEEEESJ_SM_SN_mSO_SQ_bEUlT_E_NS1_11comp_targetILNS1_3genE9ELNS1_11target_archE1100ELNS1_3gpuE3ELNS1_3repE0EEENS1_30default_config_static_selectorELNS0_4arch9wavefront6targetE1EEEvT1_,"axG",@progbits,_ZN7rocprim17ROCPRIM_400000_NS6detail17trampoline_kernelINS0_14default_configENS1_25transform_config_selectorIjLb0EEEZNS1_14transform_implILb0ES3_S5_NS0_18transform_iteratorINS0_17counting_iteratorImlEEZNS1_24adjacent_difference_implIS3_Lb1ELb0EPjN6thrust23THRUST_200600_302600_NS16discard_iteratorINSD_11use_defaultEEENSD_5minusIjEEEE10hipError_tPvRmT2_T3_mT4_P12ihipStream_tbEUlmE_jEESB_NS0_8identityIvEEEESJ_SM_SN_mSO_SQ_bEUlT_E_NS1_11comp_targetILNS1_3genE9ELNS1_11target_archE1100ELNS1_3gpuE3ELNS1_3repE0EEENS1_30default_config_static_selectorELNS0_4arch9wavefront6targetE1EEEvT1_,comdat
.Lfunc_end758:
	.size	_ZN7rocprim17ROCPRIM_400000_NS6detail17trampoline_kernelINS0_14default_configENS1_25transform_config_selectorIjLb0EEEZNS1_14transform_implILb0ES3_S5_NS0_18transform_iteratorINS0_17counting_iteratorImlEEZNS1_24adjacent_difference_implIS3_Lb1ELb0EPjN6thrust23THRUST_200600_302600_NS16discard_iteratorINSD_11use_defaultEEENSD_5minusIjEEEE10hipError_tPvRmT2_T3_mT4_P12ihipStream_tbEUlmE_jEESB_NS0_8identityIvEEEESJ_SM_SN_mSO_SQ_bEUlT_E_NS1_11comp_targetILNS1_3genE9ELNS1_11target_archE1100ELNS1_3gpuE3ELNS1_3repE0EEENS1_30default_config_static_selectorELNS0_4arch9wavefront6targetE1EEEvT1_, .Lfunc_end758-_ZN7rocprim17ROCPRIM_400000_NS6detail17trampoline_kernelINS0_14default_configENS1_25transform_config_selectorIjLb0EEEZNS1_14transform_implILb0ES3_S5_NS0_18transform_iteratorINS0_17counting_iteratorImlEEZNS1_24adjacent_difference_implIS3_Lb1ELb0EPjN6thrust23THRUST_200600_302600_NS16discard_iteratorINSD_11use_defaultEEENSD_5minusIjEEEE10hipError_tPvRmT2_T3_mT4_P12ihipStream_tbEUlmE_jEESB_NS0_8identityIvEEEESJ_SM_SN_mSO_SQ_bEUlT_E_NS1_11comp_targetILNS1_3genE9ELNS1_11target_archE1100ELNS1_3gpuE3ELNS1_3repE0EEENS1_30default_config_static_selectorELNS0_4arch9wavefront6targetE1EEEvT1_
                                        ; -- End function
	.section	.AMDGPU.csdata,"",@progbits
; Kernel info:
; codeLenInByte = 0
; NumSgprs: 4
; NumVgprs: 0
; NumAgprs: 0
; TotalNumVgprs: 0
; ScratchSize: 0
; MemoryBound: 0
; FloatMode: 240
; IeeeMode: 1
; LDSByteSize: 0 bytes/workgroup (compile time only)
; SGPRBlocks: 0
; VGPRBlocks: 0
; NumSGPRsForWavesPerEU: 4
; NumVGPRsForWavesPerEU: 1
; AccumOffset: 4
; Occupancy: 8
; WaveLimiterHint : 0
; COMPUTE_PGM_RSRC2:SCRATCH_EN: 0
; COMPUTE_PGM_RSRC2:USER_SGPR: 6
; COMPUTE_PGM_RSRC2:TRAP_HANDLER: 0
; COMPUTE_PGM_RSRC2:TGID_X_EN: 1
; COMPUTE_PGM_RSRC2:TGID_Y_EN: 0
; COMPUTE_PGM_RSRC2:TGID_Z_EN: 0
; COMPUTE_PGM_RSRC2:TIDIG_COMP_CNT: 0
; COMPUTE_PGM_RSRC3_GFX90A:ACCUM_OFFSET: 0
; COMPUTE_PGM_RSRC3_GFX90A:TG_SPLIT: 0
	.section	.text._ZN7rocprim17ROCPRIM_400000_NS6detail17trampoline_kernelINS0_14default_configENS1_25transform_config_selectorIjLb0EEEZNS1_14transform_implILb0ES3_S5_NS0_18transform_iteratorINS0_17counting_iteratorImlEEZNS1_24adjacent_difference_implIS3_Lb1ELb0EPjN6thrust23THRUST_200600_302600_NS16discard_iteratorINSD_11use_defaultEEENSD_5minusIjEEEE10hipError_tPvRmT2_T3_mT4_P12ihipStream_tbEUlmE_jEESB_NS0_8identityIvEEEESJ_SM_SN_mSO_SQ_bEUlT_E_NS1_11comp_targetILNS1_3genE8ELNS1_11target_archE1030ELNS1_3gpuE2ELNS1_3repE0EEENS1_30default_config_static_selectorELNS0_4arch9wavefront6targetE1EEEvT1_,"axG",@progbits,_ZN7rocprim17ROCPRIM_400000_NS6detail17trampoline_kernelINS0_14default_configENS1_25transform_config_selectorIjLb0EEEZNS1_14transform_implILb0ES3_S5_NS0_18transform_iteratorINS0_17counting_iteratorImlEEZNS1_24adjacent_difference_implIS3_Lb1ELb0EPjN6thrust23THRUST_200600_302600_NS16discard_iteratorINSD_11use_defaultEEENSD_5minusIjEEEE10hipError_tPvRmT2_T3_mT4_P12ihipStream_tbEUlmE_jEESB_NS0_8identityIvEEEESJ_SM_SN_mSO_SQ_bEUlT_E_NS1_11comp_targetILNS1_3genE8ELNS1_11target_archE1030ELNS1_3gpuE2ELNS1_3repE0EEENS1_30default_config_static_selectorELNS0_4arch9wavefront6targetE1EEEvT1_,comdat
	.protected	_ZN7rocprim17ROCPRIM_400000_NS6detail17trampoline_kernelINS0_14default_configENS1_25transform_config_selectorIjLb0EEEZNS1_14transform_implILb0ES3_S5_NS0_18transform_iteratorINS0_17counting_iteratorImlEEZNS1_24adjacent_difference_implIS3_Lb1ELb0EPjN6thrust23THRUST_200600_302600_NS16discard_iteratorINSD_11use_defaultEEENSD_5minusIjEEEE10hipError_tPvRmT2_T3_mT4_P12ihipStream_tbEUlmE_jEESB_NS0_8identityIvEEEESJ_SM_SN_mSO_SQ_bEUlT_E_NS1_11comp_targetILNS1_3genE8ELNS1_11target_archE1030ELNS1_3gpuE2ELNS1_3repE0EEENS1_30default_config_static_selectorELNS0_4arch9wavefront6targetE1EEEvT1_ ; -- Begin function _ZN7rocprim17ROCPRIM_400000_NS6detail17trampoline_kernelINS0_14default_configENS1_25transform_config_selectorIjLb0EEEZNS1_14transform_implILb0ES3_S5_NS0_18transform_iteratorINS0_17counting_iteratorImlEEZNS1_24adjacent_difference_implIS3_Lb1ELb0EPjN6thrust23THRUST_200600_302600_NS16discard_iteratorINSD_11use_defaultEEENSD_5minusIjEEEE10hipError_tPvRmT2_T3_mT4_P12ihipStream_tbEUlmE_jEESB_NS0_8identityIvEEEESJ_SM_SN_mSO_SQ_bEUlT_E_NS1_11comp_targetILNS1_3genE8ELNS1_11target_archE1030ELNS1_3gpuE2ELNS1_3repE0EEENS1_30default_config_static_selectorELNS0_4arch9wavefront6targetE1EEEvT1_
	.globl	_ZN7rocprim17ROCPRIM_400000_NS6detail17trampoline_kernelINS0_14default_configENS1_25transform_config_selectorIjLb0EEEZNS1_14transform_implILb0ES3_S5_NS0_18transform_iteratorINS0_17counting_iteratorImlEEZNS1_24adjacent_difference_implIS3_Lb1ELb0EPjN6thrust23THRUST_200600_302600_NS16discard_iteratorINSD_11use_defaultEEENSD_5minusIjEEEE10hipError_tPvRmT2_T3_mT4_P12ihipStream_tbEUlmE_jEESB_NS0_8identityIvEEEESJ_SM_SN_mSO_SQ_bEUlT_E_NS1_11comp_targetILNS1_3genE8ELNS1_11target_archE1030ELNS1_3gpuE2ELNS1_3repE0EEENS1_30default_config_static_selectorELNS0_4arch9wavefront6targetE1EEEvT1_
	.p2align	8
	.type	_ZN7rocprim17ROCPRIM_400000_NS6detail17trampoline_kernelINS0_14default_configENS1_25transform_config_selectorIjLb0EEEZNS1_14transform_implILb0ES3_S5_NS0_18transform_iteratorINS0_17counting_iteratorImlEEZNS1_24adjacent_difference_implIS3_Lb1ELb0EPjN6thrust23THRUST_200600_302600_NS16discard_iteratorINSD_11use_defaultEEENSD_5minusIjEEEE10hipError_tPvRmT2_T3_mT4_P12ihipStream_tbEUlmE_jEESB_NS0_8identityIvEEEESJ_SM_SN_mSO_SQ_bEUlT_E_NS1_11comp_targetILNS1_3genE8ELNS1_11target_archE1030ELNS1_3gpuE2ELNS1_3repE0EEENS1_30default_config_static_selectorELNS0_4arch9wavefront6targetE1EEEvT1_,@function
_ZN7rocprim17ROCPRIM_400000_NS6detail17trampoline_kernelINS0_14default_configENS1_25transform_config_selectorIjLb0EEEZNS1_14transform_implILb0ES3_S5_NS0_18transform_iteratorINS0_17counting_iteratorImlEEZNS1_24adjacent_difference_implIS3_Lb1ELb0EPjN6thrust23THRUST_200600_302600_NS16discard_iteratorINSD_11use_defaultEEENSD_5minusIjEEEE10hipError_tPvRmT2_T3_mT4_P12ihipStream_tbEUlmE_jEESB_NS0_8identityIvEEEESJ_SM_SN_mSO_SQ_bEUlT_E_NS1_11comp_targetILNS1_3genE8ELNS1_11target_archE1030ELNS1_3gpuE2ELNS1_3repE0EEENS1_30default_config_static_selectorELNS0_4arch9wavefront6targetE1EEEvT1_: ; @_ZN7rocprim17ROCPRIM_400000_NS6detail17trampoline_kernelINS0_14default_configENS1_25transform_config_selectorIjLb0EEEZNS1_14transform_implILb0ES3_S5_NS0_18transform_iteratorINS0_17counting_iteratorImlEEZNS1_24adjacent_difference_implIS3_Lb1ELb0EPjN6thrust23THRUST_200600_302600_NS16discard_iteratorINSD_11use_defaultEEENSD_5minusIjEEEE10hipError_tPvRmT2_T3_mT4_P12ihipStream_tbEUlmE_jEESB_NS0_8identityIvEEEESJ_SM_SN_mSO_SQ_bEUlT_E_NS1_11comp_targetILNS1_3genE8ELNS1_11target_archE1030ELNS1_3gpuE2ELNS1_3repE0EEENS1_30default_config_static_selectorELNS0_4arch9wavefront6targetE1EEEvT1_
; %bb.0:
	.section	.rodata,"a",@progbits
	.p2align	6, 0x0
	.amdhsa_kernel _ZN7rocprim17ROCPRIM_400000_NS6detail17trampoline_kernelINS0_14default_configENS1_25transform_config_selectorIjLb0EEEZNS1_14transform_implILb0ES3_S5_NS0_18transform_iteratorINS0_17counting_iteratorImlEEZNS1_24adjacent_difference_implIS3_Lb1ELb0EPjN6thrust23THRUST_200600_302600_NS16discard_iteratorINSD_11use_defaultEEENSD_5minusIjEEEE10hipError_tPvRmT2_T3_mT4_P12ihipStream_tbEUlmE_jEESB_NS0_8identityIvEEEESJ_SM_SN_mSO_SQ_bEUlT_E_NS1_11comp_targetILNS1_3genE8ELNS1_11target_archE1030ELNS1_3gpuE2ELNS1_3repE0EEENS1_30default_config_static_selectorELNS0_4arch9wavefront6targetE1EEEvT1_
		.amdhsa_group_segment_fixed_size 0
		.amdhsa_private_segment_fixed_size 0
		.amdhsa_kernarg_size 56
		.amdhsa_user_sgpr_count 6
		.amdhsa_user_sgpr_private_segment_buffer 1
		.amdhsa_user_sgpr_dispatch_ptr 0
		.amdhsa_user_sgpr_queue_ptr 0
		.amdhsa_user_sgpr_kernarg_segment_ptr 1
		.amdhsa_user_sgpr_dispatch_id 0
		.amdhsa_user_sgpr_flat_scratch_init 0
		.amdhsa_user_sgpr_kernarg_preload_length 0
		.amdhsa_user_sgpr_kernarg_preload_offset 0
		.amdhsa_user_sgpr_private_segment_size 0
		.amdhsa_uses_dynamic_stack 0
		.amdhsa_system_sgpr_private_segment_wavefront_offset 0
		.amdhsa_system_sgpr_workgroup_id_x 1
		.amdhsa_system_sgpr_workgroup_id_y 0
		.amdhsa_system_sgpr_workgroup_id_z 0
		.amdhsa_system_sgpr_workgroup_info 0
		.amdhsa_system_vgpr_workitem_id 0
		.amdhsa_next_free_vgpr 1
		.amdhsa_next_free_sgpr 0
		.amdhsa_accum_offset 4
		.amdhsa_reserve_vcc 0
		.amdhsa_reserve_flat_scratch 0
		.amdhsa_float_round_mode_32 0
		.amdhsa_float_round_mode_16_64 0
		.amdhsa_float_denorm_mode_32 3
		.amdhsa_float_denorm_mode_16_64 3
		.amdhsa_dx10_clamp 1
		.amdhsa_ieee_mode 1
		.amdhsa_fp16_overflow 0
		.amdhsa_tg_split 0
		.amdhsa_exception_fp_ieee_invalid_op 0
		.amdhsa_exception_fp_denorm_src 0
		.amdhsa_exception_fp_ieee_div_zero 0
		.amdhsa_exception_fp_ieee_overflow 0
		.amdhsa_exception_fp_ieee_underflow 0
		.amdhsa_exception_fp_ieee_inexact 0
		.amdhsa_exception_int_div_zero 0
	.end_amdhsa_kernel
	.section	.text._ZN7rocprim17ROCPRIM_400000_NS6detail17trampoline_kernelINS0_14default_configENS1_25transform_config_selectorIjLb0EEEZNS1_14transform_implILb0ES3_S5_NS0_18transform_iteratorINS0_17counting_iteratorImlEEZNS1_24adjacent_difference_implIS3_Lb1ELb0EPjN6thrust23THRUST_200600_302600_NS16discard_iteratorINSD_11use_defaultEEENSD_5minusIjEEEE10hipError_tPvRmT2_T3_mT4_P12ihipStream_tbEUlmE_jEESB_NS0_8identityIvEEEESJ_SM_SN_mSO_SQ_bEUlT_E_NS1_11comp_targetILNS1_3genE8ELNS1_11target_archE1030ELNS1_3gpuE2ELNS1_3repE0EEENS1_30default_config_static_selectorELNS0_4arch9wavefront6targetE1EEEvT1_,"axG",@progbits,_ZN7rocprim17ROCPRIM_400000_NS6detail17trampoline_kernelINS0_14default_configENS1_25transform_config_selectorIjLb0EEEZNS1_14transform_implILb0ES3_S5_NS0_18transform_iteratorINS0_17counting_iteratorImlEEZNS1_24adjacent_difference_implIS3_Lb1ELb0EPjN6thrust23THRUST_200600_302600_NS16discard_iteratorINSD_11use_defaultEEENSD_5minusIjEEEE10hipError_tPvRmT2_T3_mT4_P12ihipStream_tbEUlmE_jEESB_NS0_8identityIvEEEESJ_SM_SN_mSO_SQ_bEUlT_E_NS1_11comp_targetILNS1_3genE8ELNS1_11target_archE1030ELNS1_3gpuE2ELNS1_3repE0EEENS1_30default_config_static_selectorELNS0_4arch9wavefront6targetE1EEEvT1_,comdat
.Lfunc_end759:
	.size	_ZN7rocprim17ROCPRIM_400000_NS6detail17trampoline_kernelINS0_14default_configENS1_25transform_config_selectorIjLb0EEEZNS1_14transform_implILb0ES3_S5_NS0_18transform_iteratorINS0_17counting_iteratorImlEEZNS1_24adjacent_difference_implIS3_Lb1ELb0EPjN6thrust23THRUST_200600_302600_NS16discard_iteratorINSD_11use_defaultEEENSD_5minusIjEEEE10hipError_tPvRmT2_T3_mT4_P12ihipStream_tbEUlmE_jEESB_NS0_8identityIvEEEESJ_SM_SN_mSO_SQ_bEUlT_E_NS1_11comp_targetILNS1_3genE8ELNS1_11target_archE1030ELNS1_3gpuE2ELNS1_3repE0EEENS1_30default_config_static_selectorELNS0_4arch9wavefront6targetE1EEEvT1_, .Lfunc_end759-_ZN7rocprim17ROCPRIM_400000_NS6detail17trampoline_kernelINS0_14default_configENS1_25transform_config_selectorIjLb0EEEZNS1_14transform_implILb0ES3_S5_NS0_18transform_iteratorINS0_17counting_iteratorImlEEZNS1_24adjacent_difference_implIS3_Lb1ELb0EPjN6thrust23THRUST_200600_302600_NS16discard_iteratorINSD_11use_defaultEEENSD_5minusIjEEEE10hipError_tPvRmT2_T3_mT4_P12ihipStream_tbEUlmE_jEESB_NS0_8identityIvEEEESJ_SM_SN_mSO_SQ_bEUlT_E_NS1_11comp_targetILNS1_3genE8ELNS1_11target_archE1030ELNS1_3gpuE2ELNS1_3repE0EEENS1_30default_config_static_selectorELNS0_4arch9wavefront6targetE1EEEvT1_
                                        ; -- End function
	.section	.AMDGPU.csdata,"",@progbits
; Kernel info:
; codeLenInByte = 0
; NumSgprs: 4
; NumVgprs: 0
; NumAgprs: 0
; TotalNumVgprs: 0
; ScratchSize: 0
; MemoryBound: 0
; FloatMode: 240
; IeeeMode: 1
; LDSByteSize: 0 bytes/workgroup (compile time only)
; SGPRBlocks: 0
; VGPRBlocks: 0
; NumSGPRsForWavesPerEU: 4
; NumVGPRsForWavesPerEU: 1
; AccumOffset: 4
; Occupancy: 8
; WaveLimiterHint : 0
; COMPUTE_PGM_RSRC2:SCRATCH_EN: 0
; COMPUTE_PGM_RSRC2:USER_SGPR: 6
; COMPUTE_PGM_RSRC2:TRAP_HANDLER: 0
; COMPUTE_PGM_RSRC2:TGID_X_EN: 1
; COMPUTE_PGM_RSRC2:TGID_Y_EN: 0
; COMPUTE_PGM_RSRC2:TGID_Z_EN: 0
; COMPUTE_PGM_RSRC2:TIDIG_COMP_CNT: 0
; COMPUTE_PGM_RSRC3_GFX90A:ACCUM_OFFSET: 0
; COMPUTE_PGM_RSRC3_GFX90A:TG_SPLIT: 0
	.section	.text._ZN7rocprim17ROCPRIM_400000_NS6detail17trampoline_kernelINS0_14default_configENS1_35adjacent_difference_config_selectorILb1EjEEZNS1_24adjacent_difference_implIS3_Lb1ELb0EPjN6thrust23THRUST_200600_302600_NS16discard_iteratorINS9_11use_defaultEEENS9_5minusIjEEEE10hipError_tPvRmT2_T3_mT4_P12ihipStream_tbEUlT_E_NS1_11comp_targetILNS1_3genE0ELNS1_11target_archE4294967295ELNS1_3gpuE0ELNS1_3repE0EEENS1_30default_config_static_selectorELNS0_4arch9wavefront6targetE1EEEvT1_,"axG",@progbits,_ZN7rocprim17ROCPRIM_400000_NS6detail17trampoline_kernelINS0_14default_configENS1_35adjacent_difference_config_selectorILb1EjEEZNS1_24adjacent_difference_implIS3_Lb1ELb0EPjN6thrust23THRUST_200600_302600_NS16discard_iteratorINS9_11use_defaultEEENS9_5minusIjEEEE10hipError_tPvRmT2_T3_mT4_P12ihipStream_tbEUlT_E_NS1_11comp_targetILNS1_3genE0ELNS1_11target_archE4294967295ELNS1_3gpuE0ELNS1_3repE0EEENS1_30default_config_static_selectorELNS0_4arch9wavefront6targetE1EEEvT1_,comdat
	.protected	_ZN7rocprim17ROCPRIM_400000_NS6detail17trampoline_kernelINS0_14default_configENS1_35adjacent_difference_config_selectorILb1EjEEZNS1_24adjacent_difference_implIS3_Lb1ELb0EPjN6thrust23THRUST_200600_302600_NS16discard_iteratorINS9_11use_defaultEEENS9_5minusIjEEEE10hipError_tPvRmT2_T3_mT4_P12ihipStream_tbEUlT_E_NS1_11comp_targetILNS1_3genE0ELNS1_11target_archE4294967295ELNS1_3gpuE0ELNS1_3repE0EEENS1_30default_config_static_selectorELNS0_4arch9wavefront6targetE1EEEvT1_ ; -- Begin function _ZN7rocprim17ROCPRIM_400000_NS6detail17trampoline_kernelINS0_14default_configENS1_35adjacent_difference_config_selectorILb1EjEEZNS1_24adjacent_difference_implIS3_Lb1ELb0EPjN6thrust23THRUST_200600_302600_NS16discard_iteratorINS9_11use_defaultEEENS9_5minusIjEEEE10hipError_tPvRmT2_T3_mT4_P12ihipStream_tbEUlT_E_NS1_11comp_targetILNS1_3genE0ELNS1_11target_archE4294967295ELNS1_3gpuE0ELNS1_3repE0EEENS1_30default_config_static_selectorELNS0_4arch9wavefront6targetE1EEEvT1_
	.globl	_ZN7rocprim17ROCPRIM_400000_NS6detail17trampoline_kernelINS0_14default_configENS1_35adjacent_difference_config_selectorILb1EjEEZNS1_24adjacent_difference_implIS3_Lb1ELb0EPjN6thrust23THRUST_200600_302600_NS16discard_iteratorINS9_11use_defaultEEENS9_5minusIjEEEE10hipError_tPvRmT2_T3_mT4_P12ihipStream_tbEUlT_E_NS1_11comp_targetILNS1_3genE0ELNS1_11target_archE4294967295ELNS1_3gpuE0ELNS1_3repE0EEENS1_30default_config_static_selectorELNS0_4arch9wavefront6targetE1EEEvT1_
	.p2align	8
	.type	_ZN7rocprim17ROCPRIM_400000_NS6detail17trampoline_kernelINS0_14default_configENS1_35adjacent_difference_config_selectorILb1EjEEZNS1_24adjacent_difference_implIS3_Lb1ELb0EPjN6thrust23THRUST_200600_302600_NS16discard_iteratorINS9_11use_defaultEEENS9_5minusIjEEEE10hipError_tPvRmT2_T3_mT4_P12ihipStream_tbEUlT_E_NS1_11comp_targetILNS1_3genE0ELNS1_11target_archE4294967295ELNS1_3gpuE0ELNS1_3repE0EEENS1_30default_config_static_selectorELNS0_4arch9wavefront6targetE1EEEvT1_,@function
_ZN7rocprim17ROCPRIM_400000_NS6detail17trampoline_kernelINS0_14default_configENS1_35adjacent_difference_config_selectorILb1EjEEZNS1_24adjacent_difference_implIS3_Lb1ELb0EPjN6thrust23THRUST_200600_302600_NS16discard_iteratorINS9_11use_defaultEEENS9_5minusIjEEEE10hipError_tPvRmT2_T3_mT4_P12ihipStream_tbEUlT_E_NS1_11comp_targetILNS1_3genE0ELNS1_11target_archE4294967295ELNS1_3gpuE0ELNS1_3repE0EEENS1_30default_config_static_selectorELNS0_4arch9wavefront6targetE1EEEvT1_: ; @_ZN7rocprim17ROCPRIM_400000_NS6detail17trampoline_kernelINS0_14default_configENS1_35adjacent_difference_config_selectorILb1EjEEZNS1_24adjacent_difference_implIS3_Lb1ELb0EPjN6thrust23THRUST_200600_302600_NS16discard_iteratorINS9_11use_defaultEEENS9_5minusIjEEEE10hipError_tPvRmT2_T3_mT4_P12ihipStream_tbEUlT_E_NS1_11comp_targetILNS1_3genE0ELNS1_11target_archE4294967295ELNS1_3gpuE0ELNS1_3repE0EEENS1_30default_config_static_selectorELNS0_4arch9wavefront6targetE1EEEvT1_
; %bb.0:
	.section	.rodata,"a",@progbits
	.p2align	6, 0x0
	.amdhsa_kernel _ZN7rocprim17ROCPRIM_400000_NS6detail17trampoline_kernelINS0_14default_configENS1_35adjacent_difference_config_selectorILb1EjEEZNS1_24adjacent_difference_implIS3_Lb1ELb0EPjN6thrust23THRUST_200600_302600_NS16discard_iteratorINS9_11use_defaultEEENS9_5minusIjEEEE10hipError_tPvRmT2_T3_mT4_P12ihipStream_tbEUlT_E_NS1_11comp_targetILNS1_3genE0ELNS1_11target_archE4294967295ELNS1_3gpuE0ELNS1_3repE0EEENS1_30default_config_static_selectorELNS0_4arch9wavefront6targetE1EEEvT1_
		.amdhsa_group_segment_fixed_size 0
		.amdhsa_private_segment_fixed_size 0
		.amdhsa_kernarg_size 64
		.amdhsa_user_sgpr_count 6
		.amdhsa_user_sgpr_private_segment_buffer 1
		.amdhsa_user_sgpr_dispatch_ptr 0
		.amdhsa_user_sgpr_queue_ptr 0
		.amdhsa_user_sgpr_kernarg_segment_ptr 1
		.amdhsa_user_sgpr_dispatch_id 0
		.amdhsa_user_sgpr_flat_scratch_init 0
		.amdhsa_user_sgpr_kernarg_preload_length 0
		.amdhsa_user_sgpr_kernarg_preload_offset 0
		.amdhsa_user_sgpr_private_segment_size 0
		.amdhsa_uses_dynamic_stack 0
		.amdhsa_system_sgpr_private_segment_wavefront_offset 0
		.amdhsa_system_sgpr_workgroup_id_x 1
		.amdhsa_system_sgpr_workgroup_id_y 0
		.amdhsa_system_sgpr_workgroup_id_z 0
		.amdhsa_system_sgpr_workgroup_info 0
		.amdhsa_system_vgpr_workitem_id 0
		.amdhsa_next_free_vgpr 1
		.amdhsa_next_free_sgpr 0
		.amdhsa_accum_offset 4
		.amdhsa_reserve_vcc 0
		.amdhsa_reserve_flat_scratch 0
		.amdhsa_float_round_mode_32 0
		.amdhsa_float_round_mode_16_64 0
		.amdhsa_float_denorm_mode_32 3
		.amdhsa_float_denorm_mode_16_64 3
		.amdhsa_dx10_clamp 1
		.amdhsa_ieee_mode 1
		.amdhsa_fp16_overflow 0
		.amdhsa_tg_split 0
		.amdhsa_exception_fp_ieee_invalid_op 0
		.amdhsa_exception_fp_denorm_src 0
		.amdhsa_exception_fp_ieee_div_zero 0
		.amdhsa_exception_fp_ieee_overflow 0
		.amdhsa_exception_fp_ieee_underflow 0
		.amdhsa_exception_fp_ieee_inexact 0
		.amdhsa_exception_int_div_zero 0
	.end_amdhsa_kernel
	.section	.text._ZN7rocprim17ROCPRIM_400000_NS6detail17trampoline_kernelINS0_14default_configENS1_35adjacent_difference_config_selectorILb1EjEEZNS1_24adjacent_difference_implIS3_Lb1ELb0EPjN6thrust23THRUST_200600_302600_NS16discard_iteratorINS9_11use_defaultEEENS9_5minusIjEEEE10hipError_tPvRmT2_T3_mT4_P12ihipStream_tbEUlT_E_NS1_11comp_targetILNS1_3genE0ELNS1_11target_archE4294967295ELNS1_3gpuE0ELNS1_3repE0EEENS1_30default_config_static_selectorELNS0_4arch9wavefront6targetE1EEEvT1_,"axG",@progbits,_ZN7rocprim17ROCPRIM_400000_NS6detail17trampoline_kernelINS0_14default_configENS1_35adjacent_difference_config_selectorILb1EjEEZNS1_24adjacent_difference_implIS3_Lb1ELb0EPjN6thrust23THRUST_200600_302600_NS16discard_iteratorINS9_11use_defaultEEENS9_5minusIjEEEE10hipError_tPvRmT2_T3_mT4_P12ihipStream_tbEUlT_E_NS1_11comp_targetILNS1_3genE0ELNS1_11target_archE4294967295ELNS1_3gpuE0ELNS1_3repE0EEENS1_30default_config_static_selectorELNS0_4arch9wavefront6targetE1EEEvT1_,comdat
.Lfunc_end760:
	.size	_ZN7rocprim17ROCPRIM_400000_NS6detail17trampoline_kernelINS0_14default_configENS1_35adjacent_difference_config_selectorILb1EjEEZNS1_24adjacent_difference_implIS3_Lb1ELb0EPjN6thrust23THRUST_200600_302600_NS16discard_iteratorINS9_11use_defaultEEENS9_5minusIjEEEE10hipError_tPvRmT2_T3_mT4_P12ihipStream_tbEUlT_E_NS1_11comp_targetILNS1_3genE0ELNS1_11target_archE4294967295ELNS1_3gpuE0ELNS1_3repE0EEENS1_30default_config_static_selectorELNS0_4arch9wavefront6targetE1EEEvT1_, .Lfunc_end760-_ZN7rocprim17ROCPRIM_400000_NS6detail17trampoline_kernelINS0_14default_configENS1_35adjacent_difference_config_selectorILb1EjEEZNS1_24adjacent_difference_implIS3_Lb1ELb0EPjN6thrust23THRUST_200600_302600_NS16discard_iteratorINS9_11use_defaultEEENS9_5minusIjEEEE10hipError_tPvRmT2_T3_mT4_P12ihipStream_tbEUlT_E_NS1_11comp_targetILNS1_3genE0ELNS1_11target_archE4294967295ELNS1_3gpuE0ELNS1_3repE0EEENS1_30default_config_static_selectorELNS0_4arch9wavefront6targetE1EEEvT1_
                                        ; -- End function
	.section	.AMDGPU.csdata,"",@progbits
; Kernel info:
; codeLenInByte = 0
; NumSgprs: 4
; NumVgprs: 0
; NumAgprs: 0
; TotalNumVgprs: 0
; ScratchSize: 0
; MemoryBound: 0
; FloatMode: 240
; IeeeMode: 1
; LDSByteSize: 0 bytes/workgroup (compile time only)
; SGPRBlocks: 0
; VGPRBlocks: 0
; NumSGPRsForWavesPerEU: 4
; NumVGPRsForWavesPerEU: 1
; AccumOffset: 4
; Occupancy: 8
; WaveLimiterHint : 0
; COMPUTE_PGM_RSRC2:SCRATCH_EN: 0
; COMPUTE_PGM_RSRC2:USER_SGPR: 6
; COMPUTE_PGM_RSRC2:TRAP_HANDLER: 0
; COMPUTE_PGM_RSRC2:TGID_X_EN: 1
; COMPUTE_PGM_RSRC2:TGID_Y_EN: 0
; COMPUTE_PGM_RSRC2:TGID_Z_EN: 0
; COMPUTE_PGM_RSRC2:TIDIG_COMP_CNT: 0
; COMPUTE_PGM_RSRC3_GFX90A:ACCUM_OFFSET: 0
; COMPUTE_PGM_RSRC3_GFX90A:TG_SPLIT: 0
	.section	.text._ZN7rocprim17ROCPRIM_400000_NS6detail17trampoline_kernelINS0_14default_configENS1_35adjacent_difference_config_selectorILb1EjEEZNS1_24adjacent_difference_implIS3_Lb1ELb0EPjN6thrust23THRUST_200600_302600_NS16discard_iteratorINS9_11use_defaultEEENS9_5minusIjEEEE10hipError_tPvRmT2_T3_mT4_P12ihipStream_tbEUlT_E_NS1_11comp_targetILNS1_3genE10ELNS1_11target_archE1201ELNS1_3gpuE5ELNS1_3repE0EEENS1_30default_config_static_selectorELNS0_4arch9wavefront6targetE1EEEvT1_,"axG",@progbits,_ZN7rocprim17ROCPRIM_400000_NS6detail17trampoline_kernelINS0_14default_configENS1_35adjacent_difference_config_selectorILb1EjEEZNS1_24adjacent_difference_implIS3_Lb1ELb0EPjN6thrust23THRUST_200600_302600_NS16discard_iteratorINS9_11use_defaultEEENS9_5minusIjEEEE10hipError_tPvRmT2_T3_mT4_P12ihipStream_tbEUlT_E_NS1_11comp_targetILNS1_3genE10ELNS1_11target_archE1201ELNS1_3gpuE5ELNS1_3repE0EEENS1_30default_config_static_selectorELNS0_4arch9wavefront6targetE1EEEvT1_,comdat
	.protected	_ZN7rocprim17ROCPRIM_400000_NS6detail17trampoline_kernelINS0_14default_configENS1_35adjacent_difference_config_selectorILb1EjEEZNS1_24adjacent_difference_implIS3_Lb1ELb0EPjN6thrust23THRUST_200600_302600_NS16discard_iteratorINS9_11use_defaultEEENS9_5minusIjEEEE10hipError_tPvRmT2_T3_mT4_P12ihipStream_tbEUlT_E_NS1_11comp_targetILNS1_3genE10ELNS1_11target_archE1201ELNS1_3gpuE5ELNS1_3repE0EEENS1_30default_config_static_selectorELNS0_4arch9wavefront6targetE1EEEvT1_ ; -- Begin function _ZN7rocprim17ROCPRIM_400000_NS6detail17trampoline_kernelINS0_14default_configENS1_35adjacent_difference_config_selectorILb1EjEEZNS1_24adjacent_difference_implIS3_Lb1ELb0EPjN6thrust23THRUST_200600_302600_NS16discard_iteratorINS9_11use_defaultEEENS9_5minusIjEEEE10hipError_tPvRmT2_T3_mT4_P12ihipStream_tbEUlT_E_NS1_11comp_targetILNS1_3genE10ELNS1_11target_archE1201ELNS1_3gpuE5ELNS1_3repE0EEENS1_30default_config_static_selectorELNS0_4arch9wavefront6targetE1EEEvT1_
	.globl	_ZN7rocprim17ROCPRIM_400000_NS6detail17trampoline_kernelINS0_14default_configENS1_35adjacent_difference_config_selectorILb1EjEEZNS1_24adjacent_difference_implIS3_Lb1ELb0EPjN6thrust23THRUST_200600_302600_NS16discard_iteratorINS9_11use_defaultEEENS9_5minusIjEEEE10hipError_tPvRmT2_T3_mT4_P12ihipStream_tbEUlT_E_NS1_11comp_targetILNS1_3genE10ELNS1_11target_archE1201ELNS1_3gpuE5ELNS1_3repE0EEENS1_30default_config_static_selectorELNS0_4arch9wavefront6targetE1EEEvT1_
	.p2align	8
	.type	_ZN7rocprim17ROCPRIM_400000_NS6detail17trampoline_kernelINS0_14default_configENS1_35adjacent_difference_config_selectorILb1EjEEZNS1_24adjacent_difference_implIS3_Lb1ELb0EPjN6thrust23THRUST_200600_302600_NS16discard_iteratorINS9_11use_defaultEEENS9_5minusIjEEEE10hipError_tPvRmT2_T3_mT4_P12ihipStream_tbEUlT_E_NS1_11comp_targetILNS1_3genE10ELNS1_11target_archE1201ELNS1_3gpuE5ELNS1_3repE0EEENS1_30default_config_static_selectorELNS0_4arch9wavefront6targetE1EEEvT1_,@function
_ZN7rocprim17ROCPRIM_400000_NS6detail17trampoline_kernelINS0_14default_configENS1_35adjacent_difference_config_selectorILb1EjEEZNS1_24adjacent_difference_implIS3_Lb1ELb0EPjN6thrust23THRUST_200600_302600_NS16discard_iteratorINS9_11use_defaultEEENS9_5minusIjEEEE10hipError_tPvRmT2_T3_mT4_P12ihipStream_tbEUlT_E_NS1_11comp_targetILNS1_3genE10ELNS1_11target_archE1201ELNS1_3gpuE5ELNS1_3repE0EEENS1_30default_config_static_selectorELNS0_4arch9wavefront6targetE1EEEvT1_: ; @_ZN7rocprim17ROCPRIM_400000_NS6detail17trampoline_kernelINS0_14default_configENS1_35adjacent_difference_config_selectorILb1EjEEZNS1_24adjacent_difference_implIS3_Lb1ELb0EPjN6thrust23THRUST_200600_302600_NS16discard_iteratorINS9_11use_defaultEEENS9_5minusIjEEEE10hipError_tPvRmT2_T3_mT4_P12ihipStream_tbEUlT_E_NS1_11comp_targetILNS1_3genE10ELNS1_11target_archE1201ELNS1_3gpuE5ELNS1_3repE0EEENS1_30default_config_static_selectorELNS0_4arch9wavefront6targetE1EEEvT1_
; %bb.0:
	.section	.rodata,"a",@progbits
	.p2align	6, 0x0
	.amdhsa_kernel _ZN7rocprim17ROCPRIM_400000_NS6detail17trampoline_kernelINS0_14default_configENS1_35adjacent_difference_config_selectorILb1EjEEZNS1_24adjacent_difference_implIS3_Lb1ELb0EPjN6thrust23THRUST_200600_302600_NS16discard_iteratorINS9_11use_defaultEEENS9_5minusIjEEEE10hipError_tPvRmT2_T3_mT4_P12ihipStream_tbEUlT_E_NS1_11comp_targetILNS1_3genE10ELNS1_11target_archE1201ELNS1_3gpuE5ELNS1_3repE0EEENS1_30default_config_static_selectorELNS0_4arch9wavefront6targetE1EEEvT1_
		.amdhsa_group_segment_fixed_size 0
		.amdhsa_private_segment_fixed_size 0
		.amdhsa_kernarg_size 64
		.amdhsa_user_sgpr_count 6
		.amdhsa_user_sgpr_private_segment_buffer 1
		.amdhsa_user_sgpr_dispatch_ptr 0
		.amdhsa_user_sgpr_queue_ptr 0
		.amdhsa_user_sgpr_kernarg_segment_ptr 1
		.amdhsa_user_sgpr_dispatch_id 0
		.amdhsa_user_sgpr_flat_scratch_init 0
		.amdhsa_user_sgpr_kernarg_preload_length 0
		.amdhsa_user_sgpr_kernarg_preload_offset 0
		.amdhsa_user_sgpr_private_segment_size 0
		.amdhsa_uses_dynamic_stack 0
		.amdhsa_system_sgpr_private_segment_wavefront_offset 0
		.amdhsa_system_sgpr_workgroup_id_x 1
		.amdhsa_system_sgpr_workgroup_id_y 0
		.amdhsa_system_sgpr_workgroup_id_z 0
		.amdhsa_system_sgpr_workgroup_info 0
		.amdhsa_system_vgpr_workitem_id 0
		.amdhsa_next_free_vgpr 1
		.amdhsa_next_free_sgpr 0
		.amdhsa_accum_offset 4
		.amdhsa_reserve_vcc 0
		.amdhsa_reserve_flat_scratch 0
		.amdhsa_float_round_mode_32 0
		.amdhsa_float_round_mode_16_64 0
		.amdhsa_float_denorm_mode_32 3
		.amdhsa_float_denorm_mode_16_64 3
		.amdhsa_dx10_clamp 1
		.amdhsa_ieee_mode 1
		.amdhsa_fp16_overflow 0
		.amdhsa_tg_split 0
		.amdhsa_exception_fp_ieee_invalid_op 0
		.amdhsa_exception_fp_denorm_src 0
		.amdhsa_exception_fp_ieee_div_zero 0
		.amdhsa_exception_fp_ieee_overflow 0
		.amdhsa_exception_fp_ieee_underflow 0
		.amdhsa_exception_fp_ieee_inexact 0
		.amdhsa_exception_int_div_zero 0
	.end_amdhsa_kernel
	.section	.text._ZN7rocprim17ROCPRIM_400000_NS6detail17trampoline_kernelINS0_14default_configENS1_35adjacent_difference_config_selectorILb1EjEEZNS1_24adjacent_difference_implIS3_Lb1ELb0EPjN6thrust23THRUST_200600_302600_NS16discard_iteratorINS9_11use_defaultEEENS9_5minusIjEEEE10hipError_tPvRmT2_T3_mT4_P12ihipStream_tbEUlT_E_NS1_11comp_targetILNS1_3genE10ELNS1_11target_archE1201ELNS1_3gpuE5ELNS1_3repE0EEENS1_30default_config_static_selectorELNS0_4arch9wavefront6targetE1EEEvT1_,"axG",@progbits,_ZN7rocprim17ROCPRIM_400000_NS6detail17trampoline_kernelINS0_14default_configENS1_35adjacent_difference_config_selectorILb1EjEEZNS1_24adjacent_difference_implIS3_Lb1ELb0EPjN6thrust23THRUST_200600_302600_NS16discard_iteratorINS9_11use_defaultEEENS9_5minusIjEEEE10hipError_tPvRmT2_T3_mT4_P12ihipStream_tbEUlT_E_NS1_11comp_targetILNS1_3genE10ELNS1_11target_archE1201ELNS1_3gpuE5ELNS1_3repE0EEENS1_30default_config_static_selectorELNS0_4arch9wavefront6targetE1EEEvT1_,comdat
.Lfunc_end761:
	.size	_ZN7rocprim17ROCPRIM_400000_NS6detail17trampoline_kernelINS0_14default_configENS1_35adjacent_difference_config_selectorILb1EjEEZNS1_24adjacent_difference_implIS3_Lb1ELb0EPjN6thrust23THRUST_200600_302600_NS16discard_iteratorINS9_11use_defaultEEENS9_5minusIjEEEE10hipError_tPvRmT2_T3_mT4_P12ihipStream_tbEUlT_E_NS1_11comp_targetILNS1_3genE10ELNS1_11target_archE1201ELNS1_3gpuE5ELNS1_3repE0EEENS1_30default_config_static_selectorELNS0_4arch9wavefront6targetE1EEEvT1_, .Lfunc_end761-_ZN7rocprim17ROCPRIM_400000_NS6detail17trampoline_kernelINS0_14default_configENS1_35adjacent_difference_config_selectorILb1EjEEZNS1_24adjacent_difference_implIS3_Lb1ELb0EPjN6thrust23THRUST_200600_302600_NS16discard_iteratorINS9_11use_defaultEEENS9_5minusIjEEEE10hipError_tPvRmT2_T3_mT4_P12ihipStream_tbEUlT_E_NS1_11comp_targetILNS1_3genE10ELNS1_11target_archE1201ELNS1_3gpuE5ELNS1_3repE0EEENS1_30default_config_static_selectorELNS0_4arch9wavefront6targetE1EEEvT1_
                                        ; -- End function
	.section	.AMDGPU.csdata,"",@progbits
; Kernel info:
; codeLenInByte = 0
; NumSgprs: 4
; NumVgprs: 0
; NumAgprs: 0
; TotalNumVgprs: 0
; ScratchSize: 0
; MemoryBound: 0
; FloatMode: 240
; IeeeMode: 1
; LDSByteSize: 0 bytes/workgroup (compile time only)
; SGPRBlocks: 0
; VGPRBlocks: 0
; NumSGPRsForWavesPerEU: 4
; NumVGPRsForWavesPerEU: 1
; AccumOffset: 4
; Occupancy: 8
; WaveLimiterHint : 0
; COMPUTE_PGM_RSRC2:SCRATCH_EN: 0
; COMPUTE_PGM_RSRC2:USER_SGPR: 6
; COMPUTE_PGM_RSRC2:TRAP_HANDLER: 0
; COMPUTE_PGM_RSRC2:TGID_X_EN: 1
; COMPUTE_PGM_RSRC2:TGID_Y_EN: 0
; COMPUTE_PGM_RSRC2:TGID_Z_EN: 0
; COMPUTE_PGM_RSRC2:TIDIG_COMP_CNT: 0
; COMPUTE_PGM_RSRC3_GFX90A:ACCUM_OFFSET: 0
; COMPUTE_PGM_RSRC3_GFX90A:TG_SPLIT: 0
	.section	.text._ZN7rocprim17ROCPRIM_400000_NS6detail17trampoline_kernelINS0_14default_configENS1_35adjacent_difference_config_selectorILb1EjEEZNS1_24adjacent_difference_implIS3_Lb1ELb0EPjN6thrust23THRUST_200600_302600_NS16discard_iteratorINS9_11use_defaultEEENS9_5minusIjEEEE10hipError_tPvRmT2_T3_mT4_P12ihipStream_tbEUlT_E_NS1_11comp_targetILNS1_3genE5ELNS1_11target_archE942ELNS1_3gpuE9ELNS1_3repE0EEENS1_30default_config_static_selectorELNS0_4arch9wavefront6targetE1EEEvT1_,"axG",@progbits,_ZN7rocprim17ROCPRIM_400000_NS6detail17trampoline_kernelINS0_14default_configENS1_35adjacent_difference_config_selectorILb1EjEEZNS1_24adjacent_difference_implIS3_Lb1ELb0EPjN6thrust23THRUST_200600_302600_NS16discard_iteratorINS9_11use_defaultEEENS9_5minusIjEEEE10hipError_tPvRmT2_T3_mT4_P12ihipStream_tbEUlT_E_NS1_11comp_targetILNS1_3genE5ELNS1_11target_archE942ELNS1_3gpuE9ELNS1_3repE0EEENS1_30default_config_static_selectorELNS0_4arch9wavefront6targetE1EEEvT1_,comdat
	.protected	_ZN7rocprim17ROCPRIM_400000_NS6detail17trampoline_kernelINS0_14default_configENS1_35adjacent_difference_config_selectorILb1EjEEZNS1_24adjacent_difference_implIS3_Lb1ELb0EPjN6thrust23THRUST_200600_302600_NS16discard_iteratorINS9_11use_defaultEEENS9_5minusIjEEEE10hipError_tPvRmT2_T3_mT4_P12ihipStream_tbEUlT_E_NS1_11comp_targetILNS1_3genE5ELNS1_11target_archE942ELNS1_3gpuE9ELNS1_3repE0EEENS1_30default_config_static_selectorELNS0_4arch9wavefront6targetE1EEEvT1_ ; -- Begin function _ZN7rocprim17ROCPRIM_400000_NS6detail17trampoline_kernelINS0_14default_configENS1_35adjacent_difference_config_selectorILb1EjEEZNS1_24adjacent_difference_implIS3_Lb1ELb0EPjN6thrust23THRUST_200600_302600_NS16discard_iteratorINS9_11use_defaultEEENS9_5minusIjEEEE10hipError_tPvRmT2_T3_mT4_P12ihipStream_tbEUlT_E_NS1_11comp_targetILNS1_3genE5ELNS1_11target_archE942ELNS1_3gpuE9ELNS1_3repE0EEENS1_30default_config_static_selectorELNS0_4arch9wavefront6targetE1EEEvT1_
	.globl	_ZN7rocprim17ROCPRIM_400000_NS6detail17trampoline_kernelINS0_14default_configENS1_35adjacent_difference_config_selectorILb1EjEEZNS1_24adjacent_difference_implIS3_Lb1ELb0EPjN6thrust23THRUST_200600_302600_NS16discard_iteratorINS9_11use_defaultEEENS9_5minusIjEEEE10hipError_tPvRmT2_T3_mT4_P12ihipStream_tbEUlT_E_NS1_11comp_targetILNS1_3genE5ELNS1_11target_archE942ELNS1_3gpuE9ELNS1_3repE0EEENS1_30default_config_static_selectorELNS0_4arch9wavefront6targetE1EEEvT1_
	.p2align	8
	.type	_ZN7rocprim17ROCPRIM_400000_NS6detail17trampoline_kernelINS0_14default_configENS1_35adjacent_difference_config_selectorILb1EjEEZNS1_24adjacent_difference_implIS3_Lb1ELb0EPjN6thrust23THRUST_200600_302600_NS16discard_iteratorINS9_11use_defaultEEENS9_5minusIjEEEE10hipError_tPvRmT2_T3_mT4_P12ihipStream_tbEUlT_E_NS1_11comp_targetILNS1_3genE5ELNS1_11target_archE942ELNS1_3gpuE9ELNS1_3repE0EEENS1_30default_config_static_selectorELNS0_4arch9wavefront6targetE1EEEvT1_,@function
_ZN7rocprim17ROCPRIM_400000_NS6detail17trampoline_kernelINS0_14default_configENS1_35adjacent_difference_config_selectorILb1EjEEZNS1_24adjacent_difference_implIS3_Lb1ELb0EPjN6thrust23THRUST_200600_302600_NS16discard_iteratorINS9_11use_defaultEEENS9_5minusIjEEEE10hipError_tPvRmT2_T3_mT4_P12ihipStream_tbEUlT_E_NS1_11comp_targetILNS1_3genE5ELNS1_11target_archE942ELNS1_3gpuE9ELNS1_3repE0EEENS1_30default_config_static_selectorELNS0_4arch9wavefront6targetE1EEEvT1_: ; @_ZN7rocprim17ROCPRIM_400000_NS6detail17trampoline_kernelINS0_14default_configENS1_35adjacent_difference_config_selectorILb1EjEEZNS1_24adjacent_difference_implIS3_Lb1ELb0EPjN6thrust23THRUST_200600_302600_NS16discard_iteratorINS9_11use_defaultEEENS9_5minusIjEEEE10hipError_tPvRmT2_T3_mT4_P12ihipStream_tbEUlT_E_NS1_11comp_targetILNS1_3genE5ELNS1_11target_archE942ELNS1_3gpuE9ELNS1_3repE0EEENS1_30default_config_static_selectorELNS0_4arch9wavefront6targetE1EEEvT1_
; %bb.0:
	.section	.rodata,"a",@progbits
	.p2align	6, 0x0
	.amdhsa_kernel _ZN7rocprim17ROCPRIM_400000_NS6detail17trampoline_kernelINS0_14default_configENS1_35adjacent_difference_config_selectorILb1EjEEZNS1_24adjacent_difference_implIS3_Lb1ELb0EPjN6thrust23THRUST_200600_302600_NS16discard_iteratorINS9_11use_defaultEEENS9_5minusIjEEEE10hipError_tPvRmT2_T3_mT4_P12ihipStream_tbEUlT_E_NS1_11comp_targetILNS1_3genE5ELNS1_11target_archE942ELNS1_3gpuE9ELNS1_3repE0EEENS1_30default_config_static_selectorELNS0_4arch9wavefront6targetE1EEEvT1_
		.amdhsa_group_segment_fixed_size 0
		.amdhsa_private_segment_fixed_size 0
		.amdhsa_kernarg_size 64
		.amdhsa_user_sgpr_count 6
		.amdhsa_user_sgpr_private_segment_buffer 1
		.amdhsa_user_sgpr_dispatch_ptr 0
		.amdhsa_user_sgpr_queue_ptr 0
		.amdhsa_user_sgpr_kernarg_segment_ptr 1
		.amdhsa_user_sgpr_dispatch_id 0
		.amdhsa_user_sgpr_flat_scratch_init 0
		.amdhsa_user_sgpr_kernarg_preload_length 0
		.amdhsa_user_sgpr_kernarg_preload_offset 0
		.amdhsa_user_sgpr_private_segment_size 0
		.amdhsa_uses_dynamic_stack 0
		.amdhsa_system_sgpr_private_segment_wavefront_offset 0
		.amdhsa_system_sgpr_workgroup_id_x 1
		.amdhsa_system_sgpr_workgroup_id_y 0
		.amdhsa_system_sgpr_workgroup_id_z 0
		.amdhsa_system_sgpr_workgroup_info 0
		.amdhsa_system_vgpr_workitem_id 0
		.amdhsa_next_free_vgpr 1
		.amdhsa_next_free_sgpr 0
		.amdhsa_accum_offset 4
		.amdhsa_reserve_vcc 0
		.amdhsa_reserve_flat_scratch 0
		.amdhsa_float_round_mode_32 0
		.amdhsa_float_round_mode_16_64 0
		.amdhsa_float_denorm_mode_32 3
		.amdhsa_float_denorm_mode_16_64 3
		.amdhsa_dx10_clamp 1
		.amdhsa_ieee_mode 1
		.amdhsa_fp16_overflow 0
		.amdhsa_tg_split 0
		.amdhsa_exception_fp_ieee_invalid_op 0
		.amdhsa_exception_fp_denorm_src 0
		.amdhsa_exception_fp_ieee_div_zero 0
		.amdhsa_exception_fp_ieee_overflow 0
		.amdhsa_exception_fp_ieee_underflow 0
		.amdhsa_exception_fp_ieee_inexact 0
		.amdhsa_exception_int_div_zero 0
	.end_amdhsa_kernel
	.section	.text._ZN7rocprim17ROCPRIM_400000_NS6detail17trampoline_kernelINS0_14default_configENS1_35adjacent_difference_config_selectorILb1EjEEZNS1_24adjacent_difference_implIS3_Lb1ELb0EPjN6thrust23THRUST_200600_302600_NS16discard_iteratorINS9_11use_defaultEEENS9_5minusIjEEEE10hipError_tPvRmT2_T3_mT4_P12ihipStream_tbEUlT_E_NS1_11comp_targetILNS1_3genE5ELNS1_11target_archE942ELNS1_3gpuE9ELNS1_3repE0EEENS1_30default_config_static_selectorELNS0_4arch9wavefront6targetE1EEEvT1_,"axG",@progbits,_ZN7rocprim17ROCPRIM_400000_NS6detail17trampoline_kernelINS0_14default_configENS1_35adjacent_difference_config_selectorILb1EjEEZNS1_24adjacent_difference_implIS3_Lb1ELb0EPjN6thrust23THRUST_200600_302600_NS16discard_iteratorINS9_11use_defaultEEENS9_5minusIjEEEE10hipError_tPvRmT2_T3_mT4_P12ihipStream_tbEUlT_E_NS1_11comp_targetILNS1_3genE5ELNS1_11target_archE942ELNS1_3gpuE9ELNS1_3repE0EEENS1_30default_config_static_selectorELNS0_4arch9wavefront6targetE1EEEvT1_,comdat
.Lfunc_end762:
	.size	_ZN7rocprim17ROCPRIM_400000_NS6detail17trampoline_kernelINS0_14default_configENS1_35adjacent_difference_config_selectorILb1EjEEZNS1_24adjacent_difference_implIS3_Lb1ELb0EPjN6thrust23THRUST_200600_302600_NS16discard_iteratorINS9_11use_defaultEEENS9_5minusIjEEEE10hipError_tPvRmT2_T3_mT4_P12ihipStream_tbEUlT_E_NS1_11comp_targetILNS1_3genE5ELNS1_11target_archE942ELNS1_3gpuE9ELNS1_3repE0EEENS1_30default_config_static_selectorELNS0_4arch9wavefront6targetE1EEEvT1_, .Lfunc_end762-_ZN7rocprim17ROCPRIM_400000_NS6detail17trampoline_kernelINS0_14default_configENS1_35adjacent_difference_config_selectorILb1EjEEZNS1_24adjacent_difference_implIS3_Lb1ELb0EPjN6thrust23THRUST_200600_302600_NS16discard_iteratorINS9_11use_defaultEEENS9_5minusIjEEEE10hipError_tPvRmT2_T3_mT4_P12ihipStream_tbEUlT_E_NS1_11comp_targetILNS1_3genE5ELNS1_11target_archE942ELNS1_3gpuE9ELNS1_3repE0EEENS1_30default_config_static_selectorELNS0_4arch9wavefront6targetE1EEEvT1_
                                        ; -- End function
	.section	.AMDGPU.csdata,"",@progbits
; Kernel info:
; codeLenInByte = 0
; NumSgprs: 4
; NumVgprs: 0
; NumAgprs: 0
; TotalNumVgprs: 0
; ScratchSize: 0
; MemoryBound: 0
; FloatMode: 240
; IeeeMode: 1
; LDSByteSize: 0 bytes/workgroup (compile time only)
; SGPRBlocks: 0
; VGPRBlocks: 0
; NumSGPRsForWavesPerEU: 4
; NumVGPRsForWavesPerEU: 1
; AccumOffset: 4
; Occupancy: 8
; WaveLimiterHint : 0
; COMPUTE_PGM_RSRC2:SCRATCH_EN: 0
; COMPUTE_PGM_RSRC2:USER_SGPR: 6
; COMPUTE_PGM_RSRC2:TRAP_HANDLER: 0
; COMPUTE_PGM_RSRC2:TGID_X_EN: 1
; COMPUTE_PGM_RSRC2:TGID_Y_EN: 0
; COMPUTE_PGM_RSRC2:TGID_Z_EN: 0
; COMPUTE_PGM_RSRC2:TIDIG_COMP_CNT: 0
; COMPUTE_PGM_RSRC3_GFX90A:ACCUM_OFFSET: 0
; COMPUTE_PGM_RSRC3_GFX90A:TG_SPLIT: 0
	.section	.text._ZN7rocprim17ROCPRIM_400000_NS6detail17trampoline_kernelINS0_14default_configENS1_35adjacent_difference_config_selectorILb1EjEEZNS1_24adjacent_difference_implIS3_Lb1ELb0EPjN6thrust23THRUST_200600_302600_NS16discard_iteratorINS9_11use_defaultEEENS9_5minusIjEEEE10hipError_tPvRmT2_T3_mT4_P12ihipStream_tbEUlT_E_NS1_11comp_targetILNS1_3genE4ELNS1_11target_archE910ELNS1_3gpuE8ELNS1_3repE0EEENS1_30default_config_static_selectorELNS0_4arch9wavefront6targetE1EEEvT1_,"axG",@progbits,_ZN7rocprim17ROCPRIM_400000_NS6detail17trampoline_kernelINS0_14default_configENS1_35adjacent_difference_config_selectorILb1EjEEZNS1_24adjacent_difference_implIS3_Lb1ELb0EPjN6thrust23THRUST_200600_302600_NS16discard_iteratorINS9_11use_defaultEEENS9_5minusIjEEEE10hipError_tPvRmT2_T3_mT4_P12ihipStream_tbEUlT_E_NS1_11comp_targetILNS1_3genE4ELNS1_11target_archE910ELNS1_3gpuE8ELNS1_3repE0EEENS1_30default_config_static_selectorELNS0_4arch9wavefront6targetE1EEEvT1_,comdat
	.protected	_ZN7rocprim17ROCPRIM_400000_NS6detail17trampoline_kernelINS0_14default_configENS1_35adjacent_difference_config_selectorILb1EjEEZNS1_24adjacent_difference_implIS3_Lb1ELb0EPjN6thrust23THRUST_200600_302600_NS16discard_iteratorINS9_11use_defaultEEENS9_5minusIjEEEE10hipError_tPvRmT2_T3_mT4_P12ihipStream_tbEUlT_E_NS1_11comp_targetILNS1_3genE4ELNS1_11target_archE910ELNS1_3gpuE8ELNS1_3repE0EEENS1_30default_config_static_selectorELNS0_4arch9wavefront6targetE1EEEvT1_ ; -- Begin function _ZN7rocprim17ROCPRIM_400000_NS6detail17trampoline_kernelINS0_14default_configENS1_35adjacent_difference_config_selectorILb1EjEEZNS1_24adjacent_difference_implIS3_Lb1ELb0EPjN6thrust23THRUST_200600_302600_NS16discard_iteratorINS9_11use_defaultEEENS9_5minusIjEEEE10hipError_tPvRmT2_T3_mT4_P12ihipStream_tbEUlT_E_NS1_11comp_targetILNS1_3genE4ELNS1_11target_archE910ELNS1_3gpuE8ELNS1_3repE0EEENS1_30default_config_static_selectorELNS0_4arch9wavefront6targetE1EEEvT1_
	.globl	_ZN7rocprim17ROCPRIM_400000_NS6detail17trampoline_kernelINS0_14default_configENS1_35adjacent_difference_config_selectorILb1EjEEZNS1_24adjacent_difference_implIS3_Lb1ELb0EPjN6thrust23THRUST_200600_302600_NS16discard_iteratorINS9_11use_defaultEEENS9_5minusIjEEEE10hipError_tPvRmT2_T3_mT4_P12ihipStream_tbEUlT_E_NS1_11comp_targetILNS1_3genE4ELNS1_11target_archE910ELNS1_3gpuE8ELNS1_3repE0EEENS1_30default_config_static_selectorELNS0_4arch9wavefront6targetE1EEEvT1_
	.p2align	8
	.type	_ZN7rocprim17ROCPRIM_400000_NS6detail17trampoline_kernelINS0_14default_configENS1_35adjacent_difference_config_selectorILb1EjEEZNS1_24adjacent_difference_implIS3_Lb1ELb0EPjN6thrust23THRUST_200600_302600_NS16discard_iteratorINS9_11use_defaultEEENS9_5minusIjEEEE10hipError_tPvRmT2_T3_mT4_P12ihipStream_tbEUlT_E_NS1_11comp_targetILNS1_3genE4ELNS1_11target_archE910ELNS1_3gpuE8ELNS1_3repE0EEENS1_30default_config_static_selectorELNS0_4arch9wavefront6targetE1EEEvT1_,@function
_ZN7rocprim17ROCPRIM_400000_NS6detail17trampoline_kernelINS0_14default_configENS1_35adjacent_difference_config_selectorILb1EjEEZNS1_24adjacent_difference_implIS3_Lb1ELb0EPjN6thrust23THRUST_200600_302600_NS16discard_iteratorINS9_11use_defaultEEENS9_5minusIjEEEE10hipError_tPvRmT2_T3_mT4_P12ihipStream_tbEUlT_E_NS1_11comp_targetILNS1_3genE4ELNS1_11target_archE910ELNS1_3gpuE8ELNS1_3repE0EEENS1_30default_config_static_selectorELNS0_4arch9wavefront6targetE1EEEvT1_: ; @_ZN7rocprim17ROCPRIM_400000_NS6detail17trampoline_kernelINS0_14default_configENS1_35adjacent_difference_config_selectorILb1EjEEZNS1_24adjacent_difference_implIS3_Lb1ELb0EPjN6thrust23THRUST_200600_302600_NS16discard_iteratorINS9_11use_defaultEEENS9_5minusIjEEEE10hipError_tPvRmT2_T3_mT4_P12ihipStream_tbEUlT_E_NS1_11comp_targetILNS1_3genE4ELNS1_11target_archE910ELNS1_3gpuE8ELNS1_3repE0EEENS1_30default_config_static_selectorELNS0_4arch9wavefront6targetE1EEEvT1_
; %bb.0:
	s_load_dwordx4 s[0:3], s[4:5], 0x0
	s_load_dwordx2 s[12:13], s[4:5], 0x20
	s_load_dwordx4 s[8:11], s[4:5], 0x30
	s_mul_i32 s4, s6, 0xa00
	s_mov_b32 s7, 0
	s_waitcnt lgkmcnt(0)
	s_lshl_b64 s[2:3], s[2:3], 2
	s_add_u32 s18, s0, s2
	s_addc_u32 s19, s1, s3
	s_mov_b32 s0, 0x59999780
	s_add_u32 s0, 0xe0, s0
	s_addc_u32 s3, 0, 0
	v_add_co_u32_e64 v1, s[0:1], s0, 2.0
	s_cmp_lg_u64 s[0:1], 0
	s_addc_u32 s0, s3, 0x199999
	v_readfirstlane_b32 s3, v1
	s_mul_hi_u32 s14, s3, 0xfffff600
	s_mul_i32 s1, s0, 0xfffff600
	s_sub_i32 s14, s14, s3
	s_add_i32 s14, s14, s1
	s_mul_i32 s16, s3, 0xfffff600
	s_mul_hi_u32 s1, s3, s14
	s_mul_i32 s15, s3, s14
	s_mul_hi_u32 s3, s3, s16
	s_add_u32 s3, s3, s15
	s_addc_u32 s1, 0, s1
	s_mul_hi_u32 s17, s0, s16
	s_mul_i32 s16, s0, s16
	s_add_u32 s3, s3, s16
	s_mul_hi_u32 s15, s0, s14
	s_addc_u32 s1, s1, s17
	s_addc_u32 s3, s15, 0
	s_mul_i32 s14, s0, s14
	s_add_u32 s1, s1, s14
	s_addc_u32 s3, 0, s3
	v_add_co_u32_e32 v1, vcc, s1, v1
	s_cmp_lg_u64 vcc, 0
	s_addc_u32 s0, s0, s3
	v_readfirstlane_b32 s14, v1
	s_mul_i32 s3, s12, s0
	s_mul_hi_u32 s15, s12, s14
	s_mul_hi_u32 s1, s12, s0
	s_add_u32 s3, s15, s3
	s_addc_u32 s1, 0, s1
	s_mul_hi_u32 s16, s13, s14
	s_mul_i32 s14, s13, s14
	s_add_u32 s3, s3, s14
	s_mul_hi_u32 s15, s13, s0
	s_addc_u32 s1, s1, s16
	s_addc_u32 s3, s15, 0
	s_mul_i32 s0, s13, s0
	s_add_u32 s0, s1, s0
	s_addc_u32 s1, 0, s3
	s_add_u32 s3, s0, 1
	s_addc_u32 s14, s1, 0
	s_add_u32 s15, s0, 2
	s_mul_i32 s17, s1, 0xa00
	s_mul_hi_u32 s20, s0, 0xa00
	s_addc_u32 s16, s1, 0
	s_add_i32 s20, s20, s17
	s_mul_i32 s17, s0, 0xa00
	v_mov_b32_e32 v1, s17
	v_sub_co_u32_e32 v1, vcc, s12, v1
	s_movk_i32 s2, 0xa00
	s_cmp_lg_u64 vcc, 0
	s_subb_u32 s17, s13, s20
	v_subrev_co_u32_e32 v2, vcc, s2, v1
	s_cmp_lg_u64 vcc, 0
	s_subb_u32 s2, s17, 0
	v_readfirstlane_b32 s20, v2
	s_cmpk_gt_u32 s20, 0x9ff
	s_cselect_b32 s20, -1, 0
	s_cmp_eq_u32 s2, 0
	s_cselect_b32 s2, s20, -1
	s_cmp_lg_u32 s2, 0
	s_cselect_b32 s2, s15, s3
	s_cselect_b32 s3, s16, s14
	v_readfirstlane_b32 s14, v1
	s_cmpk_gt_u32 s14, 0x9ff
	s_cselect_b32 s14, -1, 0
	s_cmp_eq_u32 s17, 0
	s_cselect_b32 s14, s14, -1
	s_cmp_lg_u32 s14, 0
	s_cselect_b32 s3, s3, s1
	s_cselect_b32 s2, s2, s0
	s_mul_i32 s0, s3, 0xa00
	s_mul_hi_u32 s1, s2, 0xa00
	s_add_i32 s1, s1, s0
	s_mul_i32 s0, s2, 0xa00
	s_sub_u32 s0, s12, s0
	s_subb_u32 s1, s13, s1
	s_cmp_lg_u64 s[0:1], 0
	s_cselect_b64 s[0:1], -1, 0
	v_cndmask_b32_e64 v1, 0, 1, s[0:1]
	v_mov_b32_e32 v2, s3
	v_add_co_u32_e32 v8, vcc, s2, v1
	v_addc_co_u32_e32 v9, vcc, 0, v2, vcc
	s_add_u32 s2, s10, s6
	v_add_co_u32_e32 v10, vcc, -1, v8
	s_addc_u32 s3, s11, 0
	v_addc_co_u32_e32 v11, vcc, -1, v9, vcc
	v_cmp_ge_u64_e64 s[0:1], s[2:3], v[10:11]
	s_movk_i32 s5, 0xf600
	s_mov_b64 s[14:15], -1
	s_and_b64 vcc, exec, s[0:1]
	s_cbranch_vccz .LBB763_12
; %bb.1:
	v_mul_lo_u32 v1, v10, s5
	s_mov_b32 s5, s7
	s_lshl_b64 s[14:15], s[4:5], 2
	v_add_u32_e32 v1, s12, v1
	s_add_u32 s14, s18, s14
	s_addc_u32 s15, s19, s15
	v_cmp_lt_u32_e32 vcc, v0, v1
                                        ; implicit-def: $vgpr2_vgpr3_vgpr4_vgpr5_vgpr6
	s_and_saveexec_b64 s[16:17], vcc
	s_cbranch_execz .LBB763_3
; %bb.2:
	v_lshlrev_b32_e32 v2, 2, v0
	global_load_dword v2, v2, s[14:15]
.LBB763_3:
	s_or_b64 exec, exec, s[16:17]
	v_or_b32_e32 v7, 0x200, v0
	v_cmp_lt_u32_e32 vcc, v7, v1
	s_and_saveexec_b64 s[16:17], vcc
	s_cbranch_execz .LBB763_5
; %bb.4:
	v_lshlrev_b32_e32 v3, 2, v0
	global_load_dword v3, v3, s[14:15] offset:2048
.LBB763_5:
	s_or_b64 exec, exec, s[16:17]
	v_or_b32_e32 v7, 0x400, v0
	v_cmp_lt_u32_e32 vcc, v7, v1
	s_and_saveexec_b64 s[16:17], vcc
	s_cbranch_execz .LBB763_7
; %bb.6:
	v_lshlrev_b32_e32 v4, 2, v7
	global_load_dword v4, v4, s[14:15]
.LBB763_7:
	s_or_b64 exec, exec, s[16:17]
	v_or_b32_e32 v7, 0x600, v0
	v_cmp_lt_u32_e32 vcc, v7, v1
	s_and_saveexec_b64 s[16:17], vcc
	s_cbranch_execz .LBB763_9
; %bb.8:
	v_lshlrev_b32_e32 v5, 2, v7
	global_load_dword v5, v5, s[14:15]
.LBB763_9:
	;; [unrolled: 9-line block ×3, first 2 shown]
	s_or_b64 exec, exec, s[16:17]
	v_lshlrev_b32_e32 v1, 2, v0
	s_mov_b64 s[14:15], 0
	s_waitcnt vmcnt(0)
	ds_write2st64_b32 v1, v2, v3 offset1:8
	ds_write2st64_b32 v1, v4, v5 offset0:16 offset1:24
	ds_write_b32 v1, v6 offset:8192
	s_waitcnt lgkmcnt(0)
	s_barrier
.LBB763_12:
	s_and_b64 vcc, exec, s[14:15]
	v_lshlrev_b32_e32 v12, 2, v0
	s_cbranch_vccz .LBB763_14
; %bb.13:
	s_mov_b32 s5, 0
	s_lshl_b64 s[4:5], s[4:5], 2
	s_add_u32 s4, s18, s4
	s_addc_u32 s5, s19, s5
	v_mov_b32_e32 v1, s5
	v_add_co_u32_e32 v4, vcc, s4, v12
	v_addc_co_u32_e32 v1, vcc, 0, v1, vcc
	v_add_co_u32_e32 v2, vcc, 0x1000, v4
	v_addc_co_u32_e32 v3, vcc, 0, v1, vcc
	global_load_dword v5, v12, s[4:5]
	global_load_dword v6, v12, s[4:5] offset:2048
	global_load_dword v7, v[2:3], off
	global_load_dword v13, v[2:3], off offset:2048
	v_add_co_u32_e32 v2, vcc, 0x2000, v4
	v_addc_co_u32_e32 v3, vcc, 0, v1, vcc
	global_load_dword v1, v[2:3], off
	s_waitcnt vmcnt(3)
	ds_write2st64_b32 v12, v5, v6 offset1:8
	s_waitcnt vmcnt(1)
	ds_write2st64_b32 v12, v7, v13 offset0:16 offset1:24
	s_waitcnt vmcnt(0)
	ds_write_b32 v12, v1 offset:8192
	s_waitcnt lgkmcnt(0)
	s_barrier
.LBB763_14:
	v_mul_u32_u24_e32 v1, 5, v0
	v_lshlrev_b32_e32 v1, 2, v1
	ds_read_b32 v2, v1
	ds_read2_b32 v[4:5], v1 offset0:1 offset1:2
	ds_read2_b32 v[6:7], v1 offset0:3 offset1:4
	s_cmp_eq_u64 s[2:3], 0
	s_waitcnt lgkmcnt(0)
	s_barrier
	s_cbranch_scc1 .LBB763_19
; %bb.15:
	s_lshl_b64 s[4:5], s[10:11], 2
	s_add_u32 s8, s8, s4
	s_addc_u32 s9, s9, s5
	s_lshl_b64 s[4:5], s[6:7], 2
	s_add_u32 s4, s8, s4
	s_addc_u32 s5, s9, s5
	s_add_u32 s4, s4, -4
	s_addc_u32 s5, s5, -1
	s_load_dword s6, s[4:5], 0x0
	v_cmp_eq_u64_e32 vcc, s[2:3], v[10:11]
	s_cbranch_vccnz .LBB763_21
; %bb.16:
	v_cmp_ne_u32_e32 vcc, 0, v0
	s_waitcnt lgkmcnt(0)
	v_mov_b32_e32 v13, s6
	v_mov_b32_e32 v14, 0
	ds_write_b32 v12, v7
	s_waitcnt lgkmcnt(0)
	s_barrier
	s_and_saveexec_b64 s[4:5], vcc
	s_cbranch_execz .LBB763_18
; %bb.17:
	v_add_u32_e32 v1, -4, v12
	ds_read_b32 v13, v1
	v_mov_b32_e32 v14, v0
.LBB763_18:
	s_or_b64 exec, exec, s[4:5]
	v_sub_u32_e32 v1, v7, v6
	v_sub_u32_e32 v3, v6, v5
	;; [unrolled: 1-line block ×4, first 2 shown]
	s_cbranch_execz .LBB763_22
	s_branch .LBB763_25
.LBB763_19:
	s_mov_b64 s[4:5], 0
                                        ; implicit-def: $vgpr1
                                        ; implicit-def: $vgpr3
                                        ; implicit-def: $vgpr10
                                        ; implicit-def: $vgpr11
                                        ; implicit-def: $vgpr13
                                        ; implicit-def: $vgpr14
	s_branch .LBB763_26
.LBB763_20:
                                        ; implicit-def: $vgpr8
	s_and_saveexec_b64 s[2:3], s[4:5]
	s_cbranch_execnz .LBB763_35
	s_branch .LBB763_36
.LBB763_21:
                                        ; implicit-def: $vgpr1
                                        ; implicit-def: $vgpr3
                                        ; implicit-def: $vgpr10
                                        ; implicit-def: $vgpr11
                                        ; implicit-def: $vgpr13
                                        ; implicit-def: $vgpr14
.LBB763_22:
	s_waitcnt lgkmcnt(0)
	v_mul_u32_u24_e32 v13, 5, v0
	v_cmp_ne_u32_e32 vcc, 0, v0
	v_mov_b32_e32 v14, s6
	ds_write_b32 v12, v7
	s_waitcnt lgkmcnt(0)
	s_barrier
	s_and_saveexec_b64 s[4:5], vcc
	s_cbranch_execz .LBB763_24
; %bb.23:
	v_add_u32_e32 v1, -4, v12
	ds_read_b32 v14, v1
.LBB763_24:
	s_or_b64 exec, exec, s[4:5]
	s_mulk_i32 s2, 0xf600
	s_add_i32 s2, s2, s12
	v_add_u32_e32 v1, 4, v13
	v_sub_u32_e32 v3, v7, v6
	v_cmp_gt_u32_e32 vcc, s2, v1
	v_cndmask_b32_e32 v1, v7, v3, vcc
	v_add_u32_e32 v3, 3, v13
	v_sub_u32_e32 v10, v6, v5
	v_cmp_gt_u32_e32 vcc, s2, v3
	v_cndmask_b32_e32 v3, v6, v10, vcc
	;; [unrolled: 4-line block ×4, first 2 shown]
	v_cmp_gt_u32_e32 vcc, s2, v13
	s_waitcnt lgkmcnt(0)
	v_cndmask_b32_e32 v13, 0, v14, vcc
	v_mov_b32_e32 v14, v0
.LBB763_25:
	s_mov_b64 s[4:5], -1
	s_cbranch_execnz .LBB763_20
.LBB763_26:
	v_cmp_ne_u64_e32 vcc, 1, v[8:9]
	s_and_b64 vcc, exec, vcc
	v_sub_u32_e32 v3, v6, v5
	v_sub_u32_e32 v1, v7, v6
	;; [unrolled: 1-line block ×4, first 2 shown]
	v_cmp_ne_u32_e64 s[2:3], 0, v0
	s_cbranch_vccz .LBB763_31
; %bb.27:
	s_mov_b32 s8, 0
	ds_write_b32 v12, v7
	s_waitcnt lgkmcnt(0)
	s_barrier
	s_waitcnt lgkmcnt(0)
                                        ; implicit-def: $vgpr13
                                        ; implicit-def: $vgpr14
	s_and_saveexec_b64 s[6:7], s[2:3]
	s_cbranch_execz .LBB763_29
; %bb.28:
	v_add_u32_e32 v8, -4, v12
	ds_read_b32 v13, v8
	s_or_b64 s[4:5], s[4:5], exec
	v_mov_b32_e32 v14, v0
.LBB763_29:
	s_or_b64 exec, exec, s[6:7]
.LBB763_30:
	v_mov_b32_e32 v8, s8
	s_and_saveexec_b64 s[2:3], s[4:5]
	s_cbranch_execnz .LBB763_35
	s_branch .LBB763_36
.LBB763_31:
                                        ; implicit-def: $vgpr13
                                        ; implicit-def: $vgpr14
                                        ; implicit-def: $sgpr8
	s_cbranch_execz .LBB763_30
; %bb.32:
	v_mad_u32_u24 v9, v0, 5, 4
	v_cmp_gt_u32_e32 vcc, s12, v9
	ds_write_b32 v12, v7
	v_cndmask_b32_e32 v1, v7, v1, vcc
	v_mad_u32_u24 v7, v0, 5, 3
	v_cmp_gt_u32_e32 vcc, s12, v7
	v_cndmask_b32_e32 v3, v6, v3, vcc
	v_mad_u32_u24 v6, v0, 5, 2
	v_cmp_gt_u32_e32 vcc, s12, v6
	v_cndmask_b32_e32 v10, v5, v10, vcc
	v_mad_u32_u24 v5, v0, 5, 1
	v_mul_u32_u24_e32 v8, 5, v0
	v_cmp_gt_u32_e32 vcc, s12, v5
	v_cndmask_b32_e32 v11, v4, v11, vcc
	v_cmp_ne_u32_e32 vcc, 0, v0
	v_cmp_gt_u32_e64 s[2:3], s12, v8
	s_waitcnt lgkmcnt(0)
	s_and_b64 s[6:7], vcc, s[2:3]
	s_barrier
	s_waitcnt lgkmcnt(0)
                                        ; implicit-def: $vgpr13
	s_and_saveexec_b64 s[2:3], s[6:7]
	s_cbranch_execz .LBB763_34
; %bb.33:
	v_add_u32_e32 v4, -4, v12
	ds_read_b32 v13, v4
	s_or_b64 s[4:5], s[4:5], exec
.LBB763_34:
	s_or_b64 exec, exec, s[2:3]
	v_mov_b32_e32 v14, v0
	v_mov_b32_e32 v8, v0
	s_and_saveexec_b64 s[2:3], s[4:5]
	s_cbranch_execz .LBB763_36
.LBB763_35:
	s_waitcnt lgkmcnt(0)
	v_sub_u32_e32 v2, v2, v13
	v_mov_b32_e32 v8, v14
.LBB763_36:
	s_or_b64 exec, exec, s[2:3]
	v_mul_i32_i24_e32 v0, 20, v8
	s_mov_b64 s[2:3], -1
	s_and_b64 vcc, exec, s[0:1]
	s_waitcnt lgkmcnt(0)
	s_barrier
	ds_write2_b32 v0, v2, v11 offset1:1
	ds_write2_b32 v0, v10, v3 offset0:2 offset1:3
	ds_write_b32 v0, v1 offset:16
	s_waitcnt lgkmcnt(0)
	s_cbranch_vccnz .LBB763_39
; %bb.37:
	s_andn2_b64 vcc, exec, s[2:3]
	s_cbranch_vccz .LBB763_40
.LBB763_38:
	s_endpgm
.LBB763_39:
	s_barrier
	s_cbranch_execnz .LBB763_38
.LBB763_40:
	s_barrier
	s_endpgm
	.section	.rodata,"a",@progbits
	.p2align	6, 0x0
	.amdhsa_kernel _ZN7rocprim17ROCPRIM_400000_NS6detail17trampoline_kernelINS0_14default_configENS1_35adjacent_difference_config_selectorILb1EjEEZNS1_24adjacent_difference_implIS3_Lb1ELb0EPjN6thrust23THRUST_200600_302600_NS16discard_iteratorINS9_11use_defaultEEENS9_5minusIjEEEE10hipError_tPvRmT2_T3_mT4_P12ihipStream_tbEUlT_E_NS1_11comp_targetILNS1_3genE4ELNS1_11target_archE910ELNS1_3gpuE8ELNS1_3repE0EEENS1_30default_config_static_selectorELNS0_4arch9wavefront6targetE1EEEvT1_
		.amdhsa_group_segment_fixed_size 10240
		.amdhsa_private_segment_fixed_size 0
		.amdhsa_kernarg_size 64
		.amdhsa_user_sgpr_count 6
		.amdhsa_user_sgpr_private_segment_buffer 1
		.amdhsa_user_sgpr_dispatch_ptr 0
		.amdhsa_user_sgpr_queue_ptr 0
		.amdhsa_user_sgpr_kernarg_segment_ptr 1
		.amdhsa_user_sgpr_dispatch_id 0
		.amdhsa_user_sgpr_flat_scratch_init 0
		.amdhsa_user_sgpr_kernarg_preload_length 0
		.amdhsa_user_sgpr_kernarg_preload_offset 0
		.amdhsa_user_sgpr_private_segment_size 0
		.amdhsa_uses_dynamic_stack 0
		.amdhsa_system_sgpr_private_segment_wavefront_offset 0
		.amdhsa_system_sgpr_workgroup_id_x 1
		.amdhsa_system_sgpr_workgroup_id_y 0
		.amdhsa_system_sgpr_workgroup_id_z 0
		.amdhsa_system_sgpr_workgroup_info 0
		.amdhsa_system_vgpr_workitem_id 0
		.amdhsa_next_free_vgpr 16
		.amdhsa_next_free_sgpr 21
		.amdhsa_accum_offset 16
		.amdhsa_reserve_vcc 1
		.amdhsa_reserve_flat_scratch 0
		.amdhsa_float_round_mode_32 0
		.amdhsa_float_round_mode_16_64 0
		.amdhsa_float_denorm_mode_32 3
		.amdhsa_float_denorm_mode_16_64 3
		.amdhsa_dx10_clamp 1
		.amdhsa_ieee_mode 1
		.amdhsa_fp16_overflow 0
		.amdhsa_tg_split 0
		.amdhsa_exception_fp_ieee_invalid_op 0
		.amdhsa_exception_fp_denorm_src 0
		.amdhsa_exception_fp_ieee_div_zero 0
		.amdhsa_exception_fp_ieee_overflow 0
		.amdhsa_exception_fp_ieee_underflow 0
		.amdhsa_exception_fp_ieee_inexact 0
		.amdhsa_exception_int_div_zero 0
	.end_amdhsa_kernel
	.section	.text._ZN7rocprim17ROCPRIM_400000_NS6detail17trampoline_kernelINS0_14default_configENS1_35adjacent_difference_config_selectorILb1EjEEZNS1_24adjacent_difference_implIS3_Lb1ELb0EPjN6thrust23THRUST_200600_302600_NS16discard_iteratorINS9_11use_defaultEEENS9_5minusIjEEEE10hipError_tPvRmT2_T3_mT4_P12ihipStream_tbEUlT_E_NS1_11comp_targetILNS1_3genE4ELNS1_11target_archE910ELNS1_3gpuE8ELNS1_3repE0EEENS1_30default_config_static_selectorELNS0_4arch9wavefront6targetE1EEEvT1_,"axG",@progbits,_ZN7rocprim17ROCPRIM_400000_NS6detail17trampoline_kernelINS0_14default_configENS1_35adjacent_difference_config_selectorILb1EjEEZNS1_24adjacent_difference_implIS3_Lb1ELb0EPjN6thrust23THRUST_200600_302600_NS16discard_iteratorINS9_11use_defaultEEENS9_5minusIjEEEE10hipError_tPvRmT2_T3_mT4_P12ihipStream_tbEUlT_E_NS1_11comp_targetILNS1_3genE4ELNS1_11target_archE910ELNS1_3gpuE8ELNS1_3repE0EEENS1_30default_config_static_selectorELNS0_4arch9wavefront6targetE1EEEvT1_,comdat
.Lfunc_end763:
	.size	_ZN7rocprim17ROCPRIM_400000_NS6detail17trampoline_kernelINS0_14default_configENS1_35adjacent_difference_config_selectorILb1EjEEZNS1_24adjacent_difference_implIS3_Lb1ELb0EPjN6thrust23THRUST_200600_302600_NS16discard_iteratorINS9_11use_defaultEEENS9_5minusIjEEEE10hipError_tPvRmT2_T3_mT4_P12ihipStream_tbEUlT_E_NS1_11comp_targetILNS1_3genE4ELNS1_11target_archE910ELNS1_3gpuE8ELNS1_3repE0EEENS1_30default_config_static_selectorELNS0_4arch9wavefront6targetE1EEEvT1_, .Lfunc_end763-_ZN7rocprim17ROCPRIM_400000_NS6detail17trampoline_kernelINS0_14default_configENS1_35adjacent_difference_config_selectorILb1EjEEZNS1_24adjacent_difference_implIS3_Lb1ELb0EPjN6thrust23THRUST_200600_302600_NS16discard_iteratorINS9_11use_defaultEEENS9_5minusIjEEEE10hipError_tPvRmT2_T3_mT4_P12ihipStream_tbEUlT_E_NS1_11comp_targetILNS1_3genE4ELNS1_11target_archE910ELNS1_3gpuE8ELNS1_3repE0EEENS1_30default_config_static_selectorELNS0_4arch9wavefront6targetE1EEEvT1_
                                        ; -- End function
	.section	.AMDGPU.csdata,"",@progbits
; Kernel info:
; codeLenInByte = 1600
; NumSgprs: 25
; NumVgprs: 16
; NumAgprs: 0
; TotalNumVgprs: 16
; ScratchSize: 0
; MemoryBound: 0
; FloatMode: 240
; IeeeMode: 1
; LDSByteSize: 10240 bytes/workgroup (compile time only)
; SGPRBlocks: 3
; VGPRBlocks: 1
; NumSGPRsForWavesPerEU: 25
; NumVGPRsForWavesPerEU: 16
; AccumOffset: 16
; Occupancy: 8
; WaveLimiterHint : 1
; COMPUTE_PGM_RSRC2:SCRATCH_EN: 0
; COMPUTE_PGM_RSRC2:USER_SGPR: 6
; COMPUTE_PGM_RSRC2:TRAP_HANDLER: 0
; COMPUTE_PGM_RSRC2:TGID_X_EN: 1
; COMPUTE_PGM_RSRC2:TGID_Y_EN: 0
; COMPUTE_PGM_RSRC2:TGID_Z_EN: 0
; COMPUTE_PGM_RSRC2:TIDIG_COMP_CNT: 0
; COMPUTE_PGM_RSRC3_GFX90A:ACCUM_OFFSET: 3
; COMPUTE_PGM_RSRC3_GFX90A:TG_SPLIT: 0
	.section	.text._ZN7rocprim17ROCPRIM_400000_NS6detail17trampoline_kernelINS0_14default_configENS1_35adjacent_difference_config_selectorILb1EjEEZNS1_24adjacent_difference_implIS3_Lb1ELb0EPjN6thrust23THRUST_200600_302600_NS16discard_iteratorINS9_11use_defaultEEENS9_5minusIjEEEE10hipError_tPvRmT2_T3_mT4_P12ihipStream_tbEUlT_E_NS1_11comp_targetILNS1_3genE3ELNS1_11target_archE908ELNS1_3gpuE7ELNS1_3repE0EEENS1_30default_config_static_selectorELNS0_4arch9wavefront6targetE1EEEvT1_,"axG",@progbits,_ZN7rocprim17ROCPRIM_400000_NS6detail17trampoline_kernelINS0_14default_configENS1_35adjacent_difference_config_selectorILb1EjEEZNS1_24adjacent_difference_implIS3_Lb1ELb0EPjN6thrust23THRUST_200600_302600_NS16discard_iteratorINS9_11use_defaultEEENS9_5minusIjEEEE10hipError_tPvRmT2_T3_mT4_P12ihipStream_tbEUlT_E_NS1_11comp_targetILNS1_3genE3ELNS1_11target_archE908ELNS1_3gpuE7ELNS1_3repE0EEENS1_30default_config_static_selectorELNS0_4arch9wavefront6targetE1EEEvT1_,comdat
	.protected	_ZN7rocprim17ROCPRIM_400000_NS6detail17trampoline_kernelINS0_14default_configENS1_35adjacent_difference_config_selectorILb1EjEEZNS1_24adjacent_difference_implIS3_Lb1ELb0EPjN6thrust23THRUST_200600_302600_NS16discard_iteratorINS9_11use_defaultEEENS9_5minusIjEEEE10hipError_tPvRmT2_T3_mT4_P12ihipStream_tbEUlT_E_NS1_11comp_targetILNS1_3genE3ELNS1_11target_archE908ELNS1_3gpuE7ELNS1_3repE0EEENS1_30default_config_static_selectorELNS0_4arch9wavefront6targetE1EEEvT1_ ; -- Begin function _ZN7rocprim17ROCPRIM_400000_NS6detail17trampoline_kernelINS0_14default_configENS1_35adjacent_difference_config_selectorILb1EjEEZNS1_24adjacent_difference_implIS3_Lb1ELb0EPjN6thrust23THRUST_200600_302600_NS16discard_iteratorINS9_11use_defaultEEENS9_5minusIjEEEE10hipError_tPvRmT2_T3_mT4_P12ihipStream_tbEUlT_E_NS1_11comp_targetILNS1_3genE3ELNS1_11target_archE908ELNS1_3gpuE7ELNS1_3repE0EEENS1_30default_config_static_selectorELNS0_4arch9wavefront6targetE1EEEvT1_
	.globl	_ZN7rocprim17ROCPRIM_400000_NS6detail17trampoline_kernelINS0_14default_configENS1_35adjacent_difference_config_selectorILb1EjEEZNS1_24adjacent_difference_implIS3_Lb1ELb0EPjN6thrust23THRUST_200600_302600_NS16discard_iteratorINS9_11use_defaultEEENS9_5minusIjEEEE10hipError_tPvRmT2_T3_mT4_P12ihipStream_tbEUlT_E_NS1_11comp_targetILNS1_3genE3ELNS1_11target_archE908ELNS1_3gpuE7ELNS1_3repE0EEENS1_30default_config_static_selectorELNS0_4arch9wavefront6targetE1EEEvT1_
	.p2align	8
	.type	_ZN7rocprim17ROCPRIM_400000_NS6detail17trampoline_kernelINS0_14default_configENS1_35adjacent_difference_config_selectorILb1EjEEZNS1_24adjacent_difference_implIS3_Lb1ELb0EPjN6thrust23THRUST_200600_302600_NS16discard_iteratorINS9_11use_defaultEEENS9_5minusIjEEEE10hipError_tPvRmT2_T3_mT4_P12ihipStream_tbEUlT_E_NS1_11comp_targetILNS1_3genE3ELNS1_11target_archE908ELNS1_3gpuE7ELNS1_3repE0EEENS1_30default_config_static_selectorELNS0_4arch9wavefront6targetE1EEEvT1_,@function
_ZN7rocprim17ROCPRIM_400000_NS6detail17trampoline_kernelINS0_14default_configENS1_35adjacent_difference_config_selectorILb1EjEEZNS1_24adjacent_difference_implIS3_Lb1ELb0EPjN6thrust23THRUST_200600_302600_NS16discard_iteratorINS9_11use_defaultEEENS9_5minusIjEEEE10hipError_tPvRmT2_T3_mT4_P12ihipStream_tbEUlT_E_NS1_11comp_targetILNS1_3genE3ELNS1_11target_archE908ELNS1_3gpuE7ELNS1_3repE0EEENS1_30default_config_static_selectorELNS0_4arch9wavefront6targetE1EEEvT1_: ; @_ZN7rocprim17ROCPRIM_400000_NS6detail17trampoline_kernelINS0_14default_configENS1_35adjacent_difference_config_selectorILb1EjEEZNS1_24adjacent_difference_implIS3_Lb1ELb0EPjN6thrust23THRUST_200600_302600_NS16discard_iteratorINS9_11use_defaultEEENS9_5minusIjEEEE10hipError_tPvRmT2_T3_mT4_P12ihipStream_tbEUlT_E_NS1_11comp_targetILNS1_3genE3ELNS1_11target_archE908ELNS1_3gpuE7ELNS1_3repE0EEENS1_30default_config_static_selectorELNS0_4arch9wavefront6targetE1EEEvT1_
; %bb.0:
	.section	.rodata,"a",@progbits
	.p2align	6, 0x0
	.amdhsa_kernel _ZN7rocprim17ROCPRIM_400000_NS6detail17trampoline_kernelINS0_14default_configENS1_35adjacent_difference_config_selectorILb1EjEEZNS1_24adjacent_difference_implIS3_Lb1ELb0EPjN6thrust23THRUST_200600_302600_NS16discard_iteratorINS9_11use_defaultEEENS9_5minusIjEEEE10hipError_tPvRmT2_T3_mT4_P12ihipStream_tbEUlT_E_NS1_11comp_targetILNS1_3genE3ELNS1_11target_archE908ELNS1_3gpuE7ELNS1_3repE0EEENS1_30default_config_static_selectorELNS0_4arch9wavefront6targetE1EEEvT1_
		.amdhsa_group_segment_fixed_size 0
		.amdhsa_private_segment_fixed_size 0
		.amdhsa_kernarg_size 64
		.amdhsa_user_sgpr_count 6
		.amdhsa_user_sgpr_private_segment_buffer 1
		.amdhsa_user_sgpr_dispatch_ptr 0
		.amdhsa_user_sgpr_queue_ptr 0
		.amdhsa_user_sgpr_kernarg_segment_ptr 1
		.amdhsa_user_sgpr_dispatch_id 0
		.amdhsa_user_sgpr_flat_scratch_init 0
		.amdhsa_user_sgpr_kernarg_preload_length 0
		.amdhsa_user_sgpr_kernarg_preload_offset 0
		.amdhsa_user_sgpr_private_segment_size 0
		.amdhsa_uses_dynamic_stack 0
		.amdhsa_system_sgpr_private_segment_wavefront_offset 0
		.amdhsa_system_sgpr_workgroup_id_x 1
		.amdhsa_system_sgpr_workgroup_id_y 0
		.amdhsa_system_sgpr_workgroup_id_z 0
		.amdhsa_system_sgpr_workgroup_info 0
		.amdhsa_system_vgpr_workitem_id 0
		.amdhsa_next_free_vgpr 1
		.amdhsa_next_free_sgpr 0
		.amdhsa_accum_offset 4
		.amdhsa_reserve_vcc 0
		.amdhsa_reserve_flat_scratch 0
		.amdhsa_float_round_mode_32 0
		.amdhsa_float_round_mode_16_64 0
		.amdhsa_float_denorm_mode_32 3
		.amdhsa_float_denorm_mode_16_64 3
		.amdhsa_dx10_clamp 1
		.amdhsa_ieee_mode 1
		.amdhsa_fp16_overflow 0
		.amdhsa_tg_split 0
		.amdhsa_exception_fp_ieee_invalid_op 0
		.amdhsa_exception_fp_denorm_src 0
		.amdhsa_exception_fp_ieee_div_zero 0
		.amdhsa_exception_fp_ieee_overflow 0
		.amdhsa_exception_fp_ieee_underflow 0
		.amdhsa_exception_fp_ieee_inexact 0
		.amdhsa_exception_int_div_zero 0
	.end_amdhsa_kernel
	.section	.text._ZN7rocprim17ROCPRIM_400000_NS6detail17trampoline_kernelINS0_14default_configENS1_35adjacent_difference_config_selectorILb1EjEEZNS1_24adjacent_difference_implIS3_Lb1ELb0EPjN6thrust23THRUST_200600_302600_NS16discard_iteratorINS9_11use_defaultEEENS9_5minusIjEEEE10hipError_tPvRmT2_T3_mT4_P12ihipStream_tbEUlT_E_NS1_11comp_targetILNS1_3genE3ELNS1_11target_archE908ELNS1_3gpuE7ELNS1_3repE0EEENS1_30default_config_static_selectorELNS0_4arch9wavefront6targetE1EEEvT1_,"axG",@progbits,_ZN7rocprim17ROCPRIM_400000_NS6detail17trampoline_kernelINS0_14default_configENS1_35adjacent_difference_config_selectorILb1EjEEZNS1_24adjacent_difference_implIS3_Lb1ELb0EPjN6thrust23THRUST_200600_302600_NS16discard_iteratorINS9_11use_defaultEEENS9_5minusIjEEEE10hipError_tPvRmT2_T3_mT4_P12ihipStream_tbEUlT_E_NS1_11comp_targetILNS1_3genE3ELNS1_11target_archE908ELNS1_3gpuE7ELNS1_3repE0EEENS1_30default_config_static_selectorELNS0_4arch9wavefront6targetE1EEEvT1_,comdat
.Lfunc_end764:
	.size	_ZN7rocprim17ROCPRIM_400000_NS6detail17trampoline_kernelINS0_14default_configENS1_35adjacent_difference_config_selectorILb1EjEEZNS1_24adjacent_difference_implIS3_Lb1ELb0EPjN6thrust23THRUST_200600_302600_NS16discard_iteratorINS9_11use_defaultEEENS9_5minusIjEEEE10hipError_tPvRmT2_T3_mT4_P12ihipStream_tbEUlT_E_NS1_11comp_targetILNS1_3genE3ELNS1_11target_archE908ELNS1_3gpuE7ELNS1_3repE0EEENS1_30default_config_static_selectorELNS0_4arch9wavefront6targetE1EEEvT1_, .Lfunc_end764-_ZN7rocprim17ROCPRIM_400000_NS6detail17trampoline_kernelINS0_14default_configENS1_35adjacent_difference_config_selectorILb1EjEEZNS1_24adjacent_difference_implIS3_Lb1ELb0EPjN6thrust23THRUST_200600_302600_NS16discard_iteratorINS9_11use_defaultEEENS9_5minusIjEEEE10hipError_tPvRmT2_T3_mT4_P12ihipStream_tbEUlT_E_NS1_11comp_targetILNS1_3genE3ELNS1_11target_archE908ELNS1_3gpuE7ELNS1_3repE0EEENS1_30default_config_static_selectorELNS0_4arch9wavefront6targetE1EEEvT1_
                                        ; -- End function
	.section	.AMDGPU.csdata,"",@progbits
; Kernel info:
; codeLenInByte = 0
; NumSgprs: 4
; NumVgprs: 0
; NumAgprs: 0
; TotalNumVgprs: 0
; ScratchSize: 0
; MemoryBound: 0
; FloatMode: 240
; IeeeMode: 1
; LDSByteSize: 0 bytes/workgroup (compile time only)
; SGPRBlocks: 0
; VGPRBlocks: 0
; NumSGPRsForWavesPerEU: 4
; NumVGPRsForWavesPerEU: 1
; AccumOffset: 4
; Occupancy: 8
; WaveLimiterHint : 0
; COMPUTE_PGM_RSRC2:SCRATCH_EN: 0
; COMPUTE_PGM_RSRC2:USER_SGPR: 6
; COMPUTE_PGM_RSRC2:TRAP_HANDLER: 0
; COMPUTE_PGM_RSRC2:TGID_X_EN: 1
; COMPUTE_PGM_RSRC2:TGID_Y_EN: 0
; COMPUTE_PGM_RSRC2:TGID_Z_EN: 0
; COMPUTE_PGM_RSRC2:TIDIG_COMP_CNT: 0
; COMPUTE_PGM_RSRC3_GFX90A:ACCUM_OFFSET: 0
; COMPUTE_PGM_RSRC3_GFX90A:TG_SPLIT: 0
	.section	.text._ZN7rocprim17ROCPRIM_400000_NS6detail17trampoline_kernelINS0_14default_configENS1_35adjacent_difference_config_selectorILb1EjEEZNS1_24adjacent_difference_implIS3_Lb1ELb0EPjN6thrust23THRUST_200600_302600_NS16discard_iteratorINS9_11use_defaultEEENS9_5minusIjEEEE10hipError_tPvRmT2_T3_mT4_P12ihipStream_tbEUlT_E_NS1_11comp_targetILNS1_3genE2ELNS1_11target_archE906ELNS1_3gpuE6ELNS1_3repE0EEENS1_30default_config_static_selectorELNS0_4arch9wavefront6targetE1EEEvT1_,"axG",@progbits,_ZN7rocprim17ROCPRIM_400000_NS6detail17trampoline_kernelINS0_14default_configENS1_35adjacent_difference_config_selectorILb1EjEEZNS1_24adjacent_difference_implIS3_Lb1ELb0EPjN6thrust23THRUST_200600_302600_NS16discard_iteratorINS9_11use_defaultEEENS9_5minusIjEEEE10hipError_tPvRmT2_T3_mT4_P12ihipStream_tbEUlT_E_NS1_11comp_targetILNS1_3genE2ELNS1_11target_archE906ELNS1_3gpuE6ELNS1_3repE0EEENS1_30default_config_static_selectorELNS0_4arch9wavefront6targetE1EEEvT1_,comdat
	.protected	_ZN7rocprim17ROCPRIM_400000_NS6detail17trampoline_kernelINS0_14default_configENS1_35adjacent_difference_config_selectorILb1EjEEZNS1_24adjacent_difference_implIS3_Lb1ELb0EPjN6thrust23THRUST_200600_302600_NS16discard_iteratorINS9_11use_defaultEEENS9_5minusIjEEEE10hipError_tPvRmT2_T3_mT4_P12ihipStream_tbEUlT_E_NS1_11comp_targetILNS1_3genE2ELNS1_11target_archE906ELNS1_3gpuE6ELNS1_3repE0EEENS1_30default_config_static_selectorELNS0_4arch9wavefront6targetE1EEEvT1_ ; -- Begin function _ZN7rocprim17ROCPRIM_400000_NS6detail17trampoline_kernelINS0_14default_configENS1_35adjacent_difference_config_selectorILb1EjEEZNS1_24adjacent_difference_implIS3_Lb1ELb0EPjN6thrust23THRUST_200600_302600_NS16discard_iteratorINS9_11use_defaultEEENS9_5minusIjEEEE10hipError_tPvRmT2_T3_mT4_P12ihipStream_tbEUlT_E_NS1_11comp_targetILNS1_3genE2ELNS1_11target_archE906ELNS1_3gpuE6ELNS1_3repE0EEENS1_30default_config_static_selectorELNS0_4arch9wavefront6targetE1EEEvT1_
	.globl	_ZN7rocprim17ROCPRIM_400000_NS6detail17trampoline_kernelINS0_14default_configENS1_35adjacent_difference_config_selectorILb1EjEEZNS1_24adjacent_difference_implIS3_Lb1ELb0EPjN6thrust23THRUST_200600_302600_NS16discard_iteratorINS9_11use_defaultEEENS9_5minusIjEEEE10hipError_tPvRmT2_T3_mT4_P12ihipStream_tbEUlT_E_NS1_11comp_targetILNS1_3genE2ELNS1_11target_archE906ELNS1_3gpuE6ELNS1_3repE0EEENS1_30default_config_static_selectorELNS0_4arch9wavefront6targetE1EEEvT1_
	.p2align	8
	.type	_ZN7rocprim17ROCPRIM_400000_NS6detail17trampoline_kernelINS0_14default_configENS1_35adjacent_difference_config_selectorILb1EjEEZNS1_24adjacent_difference_implIS3_Lb1ELb0EPjN6thrust23THRUST_200600_302600_NS16discard_iteratorINS9_11use_defaultEEENS9_5minusIjEEEE10hipError_tPvRmT2_T3_mT4_P12ihipStream_tbEUlT_E_NS1_11comp_targetILNS1_3genE2ELNS1_11target_archE906ELNS1_3gpuE6ELNS1_3repE0EEENS1_30default_config_static_selectorELNS0_4arch9wavefront6targetE1EEEvT1_,@function
_ZN7rocprim17ROCPRIM_400000_NS6detail17trampoline_kernelINS0_14default_configENS1_35adjacent_difference_config_selectorILb1EjEEZNS1_24adjacent_difference_implIS3_Lb1ELb0EPjN6thrust23THRUST_200600_302600_NS16discard_iteratorINS9_11use_defaultEEENS9_5minusIjEEEE10hipError_tPvRmT2_T3_mT4_P12ihipStream_tbEUlT_E_NS1_11comp_targetILNS1_3genE2ELNS1_11target_archE906ELNS1_3gpuE6ELNS1_3repE0EEENS1_30default_config_static_selectorELNS0_4arch9wavefront6targetE1EEEvT1_: ; @_ZN7rocprim17ROCPRIM_400000_NS6detail17trampoline_kernelINS0_14default_configENS1_35adjacent_difference_config_selectorILb1EjEEZNS1_24adjacent_difference_implIS3_Lb1ELb0EPjN6thrust23THRUST_200600_302600_NS16discard_iteratorINS9_11use_defaultEEENS9_5minusIjEEEE10hipError_tPvRmT2_T3_mT4_P12ihipStream_tbEUlT_E_NS1_11comp_targetILNS1_3genE2ELNS1_11target_archE906ELNS1_3gpuE6ELNS1_3repE0EEENS1_30default_config_static_selectorELNS0_4arch9wavefront6targetE1EEEvT1_
; %bb.0:
	.section	.rodata,"a",@progbits
	.p2align	6, 0x0
	.amdhsa_kernel _ZN7rocprim17ROCPRIM_400000_NS6detail17trampoline_kernelINS0_14default_configENS1_35adjacent_difference_config_selectorILb1EjEEZNS1_24adjacent_difference_implIS3_Lb1ELb0EPjN6thrust23THRUST_200600_302600_NS16discard_iteratorINS9_11use_defaultEEENS9_5minusIjEEEE10hipError_tPvRmT2_T3_mT4_P12ihipStream_tbEUlT_E_NS1_11comp_targetILNS1_3genE2ELNS1_11target_archE906ELNS1_3gpuE6ELNS1_3repE0EEENS1_30default_config_static_selectorELNS0_4arch9wavefront6targetE1EEEvT1_
		.amdhsa_group_segment_fixed_size 0
		.amdhsa_private_segment_fixed_size 0
		.amdhsa_kernarg_size 64
		.amdhsa_user_sgpr_count 6
		.amdhsa_user_sgpr_private_segment_buffer 1
		.amdhsa_user_sgpr_dispatch_ptr 0
		.amdhsa_user_sgpr_queue_ptr 0
		.amdhsa_user_sgpr_kernarg_segment_ptr 1
		.amdhsa_user_sgpr_dispatch_id 0
		.amdhsa_user_sgpr_flat_scratch_init 0
		.amdhsa_user_sgpr_kernarg_preload_length 0
		.amdhsa_user_sgpr_kernarg_preload_offset 0
		.amdhsa_user_sgpr_private_segment_size 0
		.amdhsa_uses_dynamic_stack 0
		.amdhsa_system_sgpr_private_segment_wavefront_offset 0
		.amdhsa_system_sgpr_workgroup_id_x 1
		.amdhsa_system_sgpr_workgroup_id_y 0
		.amdhsa_system_sgpr_workgroup_id_z 0
		.amdhsa_system_sgpr_workgroup_info 0
		.amdhsa_system_vgpr_workitem_id 0
		.amdhsa_next_free_vgpr 1
		.amdhsa_next_free_sgpr 0
		.amdhsa_accum_offset 4
		.amdhsa_reserve_vcc 0
		.amdhsa_reserve_flat_scratch 0
		.amdhsa_float_round_mode_32 0
		.amdhsa_float_round_mode_16_64 0
		.amdhsa_float_denorm_mode_32 3
		.amdhsa_float_denorm_mode_16_64 3
		.amdhsa_dx10_clamp 1
		.amdhsa_ieee_mode 1
		.amdhsa_fp16_overflow 0
		.amdhsa_tg_split 0
		.amdhsa_exception_fp_ieee_invalid_op 0
		.amdhsa_exception_fp_denorm_src 0
		.amdhsa_exception_fp_ieee_div_zero 0
		.amdhsa_exception_fp_ieee_overflow 0
		.amdhsa_exception_fp_ieee_underflow 0
		.amdhsa_exception_fp_ieee_inexact 0
		.amdhsa_exception_int_div_zero 0
	.end_amdhsa_kernel
	.section	.text._ZN7rocprim17ROCPRIM_400000_NS6detail17trampoline_kernelINS0_14default_configENS1_35adjacent_difference_config_selectorILb1EjEEZNS1_24adjacent_difference_implIS3_Lb1ELb0EPjN6thrust23THRUST_200600_302600_NS16discard_iteratorINS9_11use_defaultEEENS9_5minusIjEEEE10hipError_tPvRmT2_T3_mT4_P12ihipStream_tbEUlT_E_NS1_11comp_targetILNS1_3genE2ELNS1_11target_archE906ELNS1_3gpuE6ELNS1_3repE0EEENS1_30default_config_static_selectorELNS0_4arch9wavefront6targetE1EEEvT1_,"axG",@progbits,_ZN7rocprim17ROCPRIM_400000_NS6detail17trampoline_kernelINS0_14default_configENS1_35adjacent_difference_config_selectorILb1EjEEZNS1_24adjacent_difference_implIS3_Lb1ELb0EPjN6thrust23THRUST_200600_302600_NS16discard_iteratorINS9_11use_defaultEEENS9_5minusIjEEEE10hipError_tPvRmT2_T3_mT4_P12ihipStream_tbEUlT_E_NS1_11comp_targetILNS1_3genE2ELNS1_11target_archE906ELNS1_3gpuE6ELNS1_3repE0EEENS1_30default_config_static_selectorELNS0_4arch9wavefront6targetE1EEEvT1_,comdat
.Lfunc_end765:
	.size	_ZN7rocprim17ROCPRIM_400000_NS6detail17trampoline_kernelINS0_14default_configENS1_35adjacent_difference_config_selectorILb1EjEEZNS1_24adjacent_difference_implIS3_Lb1ELb0EPjN6thrust23THRUST_200600_302600_NS16discard_iteratorINS9_11use_defaultEEENS9_5minusIjEEEE10hipError_tPvRmT2_T3_mT4_P12ihipStream_tbEUlT_E_NS1_11comp_targetILNS1_3genE2ELNS1_11target_archE906ELNS1_3gpuE6ELNS1_3repE0EEENS1_30default_config_static_selectorELNS0_4arch9wavefront6targetE1EEEvT1_, .Lfunc_end765-_ZN7rocprim17ROCPRIM_400000_NS6detail17trampoline_kernelINS0_14default_configENS1_35adjacent_difference_config_selectorILb1EjEEZNS1_24adjacent_difference_implIS3_Lb1ELb0EPjN6thrust23THRUST_200600_302600_NS16discard_iteratorINS9_11use_defaultEEENS9_5minusIjEEEE10hipError_tPvRmT2_T3_mT4_P12ihipStream_tbEUlT_E_NS1_11comp_targetILNS1_3genE2ELNS1_11target_archE906ELNS1_3gpuE6ELNS1_3repE0EEENS1_30default_config_static_selectorELNS0_4arch9wavefront6targetE1EEEvT1_
                                        ; -- End function
	.section	.AMDGPU.csdata,"",@progbits
; Kernel info:
; codeLenInByte = 0
; NumSgprs: 4
; NumVgprs: 0
; NumAgprs: 0
; TotalNumVgprs: 0
; ScratchSize: 0
; MemoryBound: 0
; FloatMode: 240
; IeeeMode: 1
; LDSByteSize: 0 bytes/workgroup (compile time only)
; SGPRBlocks: 0
; VGPRBlocks: 0
; NumSGPRsForWavesPerEU: 4
; NumVGPRsForWavesPerEU: 1
; AccumOffset: 4
; Occupancy: 8
; WaveLimiterHint : 0
; COMPUTE_PGM_RSRC2:SCRATCH_EN: 0
; COMPUTE_PGM_RSRC2:USER_SGPR: 6
; COMPUTE_PGM_RSRC2:TRAP_HANDLER: 0
; COMPUTE_PGM_RSRC2:TGID_X_EN: 1
; COMPUTE_PGM_RSRC2:TGID_Y_EN: 0
; COMPUTE_PGM_RSRC2:TGID_Z_EN: 0
; COMPUTE_PGM_RSRC2:TIDIG_COMP_CNT: 0
; COMPUTE_PGM_RSRC3_GFX90A:ACCUM_OFFSET: 0
; COMPUTE_PGM_RSRC3_GFX90A:TG_SPLIT: 0
	.section	.text._ZN7rocprim17ROCPRIM_400000_NS6detail17trampoline_kernelINS0_14default_configENS1_35adjacent_difference_config_selectorILb1EjEEZNS1_24adjacent_difference_implIS3_Lb1ELb0EPjN6thrust23THRUST_200600_302600_NS16discard_iteratorINS9_11use_defaultEEENS9_5minusIjEEEE10hipError_tPvRmT2_T3_mT4_P12ihipStream_tbEUlT_E_NS1_11comp_targetILNS1_3genE9ELNS1_11target_archE1100ELNS1_3gpuE3ELNS1_3repE0EEENS1_30default_config_static_selectorELNS0_4arch9wavefront6targetE1EEEvT1_,"axG",@progbits,_ZN7rocprim17ROCPRIM_400000_NS6detail17trampoline_kernelINS0_14default_configENS1_35adjacent_difference_config_selectorILb1EjEEZNS1_24adjacent_difference_implIS3_Lb1ELb0EPjN6thrust23THRUST_200600_302600_NS16discard_iteratorINS9_11use_defaultEEENS9_5minusIjEEEE10hipError_tPvRmT2_T3_mT4_P12ihipStream_tbEUlT_E_NS1_11comp_targetILNS1_3genE9ELNS1_11target_archE1100ELNS1_3gpuE3ELNS1_3repE0EEENS1_30default_config_static_selectorELNS0_4arch9wavefront6targetE1EEEvT1_,comdat
	.protected	_ZN7rocprim17ROCPRIM_400000_NS6detail17trampoline_kernelINS0_14default_configENS1_35adjacent_difference_config_selectorILb1EjEEZNS1_24adjacent_difference_implIS3_Lb1ELb0EPjN6thrust23THRUST_200600_302600_NS16discard_iteratorINS9_11use_defaultEEENS9_5minusIjEEEE10hipError_tPvRmT2_T3_mT4_P12ihipStream_tbEUlT_E_NS1_11comp_targetILNS1_3genE9ELNS1_11target_archE1100ELNS1_3gpuE3ELNS1_3repE0EEENS1_30default_config_static_selectorELNS0_4arch9wavefront6targetE1EEEvT1_ ; -- Begin function _ZN7rocprim17ROCPRIM_400000_NS6detail17trampoline_kernelINS0_14default_configENS1_35adjacent_difference_config_selectorILb1EjEEZNS1_24adjacent_difference_implIS3_Lb1ELb0EPjN6thrust23THRUST_200600_302600_NS16discard_iteratorINS9_11use_defaultEEENS9_5minusIjEEEE10hipError_tPvRmT2_T3_mT4_P12ihipStream_tbEUlT_E_NS1_11comp_targetILNS1_3genE9ELNS1_11target_archE1100ELNS1_3gpuE3ELNS1_3repE0EEENS1_30default_config_static_selectorELNS0_4arch9wavefront6targetE1EEEvT1_
	.globl	_ZN7rocprim17ROCPRIM_400000_NS6detail17trampoline_kernelINS0_14default_configENS1_35adjacent_difference_config_selectorILb1EjEEZNS1_24adjacent_difference_implIS3_Lb1ELb0EPjN6thrust23THRUST_200600_302600_NS16discard_iteratorINS9_11use_defaultEEENS9_5minusIjEEEE10hipError_tPvRmT2_T3_mT4_P12ihipStream_tbEUlT_E_NS1_11comp_targetILNS1_3genE9ELNS1_11target_archE1100ELNS1_3gpuE3ELNS1_3repE0EEENS1_30default_config_static_selectorELNS0_4arch9wavefront6targetE1EEEvT1_
	.p2align	8
	.type	_ZN7rocprim17ROCPRIM_400000_NS6detail17trampoline_kernelINS0_14default_configENS1_35adjacent_difference_config_selectorILb1EjEEZNS1_24adjacent_difference_implIS3_Lb1ELb0EPjN6thrust23THRUST_200600_302600_NS16discard_iteratorINS9_11use_defaultEEENS9_5minusIjEEEE10hipError_tPvRmT2_T3_mT4_P12ihipStream_tbEUlT_E_NS1_11comp_targetILNS1_3genE9ELNS1_11target_archE1100ELNS1_3gpuE3ELNS1_3repE0EEENS1_30default_config_static_selectorELNS0_4arch9wavefront6targetE1EEEvT1_,@function
_ZN7rocprim17ROCPRIM_400000_NS6detail17trampoline_kernelINS0_14default_configENS1_35adjacent_difference_config_selectorILb1EjEEZNS1_24adjacent_difference_implIS3_Lb1ELb0EPjN6thrust23THRUST_200600_302600_NS16discard_iteratorINS9_11use_defaultEEENS9_5minusIjEEEE10hipError_tPvRmT2_T3_mT4_P12ihipStream_tbEUlT_E_NS1_11comp_targetILNS1_3genE9ELNS1_11target_archE1100ELNS1_3gpuE3ELNS1_3repE0EEENS1_30default_config_static_selectorELNS0_4arch9wavefront6targetE1EEEvT1_: ; @_ZN7rocprim17ROCPRIM_400000_NS6detail17trampoline_kernelINS0_14default_configENS1_35adjacent_difference_config_selectorILb1EjEEZNS1_24adjacent_difference_implIS3_Lb1ELb0EPjN6thrust23THRUST_200600_302600_NS16discard_iteratorINS9_11use_defaultEEENS9_5minusIjEEEE10hipError_tPvRmT2_T3_mT4_P12ihipStream_tbEUlT_E_NS1_11comp_targetILNS1_3genE9ELNS1_11target_archE1100ELNS1_3gpuE3ELNS1_3repE0EEENS1_30default_config_static_selectorELNS0_4arch9wavefront6targetE1EEEvT1_
; %bb.0:
	.section	.rodata,"a",@progbits
	.p2align	6, 0x0
	.amdhsa_kernel _ZN7rocprim17ROCPRIM_400000_NS6detail17trampoline_kernelINS0_14default_configENS1_35adjacent_difference_config_selectorILb1EjEEZNS1_24adjacent_difference_implIS3_Lb1ELb0EPjN6thrust23THRUST_200600_302600_NS16discard_iteratorINS9_11use_defaultEEENS9_5minusIjEEEE10hipError_tPvRmT2_T3_mT4_P12ihipStream_tbEUlT_E_NS1_11comp_targetILNS1_3genE9ELNS1_11target_archE1100ELNS1_3gpuE3ELNS1_3repE0EEENS1_30default_config_static_selectorELNS0_4arch9wavefront6targetE1EEEvT1_
		.amdhsa_group_segment_fixed_size 0
		.amdhsa_private_segment_fixed_size 0
		.amdhsa_kernarg_size 64
		.amdhsa_user_sgpr_count 6
		.amdhsa_user_sgpr_private_segment_buffer 1
		.amdhsa_user_sgpr_dispatch_ptr 0
		.amdhsa_user_sgpr_queue_ptr 0
		.amdhsa_user_sgpr_kernarg_segment_ptr 1
		.amdhsa_user_sgpr_dispatch_id 0
		.amdhsa_user_sgpr_flat_scratch_init 0
		.amdhsa_user_sgpr_kernarg_preload_length 0
		.amdhsa_user_sgpr_kernarg_preload_offset 0
		.amdhsa_user_sgpr_private_segment_size 0
		.amdhsa_uses_dynamic_stack 0
		.amdhsa_system_sgpr_private_segment_wavefront_offset 0
		.amdhsa_system_sgpr_workgroup_id_x 1
		.amdhsa_system_sgpr_workgroup_id_y 0
		.amdhsa_system_sgpr_workgroup_id_z 0
		.amdhsa_system_sgpr_workgroup_info 0
		.amdhsa_system_vgpr_workitem_id 0
		.amdhsa_next_free_vgpr 1
		.amdhsa_next_free_sgpr 0
		.amdhsa_accum_offset 4
		.amdhsa_reserve_vcc 0
		.amdhsa_reserve_flat_scratch 0
		.amdhsa_float_round_mode_32 0
		.amdhsa_float_round_mode_16_64 0
		.amdhsa_float_denorm_mode_32 3
		.amdhsa_float_denorm_mode_16_64 3
		.amdhsa_dx10_clamp 1
		.amdhsa_ieee_mode 1
		.amdhsa_fp16_overflow 0
		.amdhsa_tg_split 0
		.amdhsa_exception_fp_ieee_invalid_op 0
		.amdhsa_exception_fp_denorm_src 0
		.amdhsa_exception_fp_ieee_div_zero 0
		.amdhsa_exception_fp_ieee_overflow 0
		.amdhsa_exception_fp_ieee_underflow 0
		.amdhsa_exception_fp_ieee_inexact 0
		.amdhsa_exception_int_div_zero 0
	.end_amdhsa_kernel
	.section	.text._ZN7rocprim17ROCPRIM_400000_NS6detail17trampoline_kernelINS0_14default_configENS1_35adjacent_difference_config_selectorILb1EjEEZNS1_24adjacent_difference_implIS3_Lb1ELb0EPjN6thrust23THRUST_200600_302600_NS16discard_iteratorINS9_11use_defaultEEENS9_5minusIjEEEE10hipError_tPvRmT2_T3_mT4_P12ihipStream_tbEUlT_E_NS1_11comp_targetILNS1_3genE9ELNS1_11target_archE1100ELNS1_3gpuE3ELNS1_3repE0EEENS1_30default_config_static_selectorELNS0_4arch9wavefront6targetE1EEEvT1_,"axG",@progbits,_ZN7rocprim17ROCPRIM_400000_NS6detail17trampoline_kernelINS0_14default_configENS1_35adjacent_difference_config_selectorILb1EjEEZNS1_24adjacent_difference_implIS3_Lb1ELb0EPjN6thrust23THRUST_200600_302600_NS16discard_iteratorINS9_11use_defaultEEENS9_5minusIjEEEE10hipError_tPvRmT2_T3_mT4_P12ihipStream_tbEUlT_E_NS1_11comp_targetILNS1_3genE9ELNS1_11target_archE1100ELNS1_3gpuE3ELNS1_3repE0EEENS1_30default_config_static_selectorELNS0_4arch9wavefront6targetE1EEEvT1_,comdat
.Lfunc_end766:
	.size	_ZN7rocprim17ROCPRIM_400000_NS6detail17trampoline_kernelINS0_14default_configENS1_35adjacent_difference_config_selectorILb1EjEEZNS1_24adjacent_difference_implIS3_Lb1ELb0EPjN6thrust23THRUST_200600_302600_NS16discard_iteratorINS9_11use_defaultEEENS9_5minusIjEEEE10hipError_tPvRmT2_T3_mT4_P12ihipStream_tbEUlT_E_NS1_11comp_targetILNS1_3genE9ELNS1_11target_archE1100ELNS1_3gpuE3ELNS1_3repE0EEENS1_30default_config_static_selectorELNS0_4arch9wavefront6targetE1EEEvT1_, .Lfunc_end766-_ZN7rocprim17ROCPRIM_400000_NS6detail17trampoline_kernelINS0_14default_configENS1_35adjacent_difference_config_selectorILb1EjEEZNS1_24adjacent_difference_implIS3_Lb1ELb0EPjN6thrust23THRUST_200600_302600_NS16discard_iteratorINS9_11use_defaultEEENS9_5minusIjEEEE10hipError_tPvRmT2_T3_mT4_P12ihipStream_tbEUlT_E_NS1_11comp_targetILNS1_3genE9ELNS1_11target_archE1100ELNS1_3gpuE3ELNS1_3repE0EEENS1_30default_config_static_selectorELNS0_4arch9wavefront6targetE1EEEvT1_
                                        ; -- End function
	.section	.AMDGPU.csdata,"",@progbits
; Kernel info:
; codeLenInByte = 0
; NumSgprs: 4
; NumVgprs: 0
; NumAgprs: 0
; TotalNumVgprs: 0
; ScratchSize: 0
; MemoryBound: 0
; FloatMode: 240
; IeeeMode: 1
; LDSByteSize: 0 bytes/workgroup (compile time only)
; SGPRBlocks: 0
; VGPRBlocks: 0
; NumSGPRsForWavesPerEU: 4
; NumVGPRsForWavesPerEU: 1
; AccumOffset: 4
; Occupancy: 8
; WaveLimiterHint : 0
; COMPUTE_PGM_RSRC2:SCRATCH_EN: 0
; COMPUTE_PGM_RSRC2:USER_SGPR: 6
; COMPUTE_PGM_RSRC2:TRAP_HANDLER: 0
; COMPUTE_PGM_RSRC2:TGID_X_EN: 1
; COMPUTE_PGM_RSRC2:TGID_Y_EN: 0
; COMPUTE_PGM_RSRC2:TGID_Z_EN: 0
; COMPUTE_PGM_RSRC2:TIDIG_COMP_CNT: 0
; COMPUTE_PGM_RSRC3_GFX90A:ACCUM_OFFSET: 0
; COMPUTE_PGM_RSRC3_GFX90A:TG_SPLIT: 0
	.section	.text._ZN7rocprim17ROCPRIM_400000_NS6detail17trampoline_kernelINS0_14default_configENS1_35adjacent_difference_config_selectorILb1EjEEZNS1_24adjacent_difference_implIS3_Lb1ELb0EPjN6thrust23THRUST_200600_302600_NS16discard_iteratorINS9_11use_defaultEEENS9_5minusIjEEEE10hipError_tPvRmT2_T3_mT4_P12ihipStream_tbEUlT_E_NS1_11comp_targetILNS1_3genE8ELNS1_11target_archE1030ELNS1_3gpuE2ELNS1_3repE0EEENS1_30default_config_static_selectorELNS0_4arch9wavefront6targetE1EEEvT1_,"axG",@progbits,_ZN7rocprim17ROCPRIM_400000_NS6detail17trampoline_kernelINS0_14default_configENS1_35adjacent_difference_config_selectorILb1EjEEZNS1_24adjacent_difference_implIS3_Lb1ELb0EPjN6thrust23THRUST_200600_302600_NS16discard_iteratorINS9_11use_defaultEEENS9_5minusIjEEEE10hipError_tPvRmT2_T3_mT4_P12ihipStream_tbEUlT_E_NS1_11comp_targetILNS1_3genE8ELNS1_11target_archE1030ELNS1_3gpuE2ELNS1_3repE0EEENS1_30default_config_static_selectorELNS0_4arch9wavefront6targetE1EEEvT1_,comdat
	.protected	_ZN7rocprim17ROCPRIM_400000_NS6detail17trampoline_kernelINS0_14default_configENS1_35adjacent_difference_config_selectorILb1EjEEZNS1_24adjacent_difference_implIS3_Lb1ELb0EPjN6thrust23THRUST_200600_302600_NS16discard_iteratorINS9_11use_defaultEEENS9_5minusIjEEEE10hipError_tPvRmT2_T3_mT4_P12ihipStream_tbEUlT_E_NS1_11comp_targetILNS1_3genE8ELNS1_11target_archE1030ELNS1_3gpuE2ELNS1_3repE0EEENS1_30default_config_static_selectorELNS0_4arch9wavefront6targetE1EEEvT1_ ; -- Begin function _ZN7rocprim17ROCPRIM_400000_NS6detail17trampoline_kernelINS0_14default_configENS1_35adjacent_difference_config_selectorILb1EjEEZNS1_24adjacent_difference_implIS3_Lb1ELb0EPjN6thrust23THRUST_200600_302600_NS16discard_iteratorINS9_11use_defaultEEENS9_5minusIjEEEE10hipError_tPvRmT2_T3_mT4_P12ihipStream_tbEUlT_E_NS1_11comp_targetILNS1_3genE8ELNS1_11target_archE1030ELNS1_3gpuE2ELNS1_3repE0EEENS1_30default_config_static_selectorELNS0_4arch9wavefront6targetE1EEEvT1_
	.globl	_ZN7rocprim17ROCPRIM_400000_NS6detail17trampoline_kernelINS0_14default_configENS1_35adjacent_difference_config_selectorILb1EjEEZNS1_24adjacent_difference_implIS3_Lb1ELb0EPjN6thrust23THRUST_200600_302600_NS16discard_iteratorINS9_11use_defaultEEENS9_5minusIjEEEE10hipError_tPvRmT2_T3_mT4_P12ihipStream_tbEUlT_E_NS1_11comp_targetILNS1_3genE8ELNS1_11target_archE1030ELNS1_3gpuE2ELNS1_3repE0EEENS1_30default_config_static_selectorELNS0_4arch9wavefront6targetE1EEEvT1_
	.p2align	8
	.type	_ZN7rocprim17ROCPRIM_400000_NS6detail17trampoline_kernelINS0_14default_configENS1_35adjacent_difference_config_selectorILb1EjEEZNS1_24adjacent_difference_implIS3_Lb1ELb0EPjN6thrust23THRUST_200600_302600_NS16discard_iteratorINS9_11use_defaultEEENS9_5minusIjEEEE10hipError_tPvRmT2_T3_mT4_P12ihipStream_tbEUlT_E_NS1_11comp_targetILNS1_3genE8ELNS1_11target_archE1030ELNS1_3gpuE2ELNS1_3repE0EEENS1_30default_config_static_selectorELNS0_4arch9wavefront6targetE1EEEvT1_,@function
_ZN7rocprim17ROCPRIM_400000_NS6detail17trampoline_kernelINS0_14default_configENS1_35adjacent_difference_config_selectorILb1EjEEZNS1_24adjacent_difference_implIS3_Lb1ELb0EPjN6thrust23THRUST_200600_302600_NS16discard_iteratorINS9_11use_defaultEEENS9_5minusIjEEEE10hipError_tPvRmT2_T3_mT4_P12ihipStream_tbEUlT_E_NS1_11comp_targetILNS1_3genE8ELNS1_11target_archE1030ELNS1_3gpuE2ELNS1_3repE0EEENS1_30default_config_static_selectorELNS0_4arch9wavefront6targetE1EEEvT1_: ; @_ZN7rocprim17ROCPRIM_400000_NS6detail17trampoline_kernelINS0_14default_configENS1_35adjacent_difference_config_selectorILb1EjEEZNS1_24adjacent_difference_implIS3_Lb1ELb0EPjN6thrust23THRUST_200600_302600_NS16discard_iteratorINS9_11use_defaultEEENS9_5minusIjEEEE10hipError_tPvRmT2_T3_mT4_P12ihipStream_tbEUlT_E_NS1_11comp_targetILNS1_3genE8ELNS1_11target_archE1030ELNS1_3gpuE2ELNS1_3repE0EEENS1_30default_config_static_selectorELNS0_4arch9wavefront6targetE1EEEvT1_
; %bb.0:
	.section	.rodata,"a",@progbits
	.p2align	6, 0x0
	.amdhsa_kernel _ZN7rocprim17ROCPRIM_400000_NS6detail17trampoline_kernelINS0_14default_configENS1_35adjacent_difference_config_selectorILb1EjEEZNS1_24adjacent_difference_implIS3_Lb1ELb0EPjN6thrust23THRUST_200600_302600_NS16discard_iteratorINS9_11use_defaultEEENS9_5minusIjEEEE10hipError_tPvRmT2_T3_mT4_P12ihipStream_tbEUlT_E_NS1_11comp_targetILNS1_3genE8ELNS1_11target_archE1030ELNS1_3gpuE2ELNS1_3repE0EEENS1_30default_config_static_selectorELNS0_4arch9wavefront6targetE1EEEvT1_
		.amdhsa_group_segment_fixed_size 0
		.amdhsa_private_segment_fixed_size 0
		.amdhsa_kernarg_size 64
		.amdhsa_user_sgpr_count 6
		.amdhsa_user_sgpr_private_segment_buffer 1
		.amdhsa_user_sgpr_dispatch_ptr 0
		.amdhsa_user_sgpr_queue_ptr 0
		.amdhsa_user_sgpr_kernarg_segment_ptr 1
		.amdhsa_user_sgpr_dispatch_id 0
		.amdhsa_user_sgpr_flat_scratch_init 0
		.amdhsa_user_sgpr_kernarg_preload_length 0
		.amdhsa_user_sgpr_kernarg_preload_offset 0
		.amdhsa_user_sgpr_private_segment_size 0
		.amdhsa_uses_dynamic_stack 0
		.amdhsa_system_sgpr_private_segment_wavefront_offset 0
		.amdhsa_system_sgpr_workgroup_id_x 1
		.amdhsa_system_sgpr_workgroup_id_y 0
		.amdhsa_system_sgpr_workgroup_id_z 0
		.amdhsa_system_sgpr_workgroup_info 0
		.amdhsa_system_vgpr_workitem_id 0
		.amdhsa_next_free_vgpr 1
		.amdhsa_next_free_sgpr 0
		.amdhsa_accum_offset 4
		.amdhsa_reserve_vcc 0
		.amdhsa_reserve_flat_scratch 0
		.amdhsa_float_round_mode_32 0
		.amdhsa_float_round_mode_16_64 0
		.amdhsa_float_denorm_mode_32 3
		.amdhsa_float_denorm_mode_16_64 3
		.amdhsa_dx10_clamp 1
		.amdhsa_ieee_mode 1
		.amdhsa_fp16_overflow 0
		.amdhsa_tg_split 0
		.amdhsa_exception_fp_ieee_invalid_op 0
		.amdhsa_exception_fp_denorm_src 0
		.amdhsa_exception_fp_ieee_div_zero 0
		.amdhsa_exception_fp_ieee_overflow 0
		.amdhsa_exception_fp_ieee_underflow 0
		.amdhsa_exception_fp_ieee_inexact 0
		.amdhsa_exception_int_div_zero 0
	.end_amdhsa_kernel
	.section	.text._ZN7rocprim17ROCPRIM_400000_NS6detail17trampoline_kernelINS0_14default_configENS1_35adjacent_difference_config_selectorILb1EjEEZNS1_24adjacent_difference_implIS3_Lb1ELb0EPjN6thrust23THRUST_200600_302600_NS16discard_iteratorINS9_11use_defaultEEENS9_5minusIjEEEE10hipError_tPvRmT2_T3_mT4_P12ihipStream_tbEUlT_E_NS1_11comp_targetILNS1_3genE8ELNS1_11target_archE1030ELNS1_3gpuE2ELNS1_3repE0EEENS1_30default_config_static_selectorELNS0_4arch9wavefront6targetE1EEEvT1_,"axG",@progbits,_ZN7rocprim17ROCPRIM_400000_NS6detail17trampoline_kernelINS0_14default_configENS1_35adjacent_difference_config_selectorILb1EjEEZNS1_24adjacent_difference_implIS3_Lb1ELb0EPjN6thrust23THRUST_200600_302600_NS16discard_iteratorINS9_11use_defaultEEENS9_5minusIjEEEE10hipError_tPvRmT2_T3_mT4_P12ihipStream_tbEUlT_E_NS1_11comp_targetILNS1_3genE8ELNS1_11target_archE1030ELNS1_3gpuE2ELNS1_3repE0EEENS1_30default_config_static_selectorELNS0_4arch9wavefront6targetE1EEEvT1_,comdat
.Lfunc_end767:
	.size	_ZN7rocprim17ROCPRIM_400000_NS6detail17trampoline_kernelINS0_14default_configENS1_35adjacent_difference_config_selectorILb1EjEEZNS1_24adjacent_difference_implIS3_Lb1ELb0EPjN6thrust23THRUST_200600_302600_NS16discard_iteratorINS9_11use_defaultEEENS9_5minusIjEEEE10hipError_tPvRmT2_T3_mT4_P12ihipStream_tbEUlT_E_NS1_11comp_targetILNS1_3genE8ELNS1_11target_archE1030ELNS1_3gpuE2ELNS1_3repE0EEENS1_30default_config_static_selectorELNS0_4arch9wavefront6targetE1EEEvT1_, .Lfunc_end767-_ZN7rocprim17ROCPRIM_400000_NS6detail17trampoline_kernelINS0_14default_configENS1_35adjacent_difference_config_selectorILb1EjEEZNS1_24adjacent_difference_implIS3_Lb1ELb0EPjN6thrust23THRUST_200600_302600_NS16discard_iteratorINS9_11use_defaultEEENS9_5minusIjEEEE10hipError_tPvRmT2_T3_mT4_P12ihipStream_tbEUlT_E_NS1_11comp_targetILNS1_3genE8ELNS1_11target_archE1030ELNS1_3gpuE2ELNS1_3repE0EEENS1_30default_config_static_selectorELNS0_4arch9wavefront6targetE1EEEvT1_
                                        ; -- End function
	.section	.AMDGPU.csdata,"",@progbits
; Kernel info:
; codeLenInByte = 0
; NumSgprs: 4
; NumVgprs: 0
; NumAgprs: 0
; TotalNumVgprs: 0
; ScratchSize: 0
; MemoryBound: 0
; FloatMode: 240
; IeeeMode: 1
; LDSByteSize: 0 bytes/workgroup (compile time only)
; SGPRBlocks: 0
; VGPRBlocks: 0
; NumSGPRsForWavesPerEU: 4
; NumVGPRsForWavesPerEU: 1
; AccumOffset: 4
; Occupancy: 8
; WaveLimiterHint : 0
; COMPUTE_PGM_RSRC2:SCRATCH_EN: 0
; COMPUTE_PGM_RSRC2:USER_SGPR: 6
; COMPUTE_PGM_RSRC2:TRAP_HANDLER: 0
; COMPUTE_PGM_RSRC2:TGID_X_EN: 1
; COMPUTE_PGM_RSRC2:TGID_Y_EN: 0
; COMPUTE_PGM_RSRC2:TGID_Z_EN: 0
; COMPUTE_PGM_RSRC2:TIDIG_COMP_CNT: 0
; COMPUTE_PGM_RSRC3_GFX90A:ACCUM_OFFSET: 0
; COMPUTE_PGM_RSRC3_GFX90A:TG_SPLIT: 0
	.section	.text._ZN7rocprim17ROCPRIM_400000_NS6detail17trampoline_kernelINS0_14default_configENS1_25transform_config_selectorIfLb0EEEZNS1_14transform_implILb0ES3_S5_NS0_18transform_iteratorINS0_17counting_iteratorImlEEZNS1_24adjacent_difference_implIS3_Lb1ELb0EPfN6thrust23THRUST_200600_302600_NS16discard_iteratorINSD_11use_defaultEEENSD_5minusIfEEEE10hipError_tPvRmT2_T3_mT4_P12ihipStream_tbEUlmE_fEESB_NS0_8identityIvEEEESJ_SM_SN_mSO_SQ_bEUlT_E_NS1_11comp_targetILNS1_3genE0ELNS1_11target_archE4294967295ELNS1_3gpuE0ELNS1_3repE0EEENS1_30default_config_static_selectorELNS0_4arch9wavefront6targetE1EEEvT1_,"axG",@progbits,_ZN7rocprim17ROCPRIM_400000_NS6detail17trampoline_kernelINS0_14default_configENS1_25transform_config_selectorIfLb0EEEZNS1_14transform_implILb0ES3_S5_NS0_18transform_iteratorINS0_17counting_iteratorImlEEZNS1_24adjacent_difference_implIS3_Lb1ELb0EPfN6thrust23THRUST_200600_302600_NS16discard_iteratorINSD_11use_defaultEEENSD_5minusIfEEEE10hipError_tPvRmT2_T3_mT4_P12ihipStream_tbEUlmE_fEESB_NS0_8identityIvEEEESJ_SM_SN_mSO_SQ_bEUlT_E_NS1_11comp_targetILNS1_3genE0ELNS1_11target_archE4294967295ELNS1_3gpuE0ELNS1_3repE0EEENS1_30default_config_static_selectorELNS0_4arch9wavefront6targetE1EEEvT1_,comdat
	.protected	_ZN7rocprim17ROCPRIM_400000_NS6detail17trampoline_kernelINS0_14default_configENS1_25transform_config_selectorIfLb0EEEZNS1_14transform_implILb0ES3_S5_NS0_18transform_iteratorINS0_17counting_iteratorImlEEZNS1_24adjacent_difference_implIS3_Lb1ELb0EPfN6thrust23THRUST_200600_302600_NS16discard_iteratorINSD_11use_defaultEEENSD_5minusIfEEEE10hipError_tPvRmT2_T3_mT4_P12ihipStream_tbEUlmE_fEESB_NS0_8identityIvEEEESJ_SM_SN_mSO_SQ_bEUlT_E_NS1_11comp_targetILNS1_3genE0ELNS1_11target_archE4294967295ELNS1_3gpuE0ELNS1_3repE0EEENS1_30default_config_static_selectorELNS0_4arch9wavefront6targetE1EEEvT1_ ; -- Begin function _ZN7rocprim17ROCPRIM_400000_NS6detail17trampoline_kernelINS0_14default_configENS1_25transform_config_selectorIfLb0EEEZNS1_14transform_implILb0ES3_S5_NS0_18transform_iteratorINS0_17counting_iteratorImlEEZNS1_24adjacent_difference_implIS3_Lb1ELb0EPfN6thrust23THRUST_200600_302600_NS16discard_iteratorINSD_11use_defaultEEENSD_5minusIfEEEE10hipError_tPvRmT2_T3_mT4_P12ihipStream_tbEUlmE_fEESB_NS0_8identityIvEEEESJ_SM_SN_mSO_SQ_bEUlT_E_NS1_11comp_targetILNS1_3genE0ELNS1_11target_archE4294967295ELNS1_3gpuE0ELNS1_3repE0EEENS1_30default_config_static_selectorELNS0_4arch9wavefront6targetE1EEEvT1_
	.globl	_ZN7rocprim17ROCPRIM_400000_NS6detail17trampoline_kernelINS0_14default_configENS1_25transform_config_selectorIfLb0EEEZNS1_14transform_implILb0ES3_S5_NS0_18transform_iteratorINS0_17counting_iteratorImlEEZNS1_24adjacent_difference_implIS3_Lb1ELb0EPfN6thrust23THRUST_200600_302600_NS16discard_iteratorINSD_11use_defaultEEENSD_5minusIfEEEE10hipError_tPvRmT2_T3_mT4_P12ihipStream_tbEUlmE_fEESB_NS0_8identityIvEEEESJ_SM_SN_mSO_SQ_bEUlT_E_NS1_11comp_targetILNS1_3genE0ELNS1_11target_archE4294967295ELNS1_3gpuE0ELNS1_3repE0EEENS1_30default_config_static_selectorELNS0_4arch9wavefront6targetE1EEEvT1_
	.p2align	8
	.type	_ZN7rocprim17ROCPRIM_400000_NS6detail17trampoline_kernelINS0_14default_configENS1_25transform_config_selectorIfLb0EEEZNS1_14transform_implILb0ES3_S5_NS0_18transform_iteratorINS0_17counting_iteratorImlEEZNS1_24adjacent_difference_implIS3_Lb1ELb0EPfN6thrust23THRUST_200600_302600_NS16discard_iteratorINSD_11use_defaultEEENSD_5minusIfEEEE10hipError_tPvRmT2_T3_mT4_P12ihipStream_tbEUlmE_fEESB_NS0_8identityIvEEEESJ_SM_SN_mSO_SQ_bEUlT_E_NS1_11comp_targetILNS1_3genE0ELNS1_11target_archE4294967295ELNS1_3gpuE0ELNS1_3repE0EEENS1_30default_config_static_selectorELNS0_4arch9wavefront6targetE1EEEvT1_,@function
_ZN7rocprim17ROCPRIM_400000_NS6detail17trampoline_kernelINS0_14default_configENS1_25transform_config_selectorIfLb0EEEZNS1_14transform_implILb0ES3_S5_NS0_18transform_iteratorINS0_17counting_iteratorImlEEZNS1_24adjacent_difference_implIS3_Lb1ELb0EPfN6thrust23THRUST_200600_302600_NS16discard_iteratorINSD_11use_defaultEEENSD_5minusIfEEEE10hipError_tPvRmT2_T3_mT4_P12ihipStream_tbEUlmE_fEESB_NS0_8identityIvEEEESJ_SM_SN_mSO_SQ_bEUlT_E_NS1_11comp_targetILNS1_3genE0ELNS1_11target_archE4294967295ELNS1_3gpuE0ELNS1_3repE0EEENS1_30default_config_static_selectorELNS0_4arch9wavefront6targetE1EEEvT1_: ; @_ZN7rocprim17ROCPRIM_400000_NS6detail17trampoline_kernelINS0_14default_configENS1_25transform_config_selectorIfLb0EEEZNS1_14transform_implILb0ES3_S5_NS0_18transform_iteratorINS0_17counting_iteratorImlEEZNS1_24adjacent_difference_implIS3_Lb1ELb0EPfN6thrust23THRUST_200600_302600_NS16discard_iteratorINSD_11use_defaultEEENSD_5minusIfEEEE10hipError_tPvRmT2_T3_mT4_P12ihipStream_tbEUlmE_fEESB_NS0_8identityIvEEEESJ_SM_SN_mSO_SQ_bEUlT_E_NS1_11comp_targetILNS1_3genE0ELNS1_11target_archE4294967295ELNS1_3gpuE0ELNS1_3repE0EEENS1_30default_config_static_selectorELNS0_4arch9wavefront6targetE1EEEvT1_
; %bb.0:
	.section	.rodata,"a",@progbits
	.p2align	6, 0x0
	.amdhsa_kernel _ZN7rocprim17ROCPRIM_400000_NS6detail17trampoline_kernelINS0_14default_configENS1_25transform_config_selectorIfLb0EEEZNS1_14transform_implILb0ES3_S5_NS0_18transform_iteratorINS0_17counting_iteratorImlEEZNS1_24adjacent_difference_implIS3_Lb1ELb0EPfN6thrust23THRUST_200600_302600_NS16discard_iteratorINSD_11use_defaultEEENSD_5minusIfEEEE10hipError_tPvRmT2_T3_mT4_P12ihipStream_tbEUlmE_fEESB_NS0_8identityIvEEEESJ_SM_SN_mSO_SQ_bEUlT_E_NS1_11comp_targetILNS1_3genE0ELNS1_11target_archE4294967295ELNS1_3gpuE0ELNS1_3repE0EEENS1_30default_config_static_selectorELNS0_4arch9wavefront6targetE1EEEvT1_
		.amdhsa_group_segment_fixed_size 0
		.amdhsa_private_segment_fixed_size 0
		.amdhsa_kernarg_size 56
		.amdhsa_user_sgpr_count 6
		.amdhsa_user_sgpr_private_segment_buffer 1
		.amdhsa_user_sgpr_dispatch_ptr 0
		.amdhsa_user_sgpr_queue_ptr 0
		.amdhsa_user_sgpr_kernarg_segment_ptr 1
		.amdhsa_user_sgpr_dispatch_id 0
		.amdhsa_user_sgpr_flat_scratch_init 0
		.amdhsa_user_sgpr_kernarg_preload_length 0
		.amdhsa_user_sgpr_kernarg_preload_offset 0
		.amdhsa_user_sgpr_private_segment_size 0
		.amdhsa_uses_dynamic_stack 0
		.amdhsa_system_sgpr_private_segment_wavefront_offset 0
		.amdhsa_system_sgpr_workgroup_id_x 1
		.amdhsa_system_sgpr_workgroup_id_y 0
		.amdhsa_system_sgpr_workgroup_id_z 0
		.amdhsa_system_sgpr_workgroup_info 0
		.amdhsa_system_vgpr_workitem_id 0
		.amdhsa_next_free_vgpr 1
		.amdhsa_next_free_sgpr 0
		.amdhsa_accum_offset 4
		.amdhsa_reserve_vcc 0
		.amdhsa_reserve_flat_scratch 0
		.amdhsa_float_round_mode_32 0
		.amdhsa_float_round_mode_16_64 0
		.amdhsa_float_denorm_mode_32 3
		.amdhsa_float_denorm_mode_16_64 3
		.amdhsa_dx10_clamp 1
		.amdhsa_ieee_mode 1
		.amdhsa_fp16_overflow 0
		.amdhsa_tg_split 0
		.amdhsa_exception_fp_ieee_invalid_op 0
		.amdhsa_exception_fp_denorm_src 0
		.amdhsa_exception_fp_ieee_div_zero 0
		.amdhsa_exception_fp_ieee_overflow 0
		.amdhsa_exception_fp_ieee_underflow 0
		.amdhsa_exception_fp_ieee_inexact 0
		.amdhsa_exception_int_div_zero 0
	.end_amdhsa_kernel
	.section	.text._ZN7rocprim17ROCPRIM_400000_NS6detail17trampoline_kernelINS0_14default_configENS1_25transform_config_selectorIfLb0EEEZNS1_14transform_implILb0ES3_S5_NS0_18transform_iteratorINS0_17counting_iteratorImlEEZNS1_24adjacent_difference_implIS3_Lb1ELb0EPfN6thrust23THRUST_200600_302600_NS16discard_iteratorINSD_11use_defaultEEENSD_5minusIfEEEE10hipError_tPvRmT2_T3_mT4_P12ihipStream_tbEUlmE_fEESB_NS0_8identityIvEEEESJ_SM_SN_mSO_SQ_bEUlT_E_NS1_11comp_targetILNS1_3genE0ELNS1_11target_archE4294967295ELNS1_3gpuE0ELNS1_3repE0EEENS1_30default_config_static_selectorELNS0_4arch9wavefront6targetE1EEEvT1_,"axG",@progbits,_ZN7rocprim17ROCPRIM_400000_NS6detail17trampoline_kernelINS0_14default_configENS1_25transform_config_selectorIfLb0EEEZNS1_14transform_implILb0ES3_S5_NS0_18transform_iteratorINS0_17counting_iteratorImlEEZNS1_24adjacent_difference_implIS3_Lb1ELb0EPfN6thrust23THRUST_200600_302600_NS16discard_iteratorINSD_11use_defaultEEENSD_5minusIfEEEE10hipError_tPvRmT2_T3_mT4_P12ihipStream_tbEUlmE_fEESB_NS0_8identityIvEEEESJ_SM_SN_mSO_SQ_bEUlT_E_NS1_11comp_targetILNS1_3genE0ELNS1_11target_archE4294967295ELNS1_3gpuE0ELNS1_3repE0EEENS1_30default_config_static_selectorELNS0_4arch9wavefront6targetE1EEEvT1_,comdat
.Lfunc_end768:
	.size	_ZN7rocprim17ROCPRIM_400000_NS6detail17trampoline_kernelINS0_14default_configENS1_25transform_config_selectorIfLb0EEEZNS1_14transform_implILb0ES3_S5_NS0_18transform_iteratorINS0_17counting_iteratorImlEEZNS1_24adjacent_difference_implIS3_Lb1ELb0EPfN6thrust23THRUST_200600_302600_NS16discard_iteratorINSD_11use_defaultEEENSD_5minusIfEEEE10hipError_tPvRmT2_T3_mT4_P12ihipStream_tbEUlmE_fEESB_NS0_8identityIvEEEESJ_SM_SN_mSO_SQ_bEUlT_E_NS1_11comp_targetILNS1_3genE0ELNS1_11target_archE4294967295ELNS1_3gpuE0ELNS1_3repE0EEENS1_30default_config_static_selectorELNS0_4arch9wavefront6targetE1EEEvT1_, .Lfunc_end768-_ZN7rocprim17ROCPRIM_400000_NS6detail17trampoline_kernelINS0_14default_configENS1_25transform_config_selectorIfLb0EEEZNS1_14transform_implILb0ES3_S5_NS0_18transform_iteratorINS0_17counting_iteratorImlEEZNS1_24adjacent_difference_implIS3_Lb1ELb0EPfN6thrust23THRUST_200600_302600_NS16discard_iteratorINSD_11use_defaultEEENSD_5minusIfEEEE10hipError_tPvRmT2_T3_mT4_P12ihipStream_tbEUlmE_fEESB_NS0_8identityIvEEEESJ_SM_SN_mSO_SQ_bEUlT_E_NS1_11comp_targetILNS1_3genE0ELNS1_11target_archE4294967295ELNS1_3gpuE0ELNS1_3repE0EEENS1_30default_config_static_selectorELNS0_4arch9wavefront6targetE1EEEvT1_
                                        ; -- End function
	.section	.AMDGPU.csdata,"",@progbits
; Kernel info:
; codeLenInByte = 0
; NumSgprs: 4
; NumVgprs: 0
; NumAgprs: 0
; TotalNumVgprs: 0
; ScratchSize: 0
; MemoryBound: 0
; FloatMode: 240
; IeeeMode: 1
; LDSByteSize: 0 bytes/workgroup (compile time only)
; SGPRBlocks: 0
; VGPRBlocks: 0
; NumSGPRsForWavesPerEU: 4
; NumVGPRsForWavesPerEU: 1
; AccumOffset: 4
; Occupancy: 8
; WaveLimiterHint : 0
; COMPUTE_PGM_RSRC2:SCRATCH_EN: 0
; COMPUTE_PGM_RSRC2:USER_SGPR: 6
; COMPUTE_PGM_RSRC2:TRAP_HANDLER: 0
; COMPUTE_PGM_RSRC2:TGID_X_EN: 1
; COMPUTE_PGM_RSRC2:TGID_Y_EN: 0
; COMPUTE_PGM_RSRC2:TGID_Z_EN: 0
; COMPUTE_PGM_RSRC2:TIDIG_COMP_CNT: 0
; COMPUTE_PGM_RSRC3_GFX90A:ACCUM_OFFSET: 0
; COMPUTE_PGM_RSRC3_GFX90A:TG_SPLIT: 0
	.section	.text._ZN7rocprim17ROCPRIM_400000_NS6detail17trampoline_kernelINS0_14default_configENS1_25transform_config_selectorIfLb0EEEZNS1_14transform_implILb0ES3_S5_NS0_18transform_iteratorINS0_17counting_iteratorImlEEZNS1_24adjacent_difference_implIS3_Lb1ELb0EPfN6thrust23THRUST_200600_302600_NS16discard_iteratorINSD_11use_defaultEEENSD_5minusIfEEEE10hipError_tPvRmT2_T3_mT4_P12ihipStream_tbEUlmE_fEESB_NS0_8identityIvEEEESJ_SM_SN_mSO_SQ_bEUlT_E_NS1_11comp_targetILNS1_3genE5ELNS1_11target_archE942ELNS1_3gpuE9ELNS1_3repE0EEENS1_30default_config_static_selectorELNS0_4arch9wavefront6targetE1EEEvT1_,"axG",@progbits,_ZN7rocprim17ROCPRIM_400000_NS6detail17trampoline_kernelINS0_14default_configENS1_25transform_config_selectorIfLb0EEEZNS1_14transform_implILb0ES3_S5_NS0_18transform_iteratorINS0_17counting_iteratorImlEEZNS1_24adjacent_difference_implIS3_Lb1ELb0EPfN6thrust23THRUST_200600_302600_NS16discard_iteratorINSD_11use_defaultEEENSD_5minusIfEEEE10hipError_tPvRmT2_T3_mT4_P12ihipStream_tbEUlmE_fEESB_NS0_8identityIvEEEESJ_SM_SN_mSO_SQ_bEUlT_E_NS1_11comp_targetILNS1_3genE5ELNS1_11target_archE942ELNS1_3gpuE9ELNS1_3repE0EEENS1_30default_config_static_selectorELNS0_4arch9wavefront6targetE1EEEvT1_,comdat
	.protected	_ZN7rocprim17ROCPRIM_400000_NS6detail17trampoline_kernelINS0_14default_configENS1_25transform_config_selectorIfLb0EEEZNS1_14transform_implILb0ES3_S5_NS0_18transform_iteratorINS0_17counting_iteratorImlEEZNS1_24adjacent_difference_implIS3_Lb1ELb0EPfN6thrust23THRUST_200600_302600_NS16discard_iteratorINSD_11use_defaultEEENSD_5minusIfEEEE10hipError_tPvRmT2_T3_mT4_P12ihipStream_tbEUlmE_fEESB_NS0_8identityIvEEEESJ_SM_SN_mSO_SQ_bEUlT_E_NS1_11comp_targetILNS1_3genE5ELNS1_11target_archE942ELNS1_3gpuE9ELNS1_3repE0EEENS1_30default_config_static_selectorELNS0_4arch9wavefront6targetE1EEEvT1_ ; -- Begin function _ZN7rocprim17ROCPRIM_400000_NS6detail17trampoline_kernelINS0_14default_configENS1_25transform_config_selectorIfLb0EEEZNS1_14transform_implILb0ES3_S5_NS0_18transform_iteratorINS0_17counting_iteratorImlEEZNS1_24adjacent_difference_implIS3_Lb1ELb0EPfN6thrust23THRUST_200600_302600_NS16discard_iteratorINSD_11use_defaultEEENSD_5minusIfEEEE10hipError_tPvRmT2_T3_mT4_P12ihipStream_tbEUlmE_fEESB_NS0_8identityIvEEEESJ_SM_SN_mSO_SQ_bEUlT_E_NS1_11comp_targetILNS1_3genE5ELNS1_11target_archE942ELNS1_3gpuE9ELNS1_3repE0EEENS1_30default_config_static_selectorELNS0_4arch9wavefront6targetE1EEEvT1_
	.globl	_ZN7rocprim17ROCPRIM_400000_NS6detail17trampoline_kernelINS0_14default_configENS1_25transform_config_selectorIfLb0EEEZNS1_14transform_implILb0ES3_S5_NS0_18transform_iteratorINS0_17counting_iteratorImlEEZNS1_24adjacent_difference_implIS3_Lb1ELb0EPfN6thrust23THRUST_200600_302600_NS16discard_iteratorINSD_11use_defaultEEENSD_5minusIfEEEE10hipError_tPvRmT2_T3_mT4_P12ihipStream_tbEUlmE_fEESB_NS0_8identityIvEEEESJ_SM_SN_mSO_SQ_bEUlT_E_NS1_11comp_targetILNS1_3genE5ELNS1_11target_archE942ELNS1_3gpuE9ELNS1_3repE0EEENS1_30default_config_static_selectorELNS0_4arch9wavefront6targetE1EEEvT1_
	.p2align	8
	.type	_ZN7rocprim17ROCPRIM_400000_NS6detail17trampoline_kernelINS0_14default_configENS1_25transform_config_selectorIfLb0EEEZNS1_14transform_implILb0ES3_S5_NS0_18transform_iteratorINS0_17counting_iteratorImlEEZNS1_24adjacent_difference_implIS3_Lb1ELb0EPfN6thrust23THRUST_200600_302600_NS16discard_iteratorINSD_11use_defaultEEENSD_5minusIfEEEE10hipError_tPvRmT2_T3_mT4_P12ihipStream_tbEUlmE_fEESB_NS0_8identityIvEEEESJ_SM_SN_mSO_SQ_bEUlT_E_NS1_11comp_targetILNS1_3genE5ELNS1_11target_archE942ELNS1_3gpuE9ELNS1_3repE0EEENS1_30default_config_static_selectorELNS0_4arch9wavefront6targetE1EEEvT1_,@function
_ZN7rocprim17ROCPRIM_400000_NS6detail17trampoline_kernelINS0_14default_configENS1_25transform_config_selectorIfLb0EEEZNS1_14transform_implILb0ES3_S5_NS0_18transform_iteratorINS0_17counting_iteratorImlEEZNS1_24adjacent_difference_implIS3_Lb1ELb0EPfN6thrust23THRUST_200600_302600_NS16discard_iteratorINSD_11use_defaultEEENSD_5minusIfEEEE10hipError_tPvRmT2_T3_mT4_P12ihipStream_tbEUlmE_fEESB_NS0_8identityIvEEEESJ_SM_SN_mSO_SQ_bEUlT_E_NS1_11comp_targetILNS1_3genE5ELNS1_11target_archE942ELNS1_3gpuE9ELNS1_3repE0EEENS1_30default_config_static_selectorELNS0_4arch9wavefront6targetE1EEEvT1_: ; @_ZN7rocprim17ROCPRIM_400000_NS6detail17trampoline_kernelINS0_14default_configENS1_25transform_config_selectorIfLb0EEEZNS1_14transform_implILb0ES3_S5_NS0_18transform_iteratorINS0_17counting_iteratorImlEEZNS1_24adjacent_difference_implIS3_Lb1ELb0EPfN6thrust23THRUST_200600_302600_NS16discard_iteratorINSD_11use_defaultEEENSD_5minusIfEEEE10hipError_tPvRmT2_T3_mT4_P12ihipStream_tbEUlmE_fEESB_NS0_8identityIvEEEESJ_SM_SN_mSO_SQ_bEUlT_E_NS1_11comp_targetILNS1_3genE5ELNS1_11target_archE942ELNS1_3gpuE9ELNS1_3repE0EEENS1_30default_config_static_selectorELNS0_4arch9wavefront6targetE1EEEvT1_
; %bb.0:
	.section	.rodata,"a",@progbits
	.p2align	6, 0x0
	.amdhsa_kernel _ZN7rocprim17ROCPRIM_400000_NS6detail17trampoline_kernelINS0_14default_configENS1_25transform_config_selectorIfLb0EEEZNS1_14transform_implILb0ES3_S5_NS0_18transform_iteratorINS0_17counting_iteratorImlEEZNS1_24adjacent_difference_implIS3_Lb1ELb0EPfN6thrust23THRUST_200600_302600_NS16discard_iteratorINSD_11use_defaultEEENSD_5minusIfEEEE10hipError_tPvRmT2_T3_mT4_P12ihipStream_tbEUlmE_fEESB_NS0_8identityIvEEEESJ_SM_SN_mSO_SQ_bEUlT_E_NS1_11comp_targetILNS1_3genE5ELNS1_11target_archE942ELNS1_3gpuE9ELNS1_3repE0EEENS1_30default_config_static_selectorELNS0_4arch9wavefront6targetE1EEEvT1_
		.amdhsa_group_segment_fixed_size 0
		.amdhsa_private_segment_fixed_size 0
		.amdhsa_kernarg_size 56
		.amdhsa_user_sgpr_count 6
		.amdhsa_user_sgpr_private_segment_buffer 1
		.amdhsa_user_sgpr_dispatch_ptr 0
		.amdhsa_user_sgpr_queue_ptr 0
		.amdhsa_user_sgpr_kernarg_segment_ptr 1
		.amdhsa_user_sgpr_dispatch_id 0
		.amdhsa_user_sgpr_flat_scratch_init 0
		.amdhsa_user_sgpr_kernarg_preload_length 0
		.amdhsa_user_sgpr_kernarg_preload_offset 0
		.amdhsa_user_sgpr_private_segment_size 0
		.amdhsa_uses_dynamic_stack 0
		.amdhsa_system_sgpr_private_segment_wavefront_offset 0
		.amdhsa_system_sgpr_workgroup_id_x 1
		.amdhsa_system_sgpr_workgroup_id_y 0
		.amdhsa_system_sgpr_workgroup_id_z 0
		.amdhsa_system_sgpr_workgroup_info 0
		.amdhsa_system_vgpr_workitem_id 0
		.amdhsa_next_free_vgpr 1
		.amdhsa_next_free_sgpr 0
		.amdhsa_accum_offset 4
		.amdhsa_reserve_vcc 0
		.amdhsa_reserve_flat_scratch 0
		.amdhsa_float_round_mode_32 0
		.amdhsa_float_round_mode_16_64 0
		.amdhsa_float_denorm_mode_32 3
		.amdhsa_float_denorm_mode_16_64 3
		.amdhsa_dx10_clamp 1
		.amdhsa_ieee_mode 1
		.amdhsa_fp16_overflow 0
		.amdhsa_tg_split 0
		.amdhsa_exception_fp_ieee_invalid_op 0
		.amdhsa_exception_fp_denorm_src 0
		.amdhsa_exception_fp_ieee_div_zero 0
		.amdhsa_exception_fp_ieee_overflow 0
		.amdhsa_exception_fp_ieee_underflow 0
		.amdhsa_exception_fp_ieee_inexact 0
		.amdhsa_exception_int_div_zero 0
	.end_amdhsa_kernel
	.section	.text._ZN7rocprim17ROCPRIM_400000_NS6detail17trampoline_kernelINS0_14default_configENS1_25transform_config_selectorIfLb0EEEZNS1_14transform_implILb0ES3_S5_NS0_18transform_iteratorINS0_17counting_iteratorImlEEZNS1_24adjacent_difference_implIS3_Lb1ELb0EPfN6thrust23THRUST_200600_302600_NS16discard_iteratorINSD_11use_defaultEEENSD_5minusIfEEEE10hipError_tPvRmT2_T3_mT4_P12ihipStream_tbEUlmE_fEESB_NS0_8identityIvEEEESJ_SM_SN_mSO_SQ_bEUlT_E_NS1_11comp_targetILNS1_3genE5ELNS1_11target_archE942ELNS1_3gpuE9ELNS1_3repE0EEENS1_30default_config_static_selectorELNS0_4arch9wavefront6targetE1EEEvT1_,"axG",@progbits,_ZN7rocprim17ROCPRIM_400000_NS6detail17trampoline_kernelINS0_14default_configENS1_25transform_config_selectorIfLb0EEEZNS1_14transform_implILb0ES3_S5_NS0_18transform_iteratorINS0_17counting_iteratorImlEEZNS1_24adjacent_difference_implIS3_Lb1ELb0EPfN6thrust23THRUST_200600_302600_NS16discard_iteratorINSD_11use_defaultEEENSD_5minusIfEEEE10hipError_tPvRmT2_T3_mT4_P12ihipStream_tbEUlmE_fEESB_NS0_8identityIvEEEESJ_SM_SN_mSO_SQ_bEUlT_E_NS1_11comp_targetILNS1_3genE5ELNS1_11target_archE942ELNS1_3gpuE9ELNS1_3repE0EEENS1_30default_config_static_selectorELNS0_4arch9wavefront6targetE1EEEvT1_,comdat
.Lfunc_end769:
	.size	_ZN7rocprim17ROCPRIM_400000_NS6detail17trampoline_kernelINS0_14default_configENS1_25transform_config_selectorIfLb0EEEZNS1_14transform_implILb0ES3_S5_NS0_18transform_iteratorINS0_17counting_iteratorImlEEZNS1_24adjacent_difference_implIS3_Lb1ELb0EPfN6thrust23THRUST_200600_302600_NS16discard_iteratorINSD_11use_defaultEEENSD_5minusIfEEEE10hipError_tPvRmT2_T3_mT4_P12ihipStream_tbEUlmE_fEESB_NS0_8identityIvEEEESJ_SM_SN_mSO_SQ_bEUlT_E_NS1_11comp_targetILNS1_3genE5ELNS1_11target_archE942ELNS1_3gpuE9ELNS1_3repE0EEENS1_30default_config_static_selectorELNS0_4arch9wavefront6targetE1EEEvT1_, .Lfunc_end769-_ZN7rocprim17ROCPRIM_400000_NS6detail17trampoline_kernelINS0_14default_configENS1_25transform_config_selectorIfLb0EEEZNS1_14transform_implILb0ES3_S5_NS0_18transform_iteratorINS0_17counting_iteratorImlEEZNS1_24adjacent_difference_implIS3_Lb1ELb0EPfN6thrust23THRUST_200600_302600_NS16discard_iteratorINSD_11use_defaultEEENSD_5minusIfEEEE10hipError_tPvRmT2_T3_mT4_P12ihipStream_tbEUlmE_fEESB_NS0_8identityIvEEEESJ_SM_SN_mSO_SQ_bEUlT_E_NS1_11comp_targetILNS1_3genE5ELNS1_11target_archE942ELNS1_3gpuE9ELNS1_3repE0EEENS1_30default_config_static_selectorELNS0_4arch9wavefront6targetE1EEEvT1_
                                        ; -- End function
	.section	.AMDGPU.csdata,"",@progbits
; Kernel info:
; codeLenInByte = 0
; NumSgprs: 4
; NumVgprs: 0
; NumAgprs: 0
; TotalNumVgprs: 0
; ScratchSize: 0
; MemoryBound: 0
; FloatMode: 240
; IeeeMode: 1
; LDSByteSize: 0 bytes/workgroup (compile time only)
; SGPRBlocks: 0
; VGPRBlocks: 0
; NumSGPRsForWavesPerEU: 4
; NumVGPRsForWavesPerEU: 1
; AccumOffset: 4
; Occupancy: 8
; WaveLimiterHint : 0
; COMPUTE_PGM_RSRC2:SCRATCH_EN: 0
; COMPUTE_PGM_RSRC2:USER_SGPR: 6
; COMPUTE_PGM_RSRC2:TRAP_HANDLER: 0
; COMPUTE_PGM_RSRC2:TGID_X_EN: 1
; COMPUTE_PGM_RSRC2:TGID_Y_EN: 0
; COMPUTE_PGM_RSRC2:TGID_Z_EN: 0
; COMPUTE_PGM_RSRC2:TIDIG_COMP_CNT: 0
; COMPUTE_PGM_RSRC3_GFX90A:ACCUM_OFFSET: 0
; COMPUTE_PGM_RSRC3_GFX90A:TG_SPLIT: 0
	.section	.text._ZN7rocprim17ROCPRIM_400000_NS6detail17trampoline_kernelINS0_14default_configENS1_25transform_config_selectorIfLb0EEEZNS1_14transform_implILb0ES3_S5_NS0_18transform_iteratorINS0_17counting_iteratorImlEEZNS1_24adjacent_difference_implIS3_Lb1ELb0EPfN6thrust23THRUST_200600_302600_NS16discard_iteratorINSD_11use_defaultEEENSD_5minusIfEEEE10hipError_tPvRmT2_T3_mT4_P12ihipStream_tbEUlmE_fEESB_NS0_8identityIvEEEESJ_SM_SN_mSO_SQ_bEUlT_E_NS1_11comp_targetILNS1_3genE4ELNS1_11target_archE910ELNS1_3gpuE8ELNS1_3repE0EEENS1_30default_config_static_selectorELNS0_4arch9wavefront6targetE1EEEvT1_,"axG",@progbits,_ZN7rocprim17ROCPRIM_400000_NS6detail17trampoline_kernelINS0_14default_configENS1_25transform_config_selectorIfLb0EEEZNS1_14transform_implILb0ES3_S5_NS0_18transform_iteratorINS0_17counting_iteratorImlEEZNS1_24adjacent_difference_implIS3_Lb1ELb0EPfN6thrust23THRUST_200600_302600_NS16discard_iteratorINSD_11use_defaultEEENSD_5minusIfEEEE10hipError_tPvRmT2_T3_mT4_P12ihipStream_tbEUlmE_fEESB_NS0_8identityIvEEEESJ_SM_SN_mSO_SQ_bEUlT_E_NS1_11comp_targetILNS1_3genE4ELNS1_11target_archE910ELNS1_3gpuE8ELNS1_3repE0EEENS1_30default_config_static_selectorELNS0_4arch9wavefront6targetE1EEEvT1_,comdat
	.protected	_ZN7rocprim17ROCPRIM_400000_NS6detail17trampoline_kernelINS0_14default_configENS1_25transform_config_selectorIfLb0EEEZNS1_14transform_implILb0ES3_S5_NS0_18transform_iteratorINS0_17counting_iteratorImlEEZNS1_24adjacent_difference_implIS3_Lb1ELb0EPfN6thrust23THRUST_200600_302600_NS16discard_iteratorINSD_11use_defaultEEENSD_5minusIfEEEE10hipError_tPvRmT2_T3_mT4_P12ihipStream_tbEUlmE_fEESB_NS0_8identityIvEEEESJ_SM_SN_mSO_SQ_bEUlT_E_NS1_11comp_targetILNS1_3genE4ELNS1_11target_archE910ELNS1_3gpuE8ELNS1_3repE0EEENS1_30default_config_static_selectorELNS0_4arch9wavefront6targetE1EEEvT1_ ; -- Begin function _ZN7rocprim17ROCPRIM_400000_NS6detail17trampoline_kernelINS0_14default_configENS1_25transform_config_selectorIfLb0EEEZNS1_14transform_implILb0ES3_S5_NS0_18transform_iteratorINS0_17counting_iteratorImlEEZNS1_24adjacent_difference_implIS3_Lb1ELb0EPfN6thrust23THRUST_200600_302600_NS16discard_iteratorINSD_11use_defaultEEENSD_5minusIfEEEE10hipError_tPvRmT2_T3_mT4_P12ihipStream_tbEUlmE_fEESB_NS0_8identityIvEEEESJ_SM_SN_mSO_SQ_bEUlT_E_NS1_11comp_targetILNS1_3genE4ELNS1_11target_archE910ELNS1_3gpuE8ELNS1_3repE0EEENS1_30default_config_static_selectorELNS0_4arch9wavefront6targetE1EEEvT1_
	.globl	_ZN7rocprim17ROCPRIM_400000_NS6detail17trampoline_kernelINS0_14default_configENS1_25transform_config_selectorIfLb0EEEZNS1_14transform_implILb0ES3_S5_NS0_18transform_iteratorINS0_17counting_iteratorImlEEZNS1_24adjacent_difference_implIS3_Lb1ELb0EPfN6thrust23THRUST_200600_302600_NS16discard_iteratorINSD_11use_defaultEEENSD_5minusIfEEEE10hipError_tPvRmT2_T3_mT4_P12ihipStream_tbEUlmE_fEESB_NS0_8identityIvEEEESJ_SM_SN_mSO_SQ_bEUlT_E_NS1_11comp_targetILNS1_3genE4ELNS1_11target_archE910ELNS1_3gpuE8ELNS1_3repE0EEENS1_30default_config_static_selectorELNS0_4arch9wavefront6targetE1EEEvT1_
	.p2align	8
	.type	_ZN7rocprim17ROCPRIM_400000_NS6detail17trampoline_kernelINS0_14default_configENS1_25transform_config_selectorIfLb0EEEZNS1_14transform_implILb0ES3_S5_NS0_18transform_iteratorINS0_17counting_iteratorImlEEZNS1_24adjacent_difference_implIS3_Lb1ELb0EPfN6thrust23THRUST_200600_302600_NS16discard_iteratorINSD_11use_defaultEEENSD_5minusIfEEEE10hipError_tPvRmT2_T3_mT4_P12ihipStream_tbEUlmE_fEESB_NS0_8identityIvEEEESJ_SM_SN_mSO_SQ_bEUlT_E_NS1_11comp_targetILNS1_3genE4ELNS1_11target_archE910ELNS1_3gpuE8ELNS1_3repE0EEENS1_30default_config_static_selectorELNS0_4arch9wavefront6targetE1EEEvT1_,@function
_ZN7rocprim17ROCPRIM_400000_NS6detail17trampoline_kernelINS0_14default_configENS1_25transform_config_selectorIfLb0EEEZNS1_14transform_implILb0ES3_S5_NS0_18transform_iteratorINS0_17counting_iteratorImlEEZNS1_24adjacent_difference_implIS3_Lb1ELb0EPfN6thrust23THRUST_200600_302600_NS16discard_iteratorINSD_11use_defaultEEENSD_5minusIfEEEE10hipError_tPvRmT2_T3_mT4_P12ihipStream_tbEUlmE_fEESB_NS0_8identityIvEEEESJ_SM_SN_mSO_SQ_bEUlT_E_NS1_11comp_targetILNS1_3genE4ELNS1_11target_archE910ELNS1_3gpuE8ELNS1_3repE0EEENS1_30default_config_static_selectorELNS0_4arch9wavefront6targetE1EEEvT1_: ; @_ZN7rocprim17ROCPRIM_400000_NS6detail17trampoline_kernelINS0_14default_configENS1_25transform_config_selectorIfLb0EEEZNS1_14transform_implILb0ES3_S5_NS0_18transform_iteratorINS0_17counting_iteratorImlEEZNS1_24adjacent_difference_implIS3_Lb1ELb0EPfN6thrust23THRUST_200600_302600_NS16discard_iteratorINSD_11use_defaultEEENSD_5minusIfEEEE10hipError_tPvRmT2_T3_mT4_P12ihipStream_tbEUlmE_fEESB_NS0_8identityIvEEEESJ_SM_SN_mSO_SQ_bEUlT_E_NS1_11comp_targetILNS1_3genE4ELNS1_11target_archE910ELNS1_3gpuE8ELNS1_3repE0EEENS1_30default_config_static_selectorELNS0_4arch9wavefront6targetE1EEEvT1_
; %bb.0:
	s_load_dwordx4 s[0:3], s[4:5], 0x18
	s_load_dwordx2 s[14:15], s[4:5], 0x28
	s_load_dwordx4 s[8:11], s[4:5], 0x0
	s_load_dword s12, s[4:5], 0x10
	s_waitcnt lgkmcnt(0)
	s_load_dword s3, s[4:5], 0x38
                                        ; kill: killed $sgpr4_sgpr5
	s_lshl_b64 s[4:5], s[0:1], 2
	s_add_u32 s14, s14, s4
	s_addc_u32 s15, s15, s5
	s_lshl_b32 s4, s6, 11
	s_waitcnt lgkmcnt(0)
	s_add_i32 s3, s3, -1
	s_add_u32 s7, s8, s4
	s_addc_u32 s8, s9, 0
	s_add_u32 s16, s7, s0
	s_addc_u32 s17, s8, s1
	s_mov_b32 s5, 0
	s_cmp_lg_u32 s6, s3
	v_lshlrev_b32_e32 v1, 2, v0
	s_cbranch_scc0 .LBB770_2
; %bb.1:
	v_mov_b32_e32 v2, s17
	v_add_co_u32_e32 v3, vcc, s16, v0
	v_addc_co_u32_e32 v5, vcc, 0, v2, vcc
	v_mad_u64_u32 v[2:3], s[0:1], v3, s12, 0
	v_mov_b32_e32 v4, v3
	v_mad_u64_u32 v[4:5], s[0:1], v5, s12, v[4:5]
	v_mov_b32_e32 v3, v4
	v_lshlrev_b64 v[2:3], 2, v[2:3]
	s_mov_b32 s13, s5
	v_mov_b32_e32 v4, s11
	v_add_co_u32_e32 v2, vcc, s10, v2
	v_addc_co_u32_e32 v3, vcc, v4, v3, vcc
	s_lshl_b64 s[0:1], s[12:13], 12
	global_load_dword v6, v[2:3], off
	v_mov_b32_e32 v4, s1
	v_add_co_u32_e32 v2, vcc, s0, v2
	v_addc_co_u32_e32 v3, vcc, v3, v4, vcc
	global_load_dword v3, v[2:3], off
	s_lshl_b64 s[6:7], s[4:5], 2
	s_add_u32 s6, s14, s6
	s_addc_u32 s7, s15, s7
	v_mov_b32_e32 v2, s7
	v_add_co_u32_e32 v4, vcc, s6, v1
	v_addc_co_u32_e32 v5, vcc, 0, v2, vcc
	s_waitcnt vmcnt(1)
	global_store_dword v1, v6, s[6:7]
	s_mov_b64 s[6:7], -1
	s_cbranch_execz .LBB770_3
	s_branch .LBB770_12
.LBB770_2:
	s_mov_b64 s[6:7], 0
                                        ; implicit-def: $vgpr3
                                        ; implicit-def: $vgpr4_vgpr5
.LBB770_3:
	s_sub_i32 s8, s2, s4
	v_cmp_gt_u32_e32 vcc, s8, v0
                                        ; implicit-def: $vgpr2_vgpr3
	s_and_saveexec_b64 s[2:3], vcc
	s_cbranch_execz .LBB770_5
; %bb.4:
	v_mov_b32_e32 v2, s17
	s_waitcnt vmcnt(1)
	v_add_co_u32_e64 v3, s[0:1], s16, v0
	v_addc_co_u32_e64 v5, s[0:1], 0, v2, s[0:1]
	v_mad_u64_u32 v[2:3], s[0:1], v3, s12, 0
	v_mov_b32_e32 v4, v3
	v_mad_u64_u32 v[4:5], s[0:1], v5, s12, v[4:5]
	v_mov_b32_e32 v3, v4
	v_lshlrev_b64 v[2:3], 2, v[2:3]
	v_mov_b32_e32 v4, s11
	v_add_co_u32_e64 v2, s[0:1], s10, v2
	v_addc_co_u32_e64 v3, s[0:1], v4, v3, s[0:1]
	global_load_dword v2, v[2:3], off
.LBB770_5:
	s_or_b64 exec, exec, s[2:3]
	v_or_b32_e32 v0, 0x400, v0
	v_cmp_gt_u32_e64 s[0:1], s8, v0
	s_and_saveexec_b64 s[8:9], s[0:1]
	s_cbranch_execz .LBB770_7
; %bb.6:
	s_waitcnt vmcnt(1)
	v_mov_b32_e32 v3, s17
	v_add_co_u32_e64 v0, s[2:3], s16, v0
	v_addc_co_u32_e64 v3, s[2:3], 0, v3, s[2:3]
	v_mad_u64_u32 v[4:5], s[2:3], v0, s12, 0
	v_mov_b32_e32 v0, v5
	v_mad_u64_u32 v[6:7], s[2:3], v3, s12, v[0:1]
	v_mov_b32_e32 v5, v6
	v_lshlrev_b64 v[4:5], 2, v[4:5]
	v_mov_b32_e32 v0, s11
	v_add_co_u32_e64 v4, s[2:3], s10, v4
	v_addc_co_u32_e64 v5, s[2:3], v0, v5, s[2:3]
	global_load_dword v3, v[4:5], off
.LBB770_7:
	s_or_b64 exec, exec, s[8:9]
	s_lshl_b64 s[2:3], s[4:5], 2
	s_add_u32 s2, s14, s2
	s_addc_u32 s3, s15, s3
	v_mov_b32_e32 v0, s3
	v_add_co_u32_e64 v4, s[2:3], s2, v1
	v_addc_co_u32_e64 v5, s[2:3], 0, v0, s[2:3]
	s_and_saveexec_b64 s[2:3], vcc
	s_cbranch_execz .LBB770_9
; %bb.8:
	s_waitcnt vmcnt(0)
	global_store_dword v[4:5], v2, off
.LBB770_9:
	s_or_b64 exec, exec, s[2:3]
	s_and_saveexec_b64 s[2:3], s[0:1]
; %bb.10:
	s_or_b64 s[6:7], s[6:7], exec
; %bb.11:
	s_or_b64 exec, exec, s[2:3]
.LBB770_12:
	s_and_saveexec_b64 s[0:1], s[6:7]
	s_cbranch_execnz .LBB770_14
; %bb.13:
	s_endpgm
.LBB770_14:
	v_add_co_u32_e32 v0, vcc, 0x1000, v4
	v_addc_co_u32_e32 v1, vcc, 0, v5, vcc
	s_waitcnt vmcnt(0)
	global_store_dword v[0:1], v3, off
	s_endpgm
	.section	.rodata,"a",@progbits
	.p2align	6, 0x0
	.amdhsa_kernel _ZN7rocprim17ROCPRIM_400000_NS6detail17trampoline_kernelINS0_14default_configENS1_25transform_config_selectorIfLb0EEEZNS1_14transform_implILb0ES3_S5_NS0_18transform_iteratorINS0_17counting_iteratorImlEEZNS1_24adjacent_difference_implIS3_Lb1ELb0EPfN6thrust23THRUST_200600_302600_NS16discard_iteratorINSD_11use_defaultEEENSD_5minusIfEEEE10hipError_tPvRmT2_T3_mT4_P12ihipStream_tbEUlmE_fEESB_NS0_8identityIvEEEESJ_SM_SN_mSO_SQ_bEUlT_E_NS1_11comp_targetILNS1_3genE4ELNS1_11target_archE910ELNS1_3gpuE8ELNS1_3repE0EEENS1_30default_config_static_selectorELNS0_4arch9wavefront6targetE1EEEvT1_
		.amdhsa_group_segment_fixed_size 0
		.amdhsa_private_segment_fixed_size 0
		.amdhsa_kernarg_size 312
		.amdhsa_user_sgpr_count 6
		.amdhsa_user_sgpr_private_segment_buffer 1
		.amdhsa_user_sgpr_dispatch_ptr 0
		.amdhsa_user_sgpr_queue_ptr 0
		.amdhsa_user_sgpr_kernarg_segment_ptr 1
		.amdhsa_user_sgpr_dispatch_id 0
		.amdhsa_user_sgpr_flat_scratch_init 0
		.amdhsa_user_sgpr_kernarg_preload_length 0
		.amdhsa_user_sgpr_kernarg_preload_offset 0
		.amdhsa_user_sgpr_private_segment_size 0
		.amdhsa_uses_dynamic_stack 0
		.amdhsa_system_sgpr_private_segment_wavefront_offset 0
		.amdhsa_system_sgpr_workgroup_id_x 1
		.amdhsa_system_sgpr_workgroup_id_y 0
		.amdhsa_system_sgpr_workgroup_id_z 0
		.amdhsa_system_sgpr_workgroup_info 0
		.amdhsa_system_vgpr_workitem_id 0
		.amdhsa_next_free_vgpr 8
		.amdhsa_next_free_sgpr 18
		.amdhsa_accum_offset 8
		.amdhsa_reserve_vcc 1
		.amdhsa_reserve_flat_scratch 0
		.amdhsa_float_round_mode_32 0
		.amdhsa_float_round_mode_16_64 0
		.amdhsa_float_denorm_mode_32 3
		.amdhsa_float_denorm_mode_16_64 3
		.amdhsa_dx10_clamp 1
		.amdhsa_ieee_mode 1
		.amdhsa_fp16_overflow 0
		.amdhsa_tg_split 0
		.amdhsa_exception_fp_ieee_invalid_op 0
		.amdhsa_exception_fp_denorm_src 0
		.amdhsa_exception_fp_ieee_div_zero 0
		.amdhsa_exception_fp_ieee_overflow 0
		.amdhsa_exception_fp_ieee_underflow 0
		.amdhsa_exception_fp_ieee_inexact 0
		.amdhsa_exception_int_div_zero 0
	.end_amdhsa_kernel
	.section	.text._ZN7rocprim17ROCPRIM_400000_NS6detail17trampoline_kernelINS0_14default_configENS1_25transform_config_selectorIfLb0EEEZNS1_14transform_implILb0ES3_S5_NS0_18transform_iteratorINS0_17counting_iteratorImlEEZNS1_24adjacent_difference_implIS3_Lb1ELb0EPfN6thrust23THRUST_200600_302600_NS16discard_iteratorINSD_11use_defaultEEENSD_5minusIfEEEE10hipError_tPvRmT2_T3_mT4_P12ihipStream_tbEUlmE_fEESB_NS0_8identityIvEEEESJ_SM_SN_mSO_SQ_bEUlT_E_NS1_11comp_targetILNS1_3genE4ELNS1_11target_archE910ELNS1_3gpuE8ELNS1_3repE0EEENS1_30default_config_static_selectorELNS0_4arch9wavefront6targetE1EEEvT1_,"axG",@progbits,_ZN7rocprim17ROCPRIM_400000_NS6detail17trampoline_kernelINS0_14default_configENS1_25transform_config_selectorIfLb0EEEZNS1_14transform_implILb0ES3_S5_NS0_18transform_iteratorINS0_17counting_iteratorImlEEZNS1_24adjacent_difference_implIS3_Lb1ELb0EPfN6thrust23THRUST_200600_302600_NS16discard_iteratorINSD_11use_defaultEEENSD_5minusIfEEEE10hipError_tPvRmT2_T3_mT4_P12ihipStream_tbEUlmE_fEESB_NS0_8identityIvEEEESJ_SM_SN_mSO_SQ_bEUlT_E_NS1_11comp_targetILNS1_3genE4ELNS1_11target_archE910ELNS1_3gpuE8ELNS1_3repE0EEENS1_30default_config_static_selectorELNS0_4arch9wavefront6targetE1EEEvT1_,comdat
.Lfunc_end770:
	.size	_ZN7rocprim17ROCPRIM_400000_NS6detail17trampoline_kernelINS0_14default_configENS1_25transform_config_selectorIfLb0EEEZNS1_14transform_implILb0ES3_S5_NS0_18transform_iteratorINS0_17counting_iteratorImlEEZNS1_24adjacent_difference_implIS3_Lb1ELb0EPfN6thrust23THRUST_200600_302600_NS16discard_iteratorINSD_11use_defaultEEENSD_5minusIfEEEE10hipError_tPvRmT2_T3_mT4_P12ihipStream_tbEUlmE_fEESB_NS0_8identityIvEEEESJ_SM_SN_mSO_SQ_bEUlT_E_NS1_11comp_targetILNS1_3genE4ELNS1_11target_archE910ELNS1_3gpuE8ELNS1_3repE0EEENS1_30default_config_static_selectorELNS0_4arch9wavefront6targetE1EEEvT1_, .Lfunc_end770-_ZN7rocprim17ROCPRIM_400000_NS6detail17trampoline_kernelINS0_14default_configENS1_25transform_config_selectorIfLb0EEEZNS1_14transform_implILb0ES3_S5_NS0_18transform_iteratorINS0_17counting_iteratorImlEEZNS1_24adjacent_difference_implIS3_Lb1ELb0EPfN6thrust23THRUST_200600_302600_NS16discard_iteratorINSD_11use_defaultEEENSD_5minusIfEEEE10hipError_tPvRmT2_T3_mT4_P12ihipStream_tbEUlmE_fEESB_NS0_8identityIvEEEESJ_SM_SN_mSO_SQ_bEUlT_E_NS1_11comp_targetILNS1_3genE4ELNS1_11target_archE910ELNS1_3gpuE8ELNS1_3repE0EEENS1_30default_config_static_selectorELNS0_4arch9wavefront6targetE1EEEvT1_
                                        ; -- End function
	.section	.AMDGPU.csdata,"",@progbits
; Kernel info:
; codeLenInByte = 568
; NumSgprs: 22
; NumVgprs: 8
; NumAgprs: 0
; TotalNumVgprs: 8
; ScratchSize: 0
; MemoryBound: 0
; FloatMode: 240
; IeeeMode: 1
; LDSByteSize: 0 bytes/workgroup (compile time only)
; SGPRBlocks: 2
; VGPRBlocks: 0
; NumSGPRsForWavesPerEU: 22
; NumVGPRsForWavesPerEU: 8
; AccumOffset: 8
; Occupancy: 8
; WaveLimiterHint : 0
; COMPUTE_PGM_RSRC2:SCRATCH_EN: 0
; COMPUTE_PGM_RSRC2:USER_SGPR: 6
; COMPUTE_PGM_RSRC2:TRAP_HANDLER: 0
; COMPUTE_PGM_RSRC2:TGID_X_EN: 1
; COMPUTE_PGM_RSRC2:TGID_Y_EN: 0
; COMPUTE_PGM_RSRC2:TGID_Z_EN: 0
; COMPUTE_PGM_RSRC2:TIDIG_COMP_CNT: 0
; COMPUTE_PGM_RSRC3_GFX90A:ACCUM_OFFSET: 1
; COMPUTE_PGM_RSRC3_GFX90A:TG_SPLIT: 0
	.section	.text._ZN7rocprim17ROCPRIM_400000_NS6detail17trampoline_kernelINS0_14default_configENS1_25transform_config_selectorIfLb0EEEZNS1_14transform_implILb0ES3_S5_NS0_18transform_iteratorINS0_17counting_iteratorImlEEZNS1_24adjacent_difference_implIS3_Lb1ELb0EPfN6thrust23THRUST_200600_302600_NS16discard_iteratorINSD_11use_defaultEEENSD_5minusIfEEEE10hipError_tPvRmT2_T3_mT4_P12ihipStream_tbEUlmE_fEESB_NS0_8identityIvEEEESJ_SM_SN_mSO_SQ_bEUlT_E_NS1_11comp_targetILNS1_3genE3ELNS1_11target_archE908ELNS1_3gpuE7ELNS1_3repE0EEENS1_30default_config_static_selectorELNS0_4arch9wavefront6targetE1EEEvT1_,"axG",@progbits,_ZN7rocprim17ROCPRIM_400000_NS6detail17trampoline_kernelINS0_14default_configENS1_25transform_config_selectorIfLb0EEEZNS1_14transform_implILb0ES3_S5_NS0_18transform_iteratorINS0_17counting_iteratorImlEEZNS1_24adjacent_difference_implIS3_Lb1ELb0EPfN6thrust23THRUST_200600_302600_NS16discard_iteratorINSD_11use_defaultEEENSD_5minusIfEEEE10hipError_tPvRmT2_T3_mT4_P12ihipStream_tbEUlmE_fEESB_NS0_8identityIvEEEESJ_SM_SN_mSO_SQ_bEUlT_E_NS1_11comp_targetILNS1_3genE3ELNS1_11target_archE908ELNS1_3gpuE7ELNS1_3repE0EEENS1_30default_config_static_selectorELNS0_4arch9wavefront6targetE1EEEvT1_,comdat
	.protected	_ZN7rocprim17ROCPRIM_400000_NS6detail17trampoline_kernelINS0_14default_configENS1_25transform_config_selectorIfLb0EEEZNS1_14transform_implILb0ES3_S5_NS0_18transform_iteratorINS0_17counting_iteratorImlEEZNS1_24adjacent_difference_implIS3_Lb1ELb0EPfN6thrust23THRUST_200600_302600_NS16discard_iteratorINSD_11use_defaultEEENSD_5minusIfEEEE10hipError_tPvRmT2_T3_mT4_P12ihipStream_tbEUlmE_fEESB_NS0_8identityIvEEEESJ_SM_SN_mSO_SQ_bEUlT_E_NS1_11comp_targetILNS1_3genE3ELNS1_11target_archE908ELNS1_3gpuE7ELNS1_3repE0EEENS1_30default_config_static_selectorELNS0_4arch9wavefront6targetE1EEEvT1_ ; -- Begin function _ZN7rocprim17ROCPRIM_400000_NS6detail17trampoline_kernelINS0_14default_configENS1_25transform_config_selectorIfLb0EEEZNS1_14transform_implILb0ES3_S5_NS0_18transform_iteratorINS0_17counting_iteratorImlEEZNS1_24adjacent_difference_implIS3_Lb1ELb0EPfN6thrust23THRUST_200600_302600_NS16discard_iteratorINSD_11use_defaultEEENSD_5minusIfEEEE10hipError_tPvRmT2_T3_mT4_P12ihipStream_tbEUlmE_fEESB_NS0_8identityIvEEEESJ_SM_SN_mSO_SQ_bEUlT_E_NS1_11comp_targetILNS1_3genE3ELNS1_11target_archE908ELNS1_3gpuE7ELNS1_3repE0EEENS1_30default_config_static_selectorELNS0_4arch9wavefront6targetE1EEEvT1_
	.globl	_ZN7rocprim17ROCPRIM_400000_NS6detail17trampoline_kernelINS0_14default_configENS1_25transform_config_selectorIfLb0EEEZNS1_14transform_implILb0ES3_S5_NS0_18transform_iteratorINS0_17counting_iteratorImlEEZNS1_24adjacent_difference_implIS3_Lb1ELb0EPfN6thrust23THRUST_200600_302600_NS16discard_iteratorINSD_11use_defaultEEENSD_5minusIfEEEE10hipError_tPvRmT2_T3_mT4_P12ihipStream_tbEUlmE_fEESB_NS0_8identityIvEEEESJ_SM_SN_mSO_SQ_bEUlT_E_NS1_11comp_targetILNS1_3genE3ELNS1_11target_archE908ELNS1_3gpuE7ELNS1_3repE0EEENS1_30default_config_static_selectorELNS0_4arch9wavefront6targetE1EEEvT1_
	.p2align	8
	.type	_ZN7rocprim17ROCPRIM_400000_NS6detail17trampoline_kernelINS0_14default_configENS1_25transform_config_selectorIfLb0EEEZNS1_14transform_implILb0ES3_S5_NS0_18transform_iteratorINS0_17counting_iteratorImlEEZNS1_24adjacent_difference_implIS3_Lb1ELb0EPfN6thrust23THRUST_200600_302600_NS16discard_iteratorINSD_11use_defaultEEENSD_5minusIfEEEE10hipError_tPvRmT2_T3_mT4_P12ihipStream_tbEUlmE_fEESB_NS0_8identityIvEEEESJ_SM_SN_mSO_SQ_bEUlT_E_NS1_11comp_targetILNS1_3genE3ELNS1_11target_archE908ELNS1_3gpuE7ELNS1_3repE0EEENS1_30default_config_static_selectorELNS0_4arch9wavefront6targetE1EEEvT1_,@function
_ZN7rocprim17ROCPRIM_400000_NS6detail17trampoline_kernelINS0_14default_configENS1_25transform_config_selectorIfLb0EEEZNS1_14transform_implILb0ES3_S5_NS0_18transform_iteratorINS0_17counting_iteratorImlEEZNS1_24adjacent_difference_implIS3_Lb1ELb0EPfN6thrust23THRUST_200600_302600_NS16discard_iteratorINSD_11use_defaultEEENSD_5minusIfEEEE10hipError_tPvRmT2_T3_mT4_P12ihipStream_tbEUlmE_fEESB_NS0_8identityIvEEEESJ_SM_SN_mSO_SQ_bEUlT_E_NS1_11comp_targetILNS1_3genE3ELNS1_11target_archE908ELNS1_3gpuE7ELNS1_3repE0EEENS1_30default_config_static_selectorELNS0_4arch9wavefront6targetE1EEEvT1_: ; @_ZN7rocprim17ROCPRIM_400000_NS6detail17trampoline_kernelINS0_14default_configENS1_25transform_config_selectorIfLb0EEEZNS1_14transform_implILb0ES3_S5_NS0_18transform_iteratorINS0_17counting_iteratorImlEEZNS1_24adjacent_difference_implIS3_Lb1ELb0EPfN6thrust23THRUST_200600_302600_NS16discard_iteratorINSD_11use_defaultEEENSD_5minusIfEEEE10hipError_tPvRmT2_T3_mT4_P12ihipStream_tbEUlmE_fEESB_NS0_8identityIvEEEESJ_SM_SN_mSO_SQ_bEUlT_E_NS1_11comp_targetILNS1_3genE3ELNS1_11target_archE908ELNS1_3gpuE7ELNS1_3repE0EEENS1_30default_config_static_selectorELNS0_4arch9wavefront6targetE1EEEvT1_
; %bb.0:
	.section	.rodata,"a",@progbits
	.p2align	6, 0x0
	.amdhsa_kernel _ZN7rocprim17ROCPRIM_400000_NS6detail17trampoline_kernelINS0_14default_configENS1_25transform_config_selectorIfLb0EEEZNS1_14transform_implILb0ES3_S5_NS0_18transform_iteratorINS0_17counting_iteratorImlEEZNS1_24adjacent_difference_implIS3_Lb1ELb0EPfN6thrust23THRUST_200600_302600_NS16discard_iteratorINSD_11use_defaultEEENSD_5minusIfEEEE10hipError_tPvRmT2_T3_mT4_P12ihipStream_tbEUlmE_fEESB_NS0_8identityIvEEEESJ_SM_SN_mSO_SQ_bEUlT_E_NS1_11comp_targetILNS1_3genE3ELNS1_11target_archE908ELNS1_3gpuE7ELNS1_3repE0EEENS1_30default_config_static_selectorELNS0_4arch9wavefront6targetE1EEEvT1_
		.amdhsa_group_segment_fixed_size 0
		.amdhsa_private_segment_fixed_size 0
		.amdhsa_kernarg_size 56
		.amdhsa_user_sgpr_count 6
		.amdhsa_user_sgpr_private_segment_buffer 1
		.amdhsa_user_sgpr_dispatch_ptr 0
		.amdhsa_user_sgpr_queue_ptr 0
		.amdhsa_user_sgpr_kernarg_segment_ptr 1
		.amdhsa_user_sgpr_dispatch_id 0
		.amdhsa_user_sgpr_flat_scratch_init 0
		.amdhsa_user_sgpr_kernarg_preload_length 0
		.amdhsa_user_sgpr_kernarg_preload_offset 0
		.amdhsa_user_sgpr_private_segment_size 0
		.amdhsa_uses_dynamic_stack 0
		.amdhsa_system_sgpr_private_segment_wavefront_offset 0
		.amdhsa_system_sgpr_workgroup_id_x 1
		.amdhsa_system_sgpr_workgroup_id_y 0
		.amdhsa_system_sgpr_workgroup_id_z 0
		.amdhsa_system_sgpr_workgroup_info 0
		.amdhsa_system_vgpr_workitem_id 0
		.amdhsa_next_free_vgpr 1
		.amdhsa_next_free_sgpr 0
		.amdhsa_accum_offset 4
		.amdhsa_reserve_vcc 0
		.amdhsa_reserve_flat_scratch 0
		.amdhsa_float_round_mode_32 0
		.amdhsa_float_round_mode_16_64 0
		.amdhsa_float_denorm_mode_32 3
		.amdhsa_float_denorm_mode_16_64 3
		.amdhsa_dx10_clamp 1
		.amdhsa_ieee_mode 1
		.amdhsa_fp16_overflow 0
		.amdhsa_tg_split 0
		.amdhsa_exception_fp_ieee_invalid_op 0
		.amdhsa_exception_fp_denorm_src 0
		.amdhsa_exception_fp_ieee_div_zero 0
		.amdhsa_exception_fp_ieee_overflow 0
		.amdhsa_exception_fp_ieee_underflow 0
		.amdhsa_exception_fp_ieee_inexact 0
		.amdhsa_exception_int_div_zero 0
	.end_amdhsa_kernel
	.section	.text._ZN7rocprim17ROCPRIM_400000_NS6detail17trampoline_kernelINS0_14default_configENS1_25transform_config_selectorIfLb0EEEZNS1_14transform_implILb0ES3_S5_NS0_18transform_iteratorINS0_17counting_iteratorImlEEZNS1_24adjacent_difference_implIS3_Lb1ELb0EPfN6thrust23THRUST_200600_302600_NS16discard_iteratorINSD_11use_defaultEEENSD_5minusIfEEEE10hipError_tPvRmT2_T3_mT4_P12ihipStream_tbEUlmE_fEESB_NS0_8identityIvEEEESJ_SM_SN_mSO_SQ_bEUlT_E_NS1_11comp_targetILNS1_3genE3ELNS1_11target_archE908ELNS1_3gpuE7ELNS1_3repE0EEENS1_30default_config_static_selectorELNS0_4arch9wavefront6targetE1EEEvT1_,"axG",@progbits,_ZN7rocprim17ROCPRIM_400000_NS6detail17trampoline_kernelINS0_14default_configENS1_25transform_config_selectorIfLb0EEEZNS1_14transform_implILb0ES3_S5_NS0_18transform_iteratorINS0_17counting_iteratorImlEEZNS1_24adjacent_difference_implIS3_Lb1ELb0EPfN6thrust23THRUST_200600_302600_NS16discard_iteratorINSD_11use_defaultEEENSD_5minusIfEEEE10hipError_tPvRmT2_T3_mT4_P12ihipStream_tbEUlmE_fEESB_NS0_8identityIvEEEESJ_SM_SN_mSO_SQ_bEUlT_E_NS1_11comp_targetILNS1_3genE3ELNS1_11target_archE908ELNS1_3gpuE7ELNS1_3repE0EEENS1_30default_config_static_selectorELNS0_4arch9wavefront6targetE1EEEvT1_,comdat
.Lfunc_end771:
	.size	_ZN7rocprim17ROCPRIM_400000_NS6detail17trampoline_kernelINS0_14default_configENS1_25transform_config_selectorIfLb0EEEZNS1_14transform_implILb0ES3_S5_NS0_18transform_iteratorINS0_17counting_iteratorImlEEZNS1_24adjacent_difference_implIS3_Lb1ELb0EPfN6thrust23THRUST_200600_302600_NS16discard_iteratorINSD_11use_defaultEEENSD_5minusIfEEEE10hipError_tPvRmT2_T3_mT4_P12ihipStream_tbEUlmE_fEESB_NS0_8identityIvEEEESJ_SM_SN_mSO_SQ_bEUlT_E_NS1_11comp_targetILNS1_3genE3ELNS1_11target_archE908ELNS1_3gpuE7ELNS1_3repE0EEENS1_30default_config_static_selectorELNS0_4arch9wavefront6targetE1EEEvT1_, .Lfunc_end771-_ZN7rocprim17ROCPRIM_400000_NS6detail17trampoline_kernelINS0_14default_configENS1_25transform_config_selectorIfLb0EEEZNS1_14transform_implILb0ES3_S5_NS0_18transform_iteratorINS0_17counting_iteratorImlEEZNS1_24adjacent_difference_implIS3_Lb1ELb0EPfN6thrust23THRUST_200600_302600_NS16discard_iteratorINSD_11use_defaultEEENSD_5minusIfEEEE10hipError_tPvRmT2_T3_mT4_P12ihipStream_tbEUlmE_fEESB_NS0_8identityIvEEEESJ_SM_SN_mSO_SQ_bEUlT_E_NS1_11comp_targetILNS1_3genE3ELNS1_11target_archE908ELNS1_3gpuE7ELNS1_3repE0EEENS1_30default_config_static_selectorELNS0_4arch9wavefront6targetE1EEEvT1_
                                        ; -- End function
	.section	.AMDGPU.csdata,"",@progbits
; Kernel info:
; codeLenInByte = 0
; NumSgprs: 4
; NumVgprs: 0
; NumAgprs: 0
; TotalNumVgprs: 0
; ScratchSize: 0
; MemoryBound: 0
; FloatMode: 240
; IeeeMode: 1
; LDSByteSize: 0 bytes/workgroup (compile time only)
; SGPRBlocks: 0
; VGPRBlocks: 0
; NumSGPRsForWavesPerEU: 4
; NumVGPRsForWavesPerEU: 1
; AccumOffset: 4
; Occupancy: 8
; WaveLimiterHint : 0
; COMPUTE_PGM_RSRC2:SCRATCH_EN: 0
; COMPUTE_PGM_RSRC2:USER_SGPR: 6
; COMPUTE_PGM_RSRC2:TRAP_HANDLER: 0
; COMPUTE_PGM_RSRC2:TGID_X_EN: 1
; COMPUTE_PGM_RSRC2:TGID_Y_EN: 0
; COMPUTE_PGM_RSRC2:TGID_Z_EN: 0
; COMPUTE_PGM_RSRC2:TIDIG_COMP_CNT: 0
; COMPUTE_PGM_RSRC3_GFX90A:ACCUM_OFFSET: 0
; COMPUTE_PGM_RSRC3_GFX90A:TG_SPLIT: 0
	.section	.text._ZN7rocprim17ROCPRIM_400000_NS6detail17trampoline_kernelINS0_14default_configENS1_25transform_config_selectorIfLb0EEEZNS1_14transform_implILb0ES3_S5_NS0_18transform_iteratorINS0_17counting_iteratorImlEEZNS1_24adjacent_difference_implIS3_Lb1ELb0EPfN6thrust23THRUST_200600_302600_NS16discard_iteratorINSD_11use_defaultEEENSD_5minusIfEEEE10hipError_tPvRmT2_T3_mT4_P12ihipStream_tbEUlmE_fEESB_NS0_8identityIvEEEESJ_SM_SN_mSO_SQ_bEUlT_E_NS1_11comp_targetILNS1_3genE2ELNS1_11target_archE906ELNS1_3gpuE6ELNS1_3repE0EEENS1_30default_config_static_selectorELNS0_4arch9wavefront6targetE1EEEvT1_,"axG",@progbits,_ZN7rocprim17ROCPRIM_400000_NS6detail17trampoline_kernelINS0_14default_configENS1_25transform_config_selectorIfLb0EEEZNS1_14transform_implILb0ES3_S5_NS0_18transform_iteratorINS0_17counting_iteratorImlEEZNS1_24adjacent_difference_implIS3_Lb1ELb0EPfN6thrust23THRUST_200600_302600_NS16discard_iteratorINSD_11use_defaultEEENSD_5minusIfEEEE10hipError_tPvRmT2_T3_mT4_P12ihipStream_tbEUlmE_fEESB_NS0_8identityIvEEEESJ_SM_SN_mSO_SQ_bEUlT_E_NS1_11comp_targetILNS1_3genE2ELNS1_11target_archE906ELNS1_3gpuE6ELNS1_3repE0EEENS1_30default_config_static_selectorELNS0_4arch9wavefront6targetE1EEEvT1_,comdat
	.protected	_ZN7rocprim17ROCPRIM_400000_NS6detail17trampoline_kernelINS0_14default_configENS1_25transform_config_selectorIfLb0EEEZNS1_14transform_implILb0ES3_S5_NS0_18transform_iteratorINS0_17counting_iteratorImlEEZNS1_24adjacent_difference_implIS3_Lb1ELb0EPfN6thrust23THRUST_200600_302600_NS16discard_iteratorINSD_11use_defaultEEENSD_5minusIfEEEE10hipError_tPvRmT2_T3_mT4_P12ihipStream_tbEUlmE_fEESB_NS0_8identityIvEEEESJ_SM_SN_mSO_SQ_bEUlT_E_NS1_11comp_targetILNS1_3genE2ELNS1_11target_archE906ELNS1_3gpuE6ELNS1_3repE0EEENS1_30default_config_static_selectorELNS0_4arch9wavefront6targetE1EEEvT1_ ; -- Begin function _ZN7rocprim17ROCPRIM_400000_NS6detail17trampoline_kernelINS0_14default_configENS1_25transform_config_selectorIfLb0EEEZNS1_14transform_implILb0ES3_S5_NS0_18transform_iteratorINS0_17counting_iteratorImlEEZNS1_24adjacent_difference_implIS3_Lb1ELb0EPfN6thrust23THRUST_200600_302600_NS16discard_iteratorINSD_11use_defaultEEENSD_5minusIfEEEE10hipError_tPvRmT2_T3_mT4_P12ihipStream_tbEUlmE_fEESB_NS0_8identityIvEEEESJ_SM_SN_mSO_SQ_bEUlT_E_NS1_11comp_targetILNS1_3genE2ELNS1_11target_archE906ELNS1_3gpuE6ELNS1_3repE0EEENS1_30default_config_static_selectorELNS0_4arch9wavefront6targetE1EEEvT1_
	.globl	_ZN7rocprim17ROCPRIM_400000_NS6detail17trampoline_kernelINS0_14default_configENS1_25transform_config_selectorIfLb0EEEZNS1_14transform_implILb0ES3_S5_NS0_18transform_iteratorINS0_17counting_iteratorImlEEZNS1_24adjacent_difference_implIS3_Lb1ELb0EPfN6thrust23THRUST_200600_302600_NS16discard_iteratorINSD_11use_defaultEEENSD_5minusIfEEEE10hipError_tPvRmT2_T3_mT4_P12ihipStream_tbEUlmE_fEESB_NS0_8identityIvEEEESJ_SM_SN_mSO_SQ_bEUlT_E_NS1_11comp_targetILNS1_3genE2ELNS1_11target_archE906ELNS1_3gpuE6ELNS1_3repE0EEENS1_30default_config_static_selectorELNS0_4arch9wavefront6targetE1EEEvT1_
	.p2align	8
	.type	_ZN7rocprim17ROCPRIM_400000_NS6detail17trampoline_kernelINS0_14default_configENS1_25transform_config_selectorIfLb0EEEZNS1_14transform_implILb0ES3_S5_NS0_18transform_iteratorINS0_17counting_iteratorImlEEZNS1_24adjacent_difference_implIS3_Lb1ELb0EPfN6thrust23THRUST_200600_302600_NS16discard_iteratorINSD_11use_defaultEEENSD_5minusIfEEEE10hipError_tPvRmT2_T3_mT4_P12ihipStream_tbEUlmE_fEESB_NS0_8identityIvEEEESJ_SM_SN_mSO_SQ_bEUlT_E_NS1_11comp_targetILNS1_3genE2ELNS1_11target_archE906ELNS1_3gpuE6ELNS1_3repE0EEENS1_30default_config_static_selectorELNS0_4arch9wavefront6targetE1EEEvT1_,@function
_ZN7rocprim17ROCPRIM_400000_NS6detail17trampoline_kernelINS0_14default_configENS1_25transform_config_selectorIfLb0EEEZNS1_14transform_implILb0ES3_S5_NS0_18transform_iteratorINS0_17counting_iteratorImlEEZNS1_24adjacent_difference_implIS3_Lb1ELb0EPfN6thrust23THRUST_200600_302600_NS16discard_iteratorINSD_11use_defaultEEENSD_5minusIfEEEE10hipError_tPvRmT2_T3_mT4_P12ihipStream_tbEUlmE_fEESB_NS0_8identityIvEEEESJ_SM_SN_mSO_SQ_bEUlT_E_NS1_11comp_targetILNS1_3genE2ELNS1_11target_archE906ELNS1_3gpuE6ELNS1_3repE0EEENS1_30default_config_static_selectorELNS0_4arch9wavefront6targetE1EEEvT1_: ; @_ZN7rocprim17ROCPRIM_400000_NS6detail17trampoline_kernelINS0_14default_configENS1_25transform_config_selectorIfLb0EEEZNS1_14transform_implILb0ES3_S5_NS0_18transform_iteratorINS0_17counting_iteratorImlEEZNS1_24adjacent_difference_implIS3_Lb1ELb0EPfN6thrust23THRUST_200600_302600_NS16discard_iteratorINSD_11use_defaultEEENSD_5minusIfEEEE10hipError_tPvRmT2_T3_mT4_P12ihipStream_tbEUlmE_fEESB_NS0_8identityIvEEEESJ_SM_SN_mSO_SQ_bEUlT_E_NS1_11comp_targetILNS1_3genE2ELNS1_11target_archE906ELNS1_3gpuE6ELNS1_3repE0EEENS1_30default_config_static_selectorELNS0_4arch9wavefront6targetE1EEEvT1_
; %bb.0:
	.section	.rodata,"a",@progbits
	.p2align	6, 0x0
	.amdhsa_kernel _ZN7rocprim17ROCPRIM_400000_NS6detail17trampoline_kernelINS0_14default_configENS1_25transform_config_selectorIfLb0EEEZNS1_14transform_implILb0ES3_S5_NS0_18transform_iteratorINS0_17counting_iteratorImlEEZNS1_24adjacent_difference_implIS3_Lb1ELb0EPfN6thrust23THRUST_200600_302600_NS16discard_iteratorINSD_11use_defaultEEENSD_5minusIfEEEE10hipError_tPvRmT2_T3_mT4_P12ihipStream_tbEUlmE_fEESB_NS0_8identityIvEEEESJ_SM_SN_mSO_SQ_bEUlT_E_NS1_11comp_targetILNS1_3genE2ELNS1_11target_archE906ELNS1_3gpuE6ELNS1_3repE0EEENS1_30default_config_static_selectorELNS0_4arch9wavefront6targetE1EEEvT1_
		.amdhsa_group_segment_fixed_size 0
		.amdhsa_private_segment_fixed_size 0
		.amdhsa_kernarg_size 56
		.amdhsa_user_sgpr_count 6
		.amdhsa_user_sgpr_private_segment_buffer 1
		.amdhsa_user_sgpr_dispatch_ptr 0
		.amdhsa_user_sgpr_queue_ptr 0
		.amdhsa_user_sgpr_kernarg_segment_ptr 1
		.amdhsa_user_sgpr_dispatch_id 0
		.amdhsa_user_sgpr_flat_scratch_init 0
		.amdhsa_user_sgpr_kernarg_preload_length 0
		.amdhsa_user_sgpr_kernarg_preload_offset 0
		.amdhsa_user_sgpr_private_segment_size 0
		.amdhsa_uses_dynamic_stack 0
		.amdhsa_system_sgpr_private_segment_wavefront_offset 0
		.amdhsa_system_sgpr_workgroup_id_x 1
		.amdhsa_system_sgpr_workgroup_id_y 0
		.amdhsa_system_sgpr_workgroup_id_z 0
		.amdhsa_system_sgpr_workgroup_info 0
		.amdhsa_system_vgpr_workitem_id 0
		.amdhsa_next_free_vgpr 1
		.amdhsa_next_free_sgpr 0
		.amdhsa_accum_offset 4
		.amdhsa_reserve_vcc 0
		.amdhsa_reserve_flat_scratch 0
		.amdhsa_float_round_mode_32 0
		.amdhsa_float_round_mode_16_64 0
		.amdhsa_float_denorm_mode_32 3
		.amdhsa_float_denorm_mode_16_64 3
		.amdhsa_dx10_clamp 1
		.amdhsa_ieee_mode 1
		.amdhsa_fp16_overflow 0
		.amdhsa_tg_split 0
		.amdhsa_exception_fp_ieee_invalid_op 0
		.amdhsa_exception_fp_denorm_src 0
		.amdhsa_exception_fp_ieee_div_zero 0
		.amdhsa_exception_fp_ieee_overflow 0
		.amdhsa_exception_fp_ieee_underflow 0
		.amdhsa_exception_fp_ieee_inexact 0
		.amdhsa_exception_int_div_zero 0
	.end_amdhsa_kernel
	.section	.text._ZN7rocprim17ROCPRIM_400000_NS6detail17trampoline_kernelINS0_14default_configENS1_25transform_config_selectorIfLb0EEEZNS1_14transform_implILb0ES3_S5_NS0_18transform_iteratorINS0_17counting_iteratorImlEEZNS1_24adjacent_difference_implIS3_Lb1ELb0EPfN6thrust23THRUST_200600_302600_NS16discard_iteratorINSD_11use_defaultEEENSD_5minusIfEEEE10hipError_tPvRmT2_T3_mT4_P12ihipStream_tbEUlmE_fEESB_NS0_8identityIvEEEESJ_SM_SN_mSO_SQ_bEUlT_E_NS1_11comp_targetILNS1_3genE2ELNS1_11target_archE906ELNS1_3gpuE6ELNS1_3repE0EEENS1_30default_config_static_selectorELNS0_4arch9wavefront6targetE1EEEvT1_,"axG",@progbits,_ZN7rocprim17ROCPRIM_400000_NS6detail17trampoline_kernelINS0_14default_configENS1_25transform_config_selectorIfLb0EEEZNS1_14transform_implILb0ES3_S5_NS0_18transform_iteratorINS0_17counting_iteratorImlEEZNS1_24adjacent_difference_implIS3_Lb1ELb0EPfN6thrust23THRUST_200600_302600_NS16discard_iteratorINSD_11use_defaultEEENSD_5minusIfEEEE10hipError_tPvRmT2_T3_mT4_P12ihipStream_tbEUlmE_fEESB_NS0_8identityIvEEEESJ_SM_SN_mSO_SQ_bEUlT_E_NS1_11comp_targetILNS1_3genE2ELNS1_11target_archE906ELNS1_3gpuE6ELNS1_3repE0EEENS1_30default_config_static_selectorELNS0_4arch9wavefront6targetE1EEEvT1_,comdat
.Lfunc_end772:
	.size	_ZN7rocprim17ROCPRIM_400000_NS6detail17trampoline_kernelINS0_14default_configENS1_25transform_config_selectorIfLb0EEEZNS1_14transform_implILb0ES3_S5_NS0_18transform_iteratorINS0_17counting_iteratorImlEEZNS1_24adjacent_difference_implIS3_Lb1ELb0EPfN6thrust23THRUST_200600_302600_NS16discard_iteratorINSD_11use_defaultEEENSD_5minusIfEEEE10hipError_tPvRmT2_T3_mT4_P12ihipStream_tbEUlmE_fEESB_NS0_8identityIvEEEESJ_SM_SN_mSO_SQ_bEUlT_E_NS1_11comp_targetILNS1_3genE2ELNS1_11target_archE906ELNS1_3gpuE6ELNS1_3repE0EEENS1_30default_config_static_selectorELNS0_4arch9wavefront6targetE1EEEvT1_, .Lfunc_end772-_ZN7rocprim17ROCPRIM_400000_NS6detail17trampoline_kernelINS0_14default_configENS1_25transform_config_selectorIfLb0EEEZNS1_14transform_implILb0ES3_S5_NS0_18transform_iteratorINS0_17counting_iteratorImlEEZNS1_24adjacent_difference_implIS3_Lb1ELb0EPfN6thrust23THRUST_200600_302600_NS16discard_iteratorINSD_11use_defaultEEENSD_5minusIfEEEE10hipError_tPvRmT2_T3_mT4_P12ihipStream_tbEUlmE_fEESB_NS0_8identityIvEEEESJ_SM_SN_mSO_SQ_bEUlT_E_NS1_11comp_targetILNS1_3genE2ELNS1_11target_archE906ELNS1_3gpuE6ELNS1_3repE0EEENS1_30default_config_static_selectorELNS0_4arch9wavefront6targetE1EEEvT1_
                                        ; -- End function
	.section	.AMDGPU.csdata,"",@progbits
; Kernel info:
; codeLenInByte = 0
; NumSgprs: 4
; NumVgprs: 0
; NumAgprs: 0
; TotalNumVgprs: 0
; ScratchSize: 0
; MemoryBound: 0
; FloatMode: 240
; IeeeMode: 1
; LDSByteSize: 0 bytes/workgroup (compile time only)
; SGPRBlocks: 0
; VGPRBlocks: 0
; NumSGPRsForWavesPerEU: 4
; NumVGPRsForWavesPerEU: 1
; AccumOffset: 4
; Occupancy: 8
; WaveLimiterHint : 0
; COMPUTE_PGM_RSRC2:SCRATCH_EN: 0
; COMPUTE_PGM_RSRC2:USER_SGPR: 6
; COMPUTE_PGM_RSRC2:TRAP_HANDLER: 0
; COMPUTE_PGM_RSRC2:TGID_X_EN: 1
; COMPUTE_PGM_RSRC2:TGID_Y_EN: 0
; COMPUTE_PGM_RSRC2:TGID_Z_EN: 0
; COMPUTE_PGM_RSRC2:TIDIG_COMP_CNT: 0
; COMPUTE_PGM_RSRC3_GFX90A:ACCUM_OFFSET: 0
; COMPUTE_PGM_RSRC3_GFX90A:TG_SPLIT: 0
	.section	.text._ZN7rocprim17ROCPRIM_400000_NS6detail17trampoline_kernelINS0_14default_configENS1_25transform_config_selectorIfLb0EEEZNS1_14transform_implILb0ES3_S5_NS0_18transform_iteratorINS0_17counting_iteratorImlEEZNS1_24adjacent_difference_implIS3_Lb1ELb0EPfN6thrust23THRUST_200600_302600_NS16discard_iteratorINSD_11use_defaultEEENSD_5minusIfEEEE10hipError_tPvRmT2_T3_mT4_P12ihipStream_tbEUlmE_fEESB_NS0_8identityIvEEEESJ_SM_SN_mSO_SQ_bEUlT_E_NS1_11comp_targetILNS1_3genE10ELNS1_11target_archE1201ELNS1_3gpuE5ELNS1_3repE0EEENS1_30default_config_static_selectorELNS0_4arch9wavefront6targetE1EEEvT1_,"axG",@progbits,_ZN7rocprim17ROCPRIM_400000_NS6detail17trampoline_kernelINS0_14default_configENS1_25transform_config_selectorIfLb0EEEZNS1_14transform_implILb0ES3_S5_NS0_18transform_iteratorINS0_17counting_iteratorImlEEZNS1_24adjacent_difference_implIS3_Lb1ELb0EPfN6thrust23THRUST_200600_302600_NS16discard_iteratorINSD_11use_defaultEEENSD_5minusIfEEEE10hipError_tPvRmT2_T3_mT4_P12ihipStream_tbEUlmE_fEESB_NS0_8identityIvEEEESJ_SM_SN_mSO_SQ_bEUlT_E_NS1_11comp_targetILNS1_3genE10ELNS1_11target_archE1201ELNS1_3gpuE5ELNS1_3repE0EEENS1_30default_config_static_selectorELNS0_4arch9wavefront6targetE1EEEvT1_,comdat
	.protected	_ZN7rocprim17ROCPRIM_400000_NS6detail17trampoline_kernelINS0_14default_configENS1_25transform_config_selectorIfLb0EEEZNS1_14transform_implILb0ES3_S5_NS0_18transform_iteratorINS0_17counting_iteratorImlEEZNS1_24adjacent_difference_implIS3_Lb1ELb0EPfN6thrust23THRUST_200600_302600_NS16discard_iteratorINSD_11use_defaultEEENSD_5minusIfEEEE10hipError_tPvRmT2_T3_mT4_P12ihipStream_tbEUlmE_fEESB_NS0_8identityIvEEEESJ_SM_SN_mSO_SQ_bEUlT_E_NS1_11comp_targetILNS1_3genE10ELNS1_11target_archE1201ELNS1_3gpuE5ELNS1_3repE0EEENS1_30default_config_static_selectorELNS0_4arch9wavefront6targetE1EEEvT1_ ; -- Begin function _ZN7rocprim17ROCPRIM_400000_NS6detail17trampoline_kernelINS0_14default_configENS1_25transform_config_selectorIfLb0EEEZNS1_14transform_implILb0ES3_S5_NS0_18transform_iteratorINS0_17counting_iteratorImlEEZNS1_24adjacent_difference_implIS3_Lb1ELb0EPfN6thrust23THRUST_200600_302600_NS16discard_iteratorINSD_11use_defaultEEENSD_5minusIfEEEE10hipError_tPvRmT2_T3_mT4_P12ihipStream_tbEUlmE_fEESB_NS0_8identityIvEEEESJ_SM_SN_mSO_SQ_bEUlT_E_NS1_11comp_targetILNS1_3genE10ELNS1_11target_archE1201ELNS1_3gpuE5ELNS1_3repE0EEENS1_30default_config_static_selectorELNS0_4arch9wavefront6targetE1EEEvT1_
	.globl	_ZN7rocprim17ROCPRIM_400000_NS6detail17trampoline_kernelINS0_14default_configENS1_25transform_config_selectorIfLb0EEEZNS1_14transform_implILb0ES3_S5_NS0_18transform_iteratorINS0_17counting_iteratorImlEEZNS1_24adjacent_difference_implIS3_Lb1ELb0EPfN6thrust23THRUST_200600_302600_NS16discard_iteratorINSD_11use_defaultEEENSD_5minusIfEEEE10hipError_tPvRmT2_T3_mT4_P12ihipStream_tbEUlmE_fEESB_NS0_8identityIvEEEESJ_SM_SN_mSO_SQ_bEUlT_E_NS1_11comp_targetILNS1_3genE10ELNS1_11target_archE1201ELNS1_3gpuE5ELNS1_3repE0EEENS1_30default_config_static_selectorELNS0_4arch9wavefront6targetE1EEEvT1_
	.p2align	8
	.type	_ZN7rocprim17ROCPRIM_400000_NS6detail17trampoline_kernelINS0_14default_configENS1_25transform_config_selectorIfLb0EEEZNS1_14transform_implILb0ES3_S5_NS0_18transform_iteratorINS0_17counting_iteratorImlEEZNS1_24adjacent_difference_implIS3_Lb1ELb0EPfN6thrust23THRUST_200600_302600_NS16discard_iteratorINSD_11use_defaultEEENSD_5minusIfEEEE10hipError_tPvRmT2_T3_mT4_P12ihipStream_tbEUlmE_fEESB_NS0_8identityIvEEEESJ_SM_SN_mSO_SQ_bEUlT_E_NS1_11comp_targetILNS1_3genE10ELNS1_11target_archE1201ELNS1_3gpuE5ELNS1_3repE0EEENS1_30default_config_static_selectorELNS0_4arch9wavefront6targetE1EEEvT1_,@function
_ZN7rocprim17ROCPRIM_400000_NS6detail17trampoline_kernelINS0_14default_configENS1_25transform_config_selectorIfLb0EEEZNS1_14transform_implILb0ES3_S5_NS0_18transform_iteratorINS0_17counting_iteratorImlEEZNS1_24adjacent_difference_implIS3_Lb1ELb0EPfN6thrust23THRUST_200600_302600_NS16discard_iteratorINSD_11use_defaultEEENSD_5minusIfEEEE10hipError_tPvRmT2_T3_mT4_P12ihipStream_tbEUlmE_fEESB_NS0_8identityIvEEEESJ_SM_SN_mSO_SQ_bEUlT_E_NS1_11comp_targetILNS1_3genE10ELNS1_11target_archE1201ELNS1_3gpuE5ELNS1_3repE0EEENS1_30default_config_static_selectorELNS0_4arch9wavefront6targetE1EEEvT1_: ; @_ZN7rocprim17ROCPRIM_400000_NS6detail17trampoline_kernelINS0_14default_configENS1_25transform_config_selectorIfLb0EEEZNS1_14transform_implILb0ES3_S5_NS0_18transform_iteratorINS0_17counting_iteratorImlEEZNS1_24adjacent_difference_implIS3_Lb1ELb0EPfN6thrust23THRUST_200600_302600_NS16discard_iteratorINSD_11use_defaultEEENSD_5minusIfEEEE10hipError_tPvRmT2_T3_mT4_P12ihipStream_tbEUlmE_fEESB_NS0_8identityIvEEEESJ_SM_SN_mSO_SQ_bEUlT_E_NS1_11comp_targetILNS1_3genE10ELNS1_11target_archE1201ELNS1_3gpuE5ELNS1_3repE0EEENS1_30default_config_static_selectorELNS0_4arch9wavefront6targetE1EEEvT1_
; %bb.0:
	.section	.rodata,"a",@progbits
	.p2align	6, 0x0
	.amdhsa_kernel _ZN7rocprim17ROCPRIM_400000_NS6detail17trampoline_kernelINS0_14default_configENS1_25transform_config_selectorIfLb0EEEZNS1_14transform_implILb0ES3_S5_NS0_18transform_iteratorINS0_17counting_iteratorImlEEZNS1_24adjacent_difference_implIS3_Lb1ELb0EPfN6thrust23THRUST_200600_302600_NS16discard_iteratorINSD_11use_defaultEEENSD_5minusIfEEEE10hipError_tPvRmT2_T3_mT4_P12ihipStream_tbEUlmE_fEESB_NS0_8identityIvEEEESJ_SM_SN_mSO_SQ_bEUlT_E_NS1_11comp_targetILNS1_3genE10ELNS1_11target_archE1201ELNS1_3gpuE5ELNS1_3repE0EEENS1_30default_config_static_selectorELNS0_4arch9wavefront6targetE1EEEvT1_
		.amdhsa_group_segment_fixed_size 0
		.amdhsa_private_segment_fixed_size 0
		.amdhsa_kernarg_size 56
		.amdhsa_user_sgpr_count 6
		.amdhsa_user_sgpr_private_segment_buffer 1
		.amdhsa_user_sgpr_dispatch_ptr 0
		.amdhsa_user_sgpr_queue_ptr 0
		.amdhsa_user_sgpr_kernarg_segment_ptr 1
		.amdhsa_user_sgpr_dispatch_id 0
		.amdhsa_user_sgpr_flat_scratch_init 0
		.amdhsa_user_sgpr_kernarg_preload_length 0
		.amdhsa_user_sgpr_kernarg_preload_offset 0
		.amdhsa_user_sgpr_private_segment_size 0
		.amdhsa_uses_dynamic_stack 0
		.amdhsa_system_sgpr_private_segment_wavefront_offset 0
		.amdhsa_system_sgpr_workgroup_id_x 1
		.amdhsa_system_sgpr_workgroup_id_y 0
		.amdhsa_system_sgpr_workgroup_id_z 0
		.amdhsa_system_sgpr_workgroup_info 0
		.amdhsa_system_vgpr_workitem_id 0
		.amdhsa_next_free_vgpr 1
		.amdhsa_next_free_sgpr 0
		.amdhsa_accum_offset 4
		.amdhsa_reserve_vcc 0
		.amdhsa_reserve_flat_scratch 0
		.amdhsa_float_round_mode_32 0
		.amdhsa_float_round_mode_16_64 0
		.amdhsa_float_denorm_mode_32 3
		.amdhsa_float_denorm_mode_16_64 3
		.amdhsa_dx10_clamp 1
		.amdhsa_ieee_mode 1
		.amdhsa_fp16_overflow 0
		.amdhsa_tg_split 0
		.amdhsa_exception_fp_ieee_invalid_op 0
		.amdhsa_exception_fp_denorm_src 0
		.amdhsa_exception_fp_ieee_div_zero 0
		.amdhsa_exception_fp_ieee_overflow 0
		.amdhsa_exception_fp_ieee_underflow 0
		.amdhsa_exception_fp_ieee_inexact 0
		.amdhsa_exception_int_div_zero 0
	.end_amdhsa_kernel
	.section	.text._ZN7rocprim17ROCPRIM_400000_NS6detail17trampoline_kernelINS0_14default_configENS1_25transform_config_selectorIfLb0EEEZNS1_14transform_implILb0ES3_S5_NS0_18transform_iteratorINS0_17counting_iteratorImlEEZNS1_24adjacent_difference_implIS3_Lb1ELb0EPfN6thrust23THRUST_200600_302600_NS16discard_iteratorINSD_11use_defaultEEENSD_5minusIfEEEE10hipError_tPvRmT2_T3_mT4_P12ihipStream_tbEUlmE_fEESB_NS0_8identityIvEEEESJ_SM_SN_mSO_SQ_bEUlT_E_NS1_11comp_targetILNS1_3genE10ELNS1_11target_archE1201ELNS1_3gpuE5ELNS1_3repE0EEENS1_30default_config_static_selectorELNS0_4arch9wavefront6targetE1EEEvT1_,"axG",@progbits,_ZN7rocprim17ROCPRIM_400000_NS6detail17trampoline_kernelINS0_14default_configENS1_25transform_config_selectorIfLb0EEEZNS1_14transform_implILb0ES3_S5_NS0_18transform_iteratorINS0_17counting_iteratorImlEEZNS1_24adjacent_difference_implIS3_Lb1ELb0EPfN6thrust23THRUST_200600_302600_NS16discard_iteratorINSD_11use_defaultEEENSD_5minusIfEEEE10hipError_tPvRmT2_T3_mT4_P12ihipStream_tbEUlmE_fEESB_NS0_8identityIvEEEESJ_SM_SN_mSO_SQ_bEUlT_E_NS1_11comp_targetILNS1_3genE10ELNS1_11target_archE1201ELNS1_3gpuE5ELNS1_3repE0EEENS1_30default_config_static_selectorELNS0_4arch9wavefront6targetE1EEEvT1_,comdat
.Lfunc_end773:
	.size	_ZN7rocprim17ROCPRIM_400000_NS6detail17trampoline_kernelINS0_14default_configENS1_25transform_config_selectorIfLb0EEEZNS1_14transform_implILb0ES3_S5_NS0_18transform_iteratorINS0_17counting_iteratorImlEEZNS1_24adjacent_difference_implIS3_Lb1ELb0EPfN6thrust23THRUST_200600_302600_NS16discard_iteratorINSD_11use_defaultEEENSD_5minusIfEEEE10hipError_tPvRmT2_T3_mT4_P12ihipStream_tbEUlmE_fEESB_NS0_8identityIvEEEESJ_SM_SN_mSO_SQ_bEUlT_E_NS1_11comp_targetILNS1_3genE10ELNS1_11target_archE1201ELNS1_3gpuE5ELNS1_3repE0EEENS1_30default_config_static_selectorELNS0_4arch9wavefront6targetE1EEEvT1_, .Lfunc_end773-_ZN7rocprim17ROCPRIM_400000_NS6detail17trampoline_kernelINS0_14default_configENS1_25transform_config_selectorIfLb0EEEZNS1_14transform_implILb0ES3_S5_NS0_18transform_iteratorINS0_17counting_iteratorImlEEZNS1_24adjacent_difference_implIS3_Lb1ELb0EPfN6thrust23THRUST_200600_302600_NS16discard_iteratorINSD_11use_defaultEEENSD_5minusIfEEEE10hipError_tPvRmT2_T3_mT4_P12ihipStream_tbEUlmE_fEESB_NS0_8identityIvEEEESJ_SM_SN_mSO_SQ_bEUlT_E_NS1_11comp_targetILNS1_3genE10ELNS1_11target_archE1201ELNS1_3gpuE5ELNS1_3repE0EEENS1_30default_config_static_selectorELNS0_4arch9wavefront6targetE1EEEvT1_
                                        ; -- End function
	.section	.AMDGPU.csdata,"",@progbits
; Kernel info:
; codeLenInByte = 0
; NumSgprs: 4
; NumVgprs: 0
; NumAgprs: 0
; TotalNumVgprs: 0
; ScratchSize: 0
; MemoryBound: 0
; FloatMode: 240
; IeeeMode: 1
; LDSByteSize: 0 bytes/workgroup (compile time only)
; SGPRBlocks: 0
; VGPRBlocks: 0
; NumSGPRsForWavesPerEU: 4
; NumVGPRsForWavesPerEU: 1
; AccumOffset: 4
; Occupancy: 8
; WaveLimiterHint : 0
; COMPUTE_PGM_RSRC2:SCRATCH_EN: 0
; COMPUTE_PGM_RSRC2:USER_SGPR: 6
; COMPUTE_PGM_RSRC2:TRAP_HANDLER: 0
; COMPUTE_PGM_RSRC2:TGID_X_EN: 1
; COMPUTE_PGM_RSRC2:TGID_Y_EN: 0
; COMPUTE_PGM_RSRC2:TGID_Z_EN: 0
; COMPUTE_PGM_RSRC2:TIDIG_COMP_CNT: 0
; COMPUTE_PGM_RSRC3_GFX90A:ACCUM_OFFSET: 0
; COMPUTE_PGM_RSRC3_GFX90A:TG_SPLIT: 0
	.section	.text._ZN7rocprim17ROCPRIM_400000_NS6detail17trampoline_kernelINS0_14default_configENS1_25transform_config_selectorIfLb0EEEZNS1_14transform_implILb0ES3_S5_NS0_18transform_iteratorINS0_17counting_iteratorImlEEZNS1_24adjacent_difference_implIS3_Lb1ELb0EPfN6thrust23THRUST_200600_302600_NS16discard_iteratorINSD_11use_defaultEEENSD_5minusIfEEEE10hipError_tPvRmT2_T3_mT4_P12ihipStream_tbEUlmE_fEESB_NS0_8identityIvEEEESJ_SM_SN_mSO_SQ_bEUlT_E_NS1_11comp_targetILNS1_3genE10ELNS1_11target_archE1200ELNS1_3gpuE4ELNS1_3repE0EEENS1_30default_config_static_selectorELNS0_4arch9wavefront6targetE1EEEvT1_,"axG",@progbits,_ZN7rocprim17ROCPRIM_400000_NS6detail17trampoline_kernelINS0_14default_configENS1_25transform_config_selectorIfLb0EEEZNS1_14transform_implILb0ES3_S5_NS0_18transform_iteratorINS0_17counting_iteratorImlEEZNS1_24adjacent_difference_implIS3_Lb1ELb0EPfN6thrust23THRUST_200600_302600_NS16discard_iteratorINSD_11use_defaultEEENSD_5minusIfEEEE10hipError_tPvRmT2_T3_mT4_P12ihipStream_tbEUlmE_fEESB_NS0_8identityIvEEEESJ_SM_SN_mSO_SQ_bEUlT_E_NS1_11comp_targetILNS1_3genE10ELNS1_11target_archE1200ELNS1_3gpuE4ELNS1_3repE0EEENS1_30default_config_static_selectorELNS0_4arch9wavefront6targetE1EEEvT1_,comdat
	.protected	_ZN7rocprim17ROCPRIM_400000_NS6detail17trampoline_kernelINS0_14default_configENS1_25transform_config_selectorIfLb0EEEZNS1_14transform_implILb0ES3_S5_NS0_18transform_iteratorINS0_17counting_iteratorImlEEZNS1_24adjacent_difference_implIS3_Lb1ELb0EPfN6thrust23THRUST_200600_302600_NS16discard_iteratorINSD_11use_defaultEEENSD_5minusIfEEEE10hipError_tPvRmT2_T3_mT4_P12ihipStream_tbEUlmE_fEESB_NS0_8identityIvEEEESJ_SM_SN_mSO_SQ_bEUlT_E_NS1_11comp_targetILNS1_3genE10ELNS1_11target_archE1200ELNS1_3gpuE4ELNS1_3repE0EEENS1_30default_config_static_selectorELNS0_4arch9wavefront6targetE1EEEvT1_ ; -- Begin function _ZN7rocprim17ROCPRIM_400000_NS6detail17trampoline_kernelINS0_14default_configENS1_25transform_config_selectorIfLb0EEEZNS1_14transform_implILb0ES3_S5_NS0_18transform_iteratorINS0_17counting_iteratorImlEEZNS1_24adjacent_difference_implIS3_Lb1ELb0EPfN6thrust23THRUST_200600_302600_NS16discard_iteratorINSD_11use_defaultEEENSD_5minusIfEEEE10hipError_tPvRmT2_T3_mT4_P12ihipStream_tbEUlmE_fEESB_NS0_8identityIvEEEESJ_SM_SN_mSO_SQ_bEUlT_E_NS1_11comp_targetILNS1_3genE10ELNS1_11target_archE1200ELNS1_3gpuE4ELNS1_3repE0EEENS1_30default_config_static_selectorELNS0_4arch9wavefront6targetE1EEEvT1_
	.globl	_ZN7rocprim17ROCPRIM_400000_NS6detail17trampoline_kernelINS0_14default_configENS1_25transform_config_selectorIfLb0EEEZNS1_14transform_implILb0ES3_S5_NS0_18transform_iteratorINS0_17counting_iteratorImlEEZNS1_24adjacent_difference_implIS3_Lb1ELb0EPfN6thrust23THRUST_200600_302600_NS16discard_iteratorINSD_11use_defaultEEENSD_5minusIfEEEE10hipError_tPvRmT2_T3_mT4_P12ihipStream_tbEUlmE_fEESB_NS0_8identityIvEEEESJ_SM_SN_mSO_SQ_bEUlT_E_NS1_11comp_targetILNS1_3genE10ELNS1_11target_archE1200ELNS1_3gpuE4ELNS1_3repE0EEENS1_30default_config_static_selectorELNS0_4arch9wavefront6targetE1EEEvT1_
	.p2align	8
	.type	_ZN7rocprim17ROCPRIM_400000_NS6detail17trampoline_kernelINS0_14default_configENS1_25transform_config_selectorIfLb0EEEZNS1_14transform_implILb0ES3_S5_NS0_18transform_iteratorINS0_17counting_iteratorImlEEZNS1_24adjacent_difference_implIS3_Lb1ELb0EPfN6thrust23THRUST_200600_302600_NS16discard_iteratorINSD_11use_defaultEEENSD_5minusIfEEEE10hipError_tPvRmT2_T3_mT4_P12ihipStream_tbEUlmE_fEESB_NS0_8identityIvEEEESJ_SM_SN_mSO_SQ_bEUlT_E_NS1_11comp_targetILNS1_3genE10ELNS1_11target_archE1200ELNS1_3gpuE4ELNS1_3repE0EEENS1_30default_config_static_selectorELNS0_4arch9wavefront6targetE1EEEvT1_,@function
_ZN7rocprim17ROCPRIM_400000_NS6detail17trampoline_kernelINS0_14default_configENS1_25transform_config_selectorIfLb0EEEZNS1_14transform_implILb0ES3_S5_NS0_18transform_iteratorINS0_17counting_iteratorImlEEZNS1_24adjacent_difference_implIS3_Lb1ELb0EPfN6thrust23THRUST_200600_302600_NS16discard_iteratorINSD_11use_defaultEEENSD_5minusIfEEEE10hipError_tPvRmT2_T3_mT4_P12ihipStream_tbEUlmE_fEESB_NS0_8identityIvEEEESJ_SM_SN_mSO_SQ_bEUlT_E_NS1_11comp_targetILNS1_3genE10ELNS1_11target_archE1200ELNS1_3gpuE4ELNS1_3repE0EEENS1_30default_config_static_selectorELNS0_4arch9wavefront6targetE1EEEvT1_: ; @_ZN7rocprim17ROCPRIM_400000_NS6detail17trampoline_kernelINS0_14default_configENS1_25transform_config_selectorIfLb0EEEZNS1_14transform_implILb0ES3_S5_NS0_18transform_iteratorINS0_17counting_iteratorImlEEZNS1_24adjacent_difference_implIS3_Lb1ELb0EPfN6thrust23THRUST_200600_302600_NS16discard_iteratorINSD_11use_defaultEEENSD_5minusIfEEEE10hipError_tPvRmT2_T3_mT4_P12ihipStream_tbEUlmE_fEESB_NS0_8identityIvEEEESJ_SM_SN_mSO_SQ_bEUlT_E_NS1_11comp_targetILNS1_3genE10ELNS1_11target_archE1200ELNS1_3gpuE4ELNS1_3repE0EEENS1_30default_config_static_selectorELNS0_4arch9wavefront6targetE1EEEvT1_
; %bb.0:
	.section	.rodata,"a",@progbits
	.p2align	6, 0x0
	.amdhsa_kernel _ZN7rocprim17ROCPRIM_400000_NS6detail17trampoline_kernelINS0_14default_configENS1_25transform_config_selectorIfLb0EEEZNS1_14transform_implILb0ES3_S5_NS0_18transform_iteratorINS0_17counting_iteratorImlEEZNS1_24adjacent_difference_implIS3_Lb1ELb0EPfN6thrust23THRUST_200600_302600_NS16discard_iteratorINSD_11use_defaultEEENSD_5minusIfEEEE10hipError_tPvRmT2_T3_mT4_P12ihipStream_tbEUlmE_fEESB_NS0_8identityIvEEEESJ_SM_SN_mSO_SQ_bEUlT_E_NS1_11comp_targetILNS1_3genE10ELNS1_11target_archE1200ELNS1_3gpuE4ELNS1_3repE0EEENS1_30default_config_static_selectorELNS0_4arch9wavefront6targetE1EEEvT1_
		.amdhsa_group_segment_fixed_size 0
		.amdhsa_private_segment_fixed_size 0
		.amdhsa_kernarg_size 56
		.amdhsa_user_sgpr_count 6
		.amdhsa_user_sgpr_private_segment_buffer 1
		.amdhsa_user_sgpr_dispatch_ptr 0
		.amdhsa_user_sgpr_queue_ptr 0
		.amdhsa_user_sgpr_kernarg_segment_ptr 1
		.amdhsa_user_sgpr_dispatch_id 0
		.amdhsa_user_sgpr_flat_scratch_init 0
		.amdhsa_user_sgpr_kernarg_preload_length 0
		.amdhsa_user_sgpr_kernarg_preload_offset 0
		.amdhsa_user_sgpr_private_segment_size 0
		.amdhsa_uses_dynamic_stack 0
		.amdhsa_system_sgpr_private_segment_wavefront_offset 0
		.amdhsa_system_sgpr_workgroup_id_x 1
		.amdhsa_system_sgpr_workgroup_id_y 0
		.amdhsa_system_sgpr_workgroup_id_z 0
		.amdhsa_system_sgpr_workgroup_info 0
		.amdhsa_system_vgpr_workitem_id 0
		.amdhsa_next_free_vgpr 1
		.amdhsa_next_free_sgpr 0
		.amdhsa_accum_offset 4
		.amdhsa_reserve_vcc 0
		.amdhsa_reserve_flat_scratch 0
		.amdhsa_float_round_mode_32 0
		.amdhsa_float_round_mode_16_64 0
		.amdhsa_float_denorm_mode_32 3
		.amdhsa_float_denorm_mode_16_64 3
		.amdhsa_dx10_clamp 1
		.amdhsa_ieee_mode 1
		.amdhsa_fp16_overflow 0
		.amdhsa_tg_split 0
		.amdhsa_exception_fp_ieee_invalid_op 0
		.amdhsa_exception_fp_denorm_src 0
		.amdhsa_exception_fp_ieee_div_zero 0
		.amdhsa_exception_fp_ieee_overflow 0
		.amdhsa_exception_fp_ieee_underflow 0
		.amdhsa_exception_fp_ieee_inexact 0
		.amdhsa_exception_int_div_zero 0
	.end_amdhsa_kernel
	.section	.text._ZN7rocprim17ROCPRIM_400000_NS6detail17trampoline_kernelINS0_14default_configENS1_25transform_config_selectorIfLb0EEEZNS1_14transform_implILb0ES3_S5_NS0_18transform_iteratorINS0_17counting_iteratorImlEEZNS1_24adjacent_difference_implIS3_Lb1ELb0EPfN6thrust23THRUST_200600_302600_NS16discard_iteratorINSD_11use_defaultEEENSD_5minusIfEEEE10hipError_tPvRmT2_T3_mT4_P12ihipStream_tbEUlmE_fEESB_NS0_8identityIvEEEESJ_SM_SN_mSO_SQ_bEUlT_E_NS1_11comp_targetILNS1_3genE10ELNS1_11target_archE1200ELNS1_3gpuE4ELNS1_3repE0EEENS1_30default_config_static_selectorELNS0_4arch9wavefront6targetE1EEEvT1_,"axG",@progbits,_ZN7rocprim17ROCPRIM_400000_NS6detail17trampoline_kernelINS0_14default_configENS1_25transform_config_selectorIfLb0EEEZNS1_14transform_implILb0ES3_S5_NS0_18transform_iteratorINS0_17counting_iteratorImlEEZNS1_24adjacent_difference_implIS3_Lb1ELb0EPfN6thrust23THRUST_200600_302600_NS16discard_iteratorINSD_11use_defaultEEENSD_5minusIfEEEE10hipError_tPvRmT2_T3_mT4_P12ihipStream_tbEUlmE_fEESB_NS0_8identityIvEEEESJ_SM_SN_mSO_SQ_bEUlT_E_NS1_11comp_targetILNS1_3genE10ELNS1_11target_archE1200ELNS1_3gpuE4ELNS1_3repE0EEENS1_30default_config_static_selectorELNS0_4arch9wavefront6targetE1EEEvT1_,comdat
.Lfunc_end774:
	.size	_ZN7rocprim17ROCPRIM_400000_NS6detail17trampoline_kernelINS0_14default_configENS1_25transform_config_selectorIfLb0EEEZNS1_14transform_implILb0ES3_S5_NS0_18transform_iteratorINS0_17counting_iteratorImlEEZNS1_24adjacent_difference_implIS3_Lb1ELb0EPfN6thrust23THRUST_200600_302600_NS16discard_iteratorINSD_11use_defaultEEENSD_5minusIfEEEE10hipError_tPvRmT2_T3_mT4_P12ihipStream_tbEUlmE_fEESB_NS0_8identityIvEEEESJ_SM_SN_mSO_SQ_bEUlT_E_NS1_11comp_targetILNS1_3genE10ELNS1_11target_archE1200ELNS1_3gpuE4ELNS1_3repE0EEENS1_30default_config_static_selectorELNS0_4arch9wavefront6targetE1EEEvT1_, .Lfunc_end774-_ZN7rocprim17ROCPRIM_400000_NS6detail17trampoline_kernelINS0_14default_configENS1_25transform_config_selectorIfLb0EEEZNS1_14transform_implILb0ES3_S5_NS0_18transform_iteratorINS0_17counting_iteratorImlEEZNS1_24adjacent_difference_implIS3_Lb1ELb0EPfN6thrust23THRUST_200600_302600_NS16discard_iteratorINSD_11use_defaultEEENSD_5minusIfEEEE10hipError_tPvRmT2_T3_mT4_P12ihipStream_tbEUlmE_fEESB_NS0_8identityIvEEEESJ_SM_SN_mSO_SQ_bEUlT_E_NS1_11comp_targetILNS1_3genE10ELNS1_11target_archE1200ELNS1_3gpuE4ELNS1_3repE0EEENS1_30default_config_static_selectorELNS0_4arch9wavefront6targetE1EEEvT1_
                                        ; -- End function
	.section	.AMDGPU.csdata,"",@progbits
; Kernel info:
; codeLenInByte = 0
; NumSgprs: 4
; NumVgprs: 0
; NumAgprs: 0
; TotalNumVgprs: 0
; ScratchSize: 0
; MemoryBound: 0
; FloatMode: 240
; IeeeMode: 1
; LDSByteSize: 0 bytes/workgroup (compile time only)
; SGPRBlocks: 0
; VGPRBlocks: 0
; NumSGPRsForWavesPerEU: 4
; NumVGPRsForWavesPerEU: 1
; AccumOffset: 4
; Occupancy: 8
; WaveLimiterHint : 0
; COMPUTE_PGM_RSRC2:SCRATCH_EN: 0
; COMPUTE_PGM_RSRC2:USER_SGPR: 6
; COMPUTE_PGM_RSRC2:TRAP_HANDLER: 0
; COMPUTE_PGM_RSRC2:TGID_X_EN: 1
; COMPUTE_PGM_RSRC2:TGID_Y_EN: 0
; COMPUTE_PGM_RSRC2:TGID_Z_EN: 0
; COMPUTE_PGM_RSRC2:TIDIG_COMP_CNT: 0
; COMPUTE_PGM_RSRC3_GFX90A:ACCUM_OFFSET: 0
; COMPUTE_PGM_RSRC3_GFX90A:TG_SPLIT: 0
	.section	.text._ZN7rocprim17ROCPRIM_400000_NS6detail17trampoline_kernelINS0_14default_configENS1_25transform_config_selectorIfLb0EEEZNS1_14transform_implILb0ES3_S5_NS0_18transform_iteratorINS0_17counting_iteratorImlEEZNS1_24adjacent_difference_implIS3_Lb1ELb0EPfN6thrust23THRUST_200600_302600_NS16discard_iteratorINSD_11use_defaultEEENSD_5minusIfEEEE10hipError_tPvRmT2_T3_mT4_P12ihipStream_tbEUlmE_fEESB_NS0_8identityIvEEEESJ_SM_SN_mSO_SQ_bEUlT_E_NS1_11comp_targetILNS1_3genE9ELNS1_11target_archE1100ELNS1_3gpuE3ELNS1_3repE0EEENS1_30default_config_static_selectorELNS0_4arch9wavefront6targetE1EEEvT1_,"axG",@progbits,_ZN7rocprim17ROCPRIM_400000_NS6detail17trampoline_kernelINS0_14default_configENS1_25transform_config_selectorIfLb0EEEZNS1_14transform_implILb0ES3_S5_NS0_18transform_iteratorINS0_17counting_iteratorImlEEZNS1_24adjacent_difference_implIS3_Lb1ELb0EPfN6thrust23THRUST_200600_302600_NS16discard_iteratorINSD_11use_defaultEEENSD_5minusIfEEEE10hipError_tPvRmT2_T3_mT4_P12ihipStream_tbEUlmE_fEESB_NS0_8identityIvEEEESJ_SM_SN_mSO_SQ_bEUlT_E_NS1_11comp_targetILNS1_3genE9ELNS1_11target_archE1100ELNS1_3gpuE3ELNS1_3repE0EEENS1_30default_config_static_selectorELNS0_4arch9wavefront6targetE1EEEvT1_,comdat
	.protected	_ZN7rocprim17ROCPRIM_400000_NS6detail17trampoline_kernelINS0_14default_configENS1_25transform_config_selectorIfLb0EEEZNS1_14transform_implILb0ES3_S5_NS0_18transform_iteratorINS0_17counting_iteratorImlEEZNS1_24adjacent_difference_implIS3_Lb1ELb0EPfN6thrust23THRUST_200600_302600_NS16discard_iteratorINSD_11use_defaultEEENSD_5minusIfEEEE10hipError_tPvRmT2_T3_mT4_P12ihipStream_tbEUlmE_fEESB_NS0_8identityIvEEEESJ_SM_SN_mSO_SQ_bEUlT_E_NS1_11comp_targetILNS1_3genE9ELNS1_11target_archE1100ELNS1_3gpuE3ELNS1_3repE0EEENS1_30default_config_static_selectorELNS0_4arch9wavefront6targetE1EEEvT1_ ; -- Begin function _ZN7rocprim17ROCPRIM_400000_NS6detail17trampoline_kernelINS0_14default_configENS1_25transform_config_selectorIfLb0EEEZNS1_14transform_implILb0ES3_S5_NS0_18transform_iteratorINS0_17counting_iteratorImlEEZNS1_24adjacent_difference_implIS3_Lb1ELb0EPfN6thrust23THRUST_200600_302600_NS16discard_iteratorINSD_11use_defaultEEENSD_5minusIfEEEE10hipError_tPvRmT2_T3_mT4_P12ihipStream_tbEUlmE_fEESB_NS0_8identityIvEEEESJ_SM_SN_mSO_SQ_bEUlT_E_NS1_11comp_targetILNS1_3genE9ELNS1_11target_archE1100ELNS1_3gpuE3ELNS1_3repE0EEENS1_30default_config_static_selectorELNS0_4arch9wavefront6targetE1EEEvT1_
	.globl	_ZN7rocprim17ROCPRIM_400000_NS6detail17trampoline_kernelINS0_14default_configENS1_25transform_config_selectorIfLb0EEEZNS1_14transform_implILb0ES3_S5_NS0_18transform_iteratorINS0_17counting_iteratorImlEEZNS1_24adjacent_difference_implIS3_Lb1ELb0EPfN6thrust23THRUST_200600_302600_NS16discard_iteratorINSD_11use_defaultEEENSD_5minusIfEEEE10hipError_tPvRmT2_T3_mT4_P12ihipStream_tbEUlmE_fEESB_NS0_8identityIvEEEESJ_SM_SN_mSO_SQ_bEUlT_E_NS1_11comp_targetILNS1_3genE9ELNS1_11target_archE1100ELNS1_3gpuE3ELNS1_3repE0EEENS1_30default_config_static_selectorELNS0_4arch9wavefront6targetE1EEEvT1_
	.p2align	8
	.type	_ZN7rocprim17ROCPRIM_400000_NS6detail17trampoline_kernelINS0_14default_configENS1_25transform_config_selectorIfLb0EEEZNS1_14transform_implILb0ES3_S5_NS0_18transform_iteratorINS0_17counting_iteratorImlEEZNS1_24adjacent_difference_implIS3_Lb1ELb0EPfN6thrust23THRUST_200600_302600_NS16discard_iteratorINSD_11use_defaultEEENSD_5minusIfEEEE10hipError_tPvRmT2_T3_mT4_P12ihipStream_tbEUlmE_fEESB_NS0_8identityIvEEEESJ_SM_SN_mSO_SQ_bEUlT_E_NS1_11comp_targetILNS1_3genE9ELNS1_11target_archE1100ELNS1_3gpuE3ELNS1_3repE0EEENS1_30default_config_static_selectorELNS0_4arch9wavefront6targetE1EEEvT1_,@function
_ZN7rocprim17ROCPRIM_400000_NS6detail17trampoline_kernelINS0_14default_configENS1_25transform_config_selectorIfLb0EEEZNS1_14transform_implILb0ES3_S5_NS0_18transform_iteratorINS0_17counting_iteratorImlEEZNS1_24adjacent_difference_implIS3_Lb1ELb0EPfN6thrust23THRUST_200600_302600_NS16discard_iteratorINSD_11use_defaultEEENSD_5minusIfEEEE10hipError_tPvRmT2_T3_mT4_P12ihipStream_tbEUlmE_fEESB_NS0_8identityIvEEEESJ_SM_SN_mSO_SQ_bEUlT_E_NS1_11comp_targetILNS1_3genE9ELNS1_11target_archE1100ELNS1_3gpuE3ELNS1_3repE0EEENS1_30default_config_static_selectorELNS0_4arch9wavefront6targetE1EEEvT1_: ; @_ZN7rocprim17ROCPRIM_400000_NS6detail17trampoline_kernelINS0_14default_configENS1_25transform_config_selectorIfLb0EEEZNS1_14transform_implILb0ES3_S5_NS0_18transform_iteratorINS0_17counting_iteratorImlEEZNS1_24adjacent_difference_implIS3_Lb1ELb0EPfN6thrust23THRUST_200600_302600_NS16discard_iteratorINSD_11use_defaultEEENSD_5minusIfEEEE10hipError_tPvRmT2_T3_mT4_P12ihipStream_tbEUlmE_fEESB_NS0_8identityIvEEEESJ_SM_SN_mSO_SQ_bEUlT_E_NS1_11comp_targetILNS1_3genE9ELNS1_11target_archE1100ELNS1_3gpuE3ELNS1_3repE0EEENS1_30default_config_static_selectorELNS0_4arch9wavefront6targetE1EEEvT1_
; %bb.0:
	.section	.rodata,"a",@progbits
	.p2align	6, 0x0
	.amdhsa_kernel _ZN7rocprim17ROCPRIM_400000_NS6detail17trampoline_kernelINS0_14default_configENS1_25transform_config_selectorIfLb0EEEZNS1_14transform_implILb0ES3_S5_NS0_18transform_iteratorINS0_17counting_iteratorImlEEZNS1_24adjacent_difference_implIS3_Lb1ELb0EPfN6thrust23THRUST_200600_302600_NS16discard_iteratorINSD_11use_defaultEEENSD_5minusIfEEEE10hipError_tPvRmT2_T3_mT4_P12ihipStream_tbEUlmE_fEESB_NS0_8identityIvEEEESJ_SM_SN_mSO_SQ_bEUlT_E_NS1_11comp_targetILNS1_3genE9ELNS1_11target_archE1100ELNS1_3gpuE3ELNS1_3repE0EEENS1_30default_config_static_selectorELNS0_4arch9wavefront6targetE1EEEvT1_
		.amdhsa_group_segment_fixed_size 0
		.amdhsa_private_segment_fixed_size 0
		.amdhsa_kernarg_size 56
		.amdhsa_user_sgpr_count 6
		.amdhsa_user_sgpr_private_segment_buffer 1
		.amdhsa_user_sgpr_dispatch_ptr 0
		.amdhsa_user_sgpr_queue_ptr 0
		.amdhsa_user_sgpr_kernarg_segment_ptr 1
		.amdhsa_user_sgpr_dispatch_id 0
		.amdhsa_user_sgpr_flat_scratch_init 0
		.amdhsa_user_sgpr_kernarg_preload_length 0
		.amdhsa_user_sgpr_kernarg_preload_offset 0
		.amdhsa_user_sgpr_private_segment_size 0
		.amdhsa_uses_dynamic_stack 0
		.amdhsa_system_sgpr_private_segment_wavefront_offset 0
		.amdhsa_system_sgpr_workgroup_id_x 1
		.amdhsa_system_sgpr_workgroup_id_y 0
		.amdhsa_system_sgpr_workgroup_id_z 0
		.amdhsa_system_sgpr_workgroup_info 0
		.amdhsa_system_vgpr_workitem_id 0
		.amdhsa_next_free_vgpr 1
		.amdhsa_next_free_sgpr 0
		.amdhsa_accum_offset 4
		.amdhsa_reserve_vcc 0
		.amdhsa_reserve_flat_scratch 0
		.amdhsa_float_round_mode_32 0
		.amdhsa_float_round_mode_16_64 0
		.amdhsa_float_denorm_mode_32 3
		.amdhsa_float_denorm_mode_16_64 3
		.amdhsa_dx10_clamp 1
		.amdhsa_ieee_mode 1
		.amdhsa_fp16_overflow 0
		.amdhsa_tg_split 0
		.amdhsa_exception_fp_ieee_invalid_op 0
		.amdhsa_exception_fp_denorm_src 0
		.amdhsa_exception_fp_ieee_div_zero 0
		.amdhsa_exception_fp_ieee_overflow 0
		.amdhsa_exception_fp_ieee_underflow 0
		.amdhsa_exception_fp_ieee_inexact 0
		.amdhsa_exception_int_div_zero 0
	.end_amdhsa_kernel
	.section	.text._ZN7rocprim17ROCPRIM_400000_NS6detail17trampoline_kernelINS0_14default_configENS1_25transform_config_selectorIfLb0EEEZNS1_14transform_implILb0ES3_S5_NS0_18transform_iteratorINS0_17counting_iteratorImlEEZNS1_24adjacent_difference_implIS3_Lb1ELb0EPfN6thrust23THRUST_200600_302600_NS16discard_iteratorINSD_11use_defaultEEENSD_5minusIfEEEE10hipError_tPvRmT2_T3_mT4_P12ihipStream_tbEUlmE_fEESB_NS0_8identityIvEEEESJ_SM_SN_mSO_SQ_bEUlT_E_NS1_11comp_targetILNS1_3genE9ELNS1_11target_archE1100ELNS1_3gpuE3ELNS1_3repE0EEENS1_30default_config_static_selectorELNS0_4arch9wavefront6targetE1EEEvT1_,"axG",@progbits,_ZN7rocprim17ROCPRIM_400000_NS6detail17trampoline_kernelINS0_14default_configENS1_25transform_config_selectorIfLb0EEEZNS1_14transform_implILb0ES3_S5_NS0_18transform_iteratorINS0_17counting_iteratorImlEEZNS1_24adjacent_difference_implIS3_Lb1ELb0EPfN6thrust23THRUST_200600_302600_NS16discard_iteratorINSD_11use_defaultEEENSD_5minusIfEEEE10hipError_tPvRmT2_T3_mT4_P12ihipStream_tbEUlmE_fEESB_NS0_8identityIvEEEESJ_SM_SN_mSO_SQ_bEUlT_E_NS1_11comp_targetILNS1_3genE9ELNS1_11target_archE1100ELNS1_3gpuE3ELNS1_3repE0EEENS1_30default_config_static_selectorELNS0_4arch9wavefront6targetE1EEEvT1_,comdat
.Lfunc_end775:
	.size	_ZN7rocprim17ROCPRIM_400000_NS6detail17trampoline_kernelINS0_14default_configENS1_25transform_config_selectorIfLb0EEEZNS1_14transform_implILb0ES3_S5_NS0_18transform_iteratorINS0_17counting_iteratorImlEEZNS1_24adjacent_difference_implIS3_Lb1ELb0EPfN6thrust23THRUST_200600_302600_NS16discard_iteratorINSD_11use_defaultEEENSD_5minusIfEEEE10hipError_tPvRmT2_T3_mT4_P12ihipStream_tbEUlmE_fEESB_NS0_8identityIvEEEESJ_SM_SN_mSO_SQ_bEUlT_E_NS1_11comp_targetILNS1_3genE9ELNS1_11target_archE1100ELNS1_3gpuE3ELNS1_3repE0EEENS1_30default_config_static_selectorELNS0_4arch9wavefront6targetE1EEEvT1_, .Lfunc_end775-_ZN7rocprim17ROCPRIM_400000_NS6detail17trampoline_kernelINS0_14default_configENS1_25transform_config_selectorIfLb0EEEZNS1_14transform_implILb0ES3_S5_NS0_18transform_iteratorINS0_17counting_iteratorImlEEZNS1_24adjacent_difference_implIS3_Lb1ELb0EPfN6thrust23THRUST_200600_302600_NS16discard_iteratorINSD_11use_defaultEEENSD_5minusIfEEEE10hipError_tPvRmT2_T3_mT4_P12ihipStream_tbEUlmE_fEESB_NS0_8identityIvEEEESJ_SM_SN_mSO_SQ_bEUlT_E_NS1_11comp_targetILNS1_3genE9ELNS1_11target_archE1100ELNS1_3gpuE3ELNS1_3repE0EEENS1_30default_config_static_selectorELNS0_4arch9wavefront6targetE1EEEvT1_
                                        ; -- End function
	.section	.AMDGPU.csdata,"",@progbits
; Kernel info:
; codeLenInByte = 0
; NumSgprs: 4
; NumVgprs: 0
; NumAgprs: 0
; TotalNumVgprs: 0
; ScratchSize: 0
; MemoryBound: 0
; FloatMode: 240
; IeeeMode: 1
; LDSByteSize: 0 bytes/workgroup (compile time only)
; SGPRBlocks: 0
; VGPRBlocks: 0
; NumSGPRsForWavesPerEU: 4
; NumVGPRsForWavesPerEU: 1
; AccumOffset: 4
; Occupancy: 8
; WaveLimiterHint : 0
; COMPUTE_PGM_RSRC2:SCRATCH_EN: 0
; COMPUTE_PGM_RSRC2:USER_SGPR: 6
; COMPUTE_PGM_RSRC2:TRAP_HANDLER: 0
; COMPUTE_PGM_RSRC2:TGID_X_EN: 1
; COMPUTE_PGM_RSRC2:TGID_Y_EN: 0
; COMPUTE_PGM_RSRC2:TGID_Z_EN: 0
; COMPUTE_PGM_RSRC2:TIDIG_COMP_CNT: 0
; COMPUTE_PGM_RSRC3_GFX90A:ACCUM_OFFSET: 0
; COMPUTE_PGM_RSRC3_GFX90A:TG_SPLIT: 0
	.section	.text._ZN7rocprim17ROCPRIM_400000_NS6detail17trampoline_kernelINS0_14default_configENS1_25transform_config_selectorIfLb0EEEZNS1_14transform_implILb0ES3_S5_NS0_18transform_iteratorINS0_17counting_iteratorImlEEZNS1_24adjacent_difference_implIS3_Lb1ELb0EPfN6thrust23THRUST_200600_302600_NS16discard_iteratorINSD_11use_defaultEEENSD_5minusIfEEEE10hipError_tPvRmT2_T3_mT4_P12ihipStream_tbEUlmE_fEESB_NS0_8identityIvEEEESJ_SM_SN_mSO_SQ_bEUlT_E_NS1_11comp_targetILNS1_3genE8ELNS1_11target_archE1030ELNS1_3gpuE2ELNS1_3repE0EEENS1_30default_config_static_selectorELNS0_4arch9wavefront6targetE1EEEvT1_,"axG",@progbits,_ZN7rocprim17ROCPRIM_400000_NS6detail17trampoline_kernelINS0_14default_configENS1_25transform_config_selectorIfLb0EEEZNS1_14transform_implILb0ES3_S5_NS0_18transform_iteratorINS0_17counting_iteratorImlEEZNS1_24adjacent_difference_implIS3_Lb1ELb0EPfN6thrust23THRUST_200600_302600_NS16discard_iteratorINSD_11use_defaultEEENSD_5minusIfEEEE10hipError_tPvRmT2_T3_mT4_P12ihipStream_tbEUlmE_fEESB_NS0_8identityIvEEEESJ_SM_SN_mSO_SQ_bEUlT_E_NS1_11comp_targetILNS1_3genE8ELNS1_11target_archE1030ELNS1_3gpuE2ELNS1_3repE0EEENS1_30default_config_static_selectorELNS0_4arch9wavefront6targetE1EEEvT1_,comdat
	.protected	_ZN7rocprim17ROCPRIM_400000_NS6detail17trampoline_kernelINS0_14default_configENS1_25transform_config_selectorIfLb0EEEZNS1_14transform_implILb0ES3_S5_NS0_18transform_iteratorINS0_17counting_iteratorImlEEZNS1_24adjacent_difference_implIS3_Lb1ELb0EPfN6thrust23THRUST_200600_302600_NS16discard_iteratorINSD_11use_defaultEEENSD_5minusIfEEEE10hipError_tPvRmT2_T3_mT4_P12ihipStream_tbEUlmE_fEESB_NS0_8identityIvEEEESJ_SM_SN_mSO_SQ_bEUlT_E_NS1_11comp_targetILNS1_3genE8ELNS1_11target_archE1030ELNS1_3gpuE2ELNS1_3repE0EEENS1_30default_config_static_selectorELNS0_4arch9wavefront6targetE1EEEvT1_ ; -- Begin function _ZN7rocprim17ROCPRIM_400000_NS6detail17trampoline_kernelINS0_14default_configENS1_25transform_config_selectorIfLb0EEEZNS1_14transform_implILb0ES3_S5_NS0_18transform_iteratorINS0_17counting_iteratorImlEEZNS1_24adjacent_difference_implIS3_Lb1ELb0EPfN6thrust23THRUST_200600_302600_NS16discard_iteratorINSD_11use_defaultEEENSD_5minusIfEEEE10hipError_tPvRmT2_T3_mT4_P12ihipStream_tbEUlmE_fEESB_NS0_8identityIvEEEESJ_SM_SN_mSO_SQ_bEUlT_E_NS1_11comp_targetILNS1_3genE8ELNS1_11target_archE1030ELNS1_3gpuE2ELNS1_3repE0EEENS1_30default_config_static_selectorELNS0_4arch9wavefront6targetE1EEEvT1_
	.globl	_ZN7rocprim17ROCPRIM_400000_NS6detail17trampoline_kernelINS0_14default_configENS1_25transform_config_selectorIfLb0EEEZNS1_14transform_implILb0ES3_S5_NS0_18transform_iteratorINS0_17counting_iteratorImlEEZNS1_24adjacent_difference_implIS3_Lb1ELb0EPfN6thrust23THRUST_200600_302600_NS16discard_iteratorINSD_11use_defaultEEENSD_5minusIfEEEE10hipError_tPvRmT2_T3_mT4_P12ihipStream_tbEUlmE_fEESB_NS0_8identityIvEEEESJ_SM_SN_mSO_SQ_bEUlT_E_NS1_11comp_targetILNS1_3genE8ELNS1_11target_archE1030ELNS1_3gpuE2ELNS1_3repE0EEENS1_30default_config_static_selectorELNS0_4arch9wavefront6targetE1EEEvT1_
	.p2align	8
	.type	_ZN7rocprim17ROCPRIM_400000_NS6detail17trampoline_kernelINS0_14default_configENS1_25transform_config_selectorIfLb0EEEZNS1_14transform_implILb0ES3_S5_NS0_18transform_iteratorINS0_17counting_iteratorImlEEZNS1_24adjacent_difference_implIS3_Lb1ELb0EPfN6thrust23THRUST_200600_302600_NS16discard_iteratorINSD_11use_defaultEEENSD_5minusIfEEEE10hipError_tPvRmT2_T3_mT4_P12ihipStream_tbEUlmE_fEESB_NS0_8identityIvEEEESJ_SM_SN_mSO_SQ_bEUlT_E_NS1_11comp_targetILNS1_3genE8ELNS1_11target_archE1030ELNS1_3gpuE2ELNS1_3repE0EEENS1_30default_config_static_selectorELNS0_4arch9wavefront6targetE1EEEvT1_,@function
_ZN7rocprim17ROCPRIM_400000_NS6detail17trampoline_kernelINS0_14default_configENS1_25transform_config_selectorIfLb0EEEZNS1_14transform_implILb0ES3_S5_NS0_18transform_iteratorINS0_17counting_iteratorImlEEZNS1_24adjacent_difference_implIS3_Lb1ELb0EPfN6thrust23THRUST_200600_302600_NS16discard_iteratorINSD_11use_defaultEEENSD_5minusIfEEEE10hipError_tPvRmT2_T3_mT4_P12ihipStream_tbEUlmE_fEESB_NS0_8identityIvEEEESJ_SM_SN_mSO_SQ_bEUlT_E_NS1_11comp_targetILNS1_3genE8ELNS1_11target_archE1030ELNS1_3gpuE2ELNS1_3repE0EEENS1_30default_config_static_selectorELNS0_4arch9wavefront6targetE1EEEvT1_: ; @_ZN7rocprim17ROCPRIM_400000_NS6detail17trampoline_kernelINS0_14default_configENS1_25transform_config_selectorIfLb0EEEZNS1_14transform_implILb0ES3_S5_NS0_18transform_iteratorINS0_17counting_iteratorImlEEZNS1_24adjacent_difference_implIS3_Lb1ELb0EPfN6thrust23THRUST_200600_302600_NS16discard_iteratorINSD_11use_defaultEEENSD_5minusIfEEEE10hipError_tPvRmT2_T3_mT4_P12ihipStream_tbEUlmE_fEESB_NS0_8identityIvEEEESJ_SM_SN_mSO_SQ_bEUlT_E_NS1_11comp_targetILNS1_3genE8ELNS1_11target_archE1030ELNS1_3gpuE2ELNS1_3repE0EEENS1_30default_config_static_selectorELNS0_4arch9wavefront6targetE1EEEvT1_
; %bb.0:
	.section	.rodata,"a",@progbits
	.p2align	6, 0x0
	.amdhsa_kernel _ZN7rocprim17ROCPRIM_400000_NS6detail17trampoline_kernelINS0_14default_configENS1_25transform_config_selectorIfLb0EEEZNS1_14transform_implILb0ES3_S5_NS0_18transform_iteratorINS0_17counting_iteratorImlEEZNS1_24adjacent_difference_implIS3_Lb1ELb0EPfN6thrust23THRUST_200600_302600_NS16discard_iteratorINSD_11use_defaultEEENSD_5minusIfEEEE10hipError_tPvRmT2_T3_mT4_P12ihipStream_tbEUlmE_fEESB_NS0_8identityIvEEEESJ_SM_SN_mSO_SQ_bEUlT_E_NS1_11comp_targetILNS1_3genE8ELNS1_11target_archE1030ELNS1_3gpuE2ELNS1_3repE0EEENS1_30default_config_static_selectorELNS0_4arch9wavefront6targetE1EEEvT1_
		.amdhsa_group_segment_fixed_size 0
		.amdhsa_private_segment_fixed_size 0
		.amdhsa_kernarg_size 56
		.amdhsa_user_sgpr_count 6
		.amdhsa_user_sgpr_private_segment_buffer 1
		.amdhsa_user_sgpr_dispatch_ptr 0
		.amdhsa_user_sgpr_queue_ptr 0
		.amdhsa_user_sgpr_kernarg_segment_ptr 1
		.amdhsa_user_sgpr_dispatch_id 0
		.amdhsa_user_sgpr_flat_scratch_init 0
		.amdhsa_user_sgpr_kernarg_preload_length 0
		.amdhsa_user_sgpr_kernarg_preload_offset 0
		.amdhsa_user_sgpr_private_segment_size 0
		.amdhsa_uses_dynamic_stack 0
		.amdhsa_system_sgpr_private_segment_wavefront_offset 0
		.amdhsa_system_sgpr_workgroup_id_x 1
		.amdhsa_system_sgpr_workgroup_id_y 0
		.amdhsa_system_sgpr_workgroup_id_z 0
		.amdhsa_system_sgpr_workgroup_info 0
		.amdhsa_system_vgpr_workitem_id 0
		.amdhsa_next_free_vgpr 1
		.amdhsa_next_free_sgpr 0
		.amdhsa_accum_offset 4
		.amdhsa_reserve_vcc 0
		.amdhsa_reserve_flat_scratch 0
		.amdhsa_float_round_mode_32 0
		.amdhsa_float_round_mode_16_64 0
		.amdhsa_float_denorm_mode_32 3
		.amdhsa_float_denorm_mode_16_64 3
		.amdhsa_dx10_clamp 1
		.amdhsa_ieee_mode 1
		.amdhsa_fp16_overflow 0
		.amdhsa_tg_split 0
		.amdhsa_exception_fp_ieee_invalid_op 0
		.amdhsa_exception_fp_denorm_src 0
		.amdhsa_exception_fp_ieee_div_zero 0
		.amdhsa_exception_fp_ieee_overflow 0
		.amdhsa_exception_fp_ieee_underflow 0
		.amdhsa_exception_fp_ieee_inexact 0
		.amdhsa_exception_int_div_zero 0
	.end_amdhsa_kernel
	.section	.text._ZN7rocprim17ROCPRIM_400000_NS6detail17trampoline_kernelINS0_14default_configENS1_25transform_config_selectorIfLb0EEEZNS1_14transform_implILb0ES3_S5_NS0_18transform_iteratorINS0_17counting_iteratorImlEEZNS1_24adjacent_difference_implIS3_Lb1ELb0EPfN6thrust23THRUST_200600_302600_NS16discard_iteratorINSD_11use_defaultEEENSD_5minusIfEEEE10hipError_tPvRmT2_T3_mT4_P12ihipStream_tbEUlmE_fEESB_NS0_8identityIvEEEESJ_SM_SN_mSO_SQ_bEUlT_E_NS1_11comp_targetILNS1_3genE8ELNS1_11target_archE1030ELNS1_3gpuE2ELNS1_3repE0EEENS1_30default_config_static_selectorELNS0_4arch9wavefront6targetE1EEEvT1_,"axG",@progbits,_ZN7rocprim17ROCPRIM_400000_NS6detail17trampoline_kernelINS0_14default_configENS1_25transform_config_selectorIfLb0EEEZNS1_14transform_implILb0ES3_S5_NS0_18transform_iteratorINS0_17counting_iteratorImlEEZNS1_24adjacent_difference_implIS3_Lb1ELb0EPfN6thrust23THRUST_200600_302600_NS16discard_iteratorINSD_11use_defaultEEENSD_5minusIfEEEE10hipError_tPvRmT2_T3_mT4_P12ihipStream_tbEUlmE_fEESB_NS0_8identityIvEEEESJ_SM_SN_mSO_SQ_bEUlT_E_NS1_11comp_targetILNS1_3genE8ELNS1_11target_archE1030ELNS1_3gpuE2ELNS1_3repE0EEENS1_30default_config_static_selectorELNS0_4arch9wavefront6targetE1EEEvT1_,comdat
.Lfunc_end776:
	.size	_ZN7rocprim17ROCPRIM_400000_NS6detail17trampoline_kernelINS0_14default_configENS1_25transform_config_selectorIfLb0EEEZNS1_14transform_implILb0ES3_S5_NS0_18transform_iteratorINS0_17counting_iteratorImlEEZNS1_24adjacent_difference_implIS3_Lb1ELb0EPfN6thrust23THRUST_200600_302600_NS16discard_iteratorINSD_11use_defaultEEENSD_5minusIfEEEE10hipError_tPvRmT2_T3_mT4_P12ihipStream_tbEUlmE_fEESB_NS0_8identityIvEEEESJ_SM_SN_mSO_SQ_bEUlT_E_NS1_11comp_targetILNS1_3genE8ELNS1_11target_archE1030ELNS1_3gpuE2ELNS1_3repE0EEENS1_30default_config_static_selectorELNS0_4arch9wavefront6targetE1EEEvT1_, .Lfunc_end776-_ZN7rocprim17ROCPRIM_400000_NS6detail17trampoline_kernelINS0_14default_configENS1_25transform_config_selectorIfLb0EEEZNS1_14transform_implILb0ES3_S5_NS0_18transform_iteratorINS0_17counting_iteratorImlEEZNS1_24adjacent_difference_implIS3_Lb1ELb0EPfN6thrust23THRUST_200600_302600_NS16discard_iteratorINSD_11use_defaultEEENSD_5minusIfEEEE10hipError_tPvRmT2_T3_mT4_P12ihipStream_tbEUlmE_fEESB_NS0_8identityIvEEEESJ_SM_SN_mSO_SQ_bEUlT_E_NS1_11comp_targetILNS1_3genE8ELNS1_11target_archE1030ELNS1_3gpuE2ELNS1_3repE0EEENS1_30default_config_static_selectorELNS0_4arch9wavefront6targetE1EEEvT1_
                                        ; -- End function
	.section	.AMDGPU.csdata,"",@progbits
; Kernel info:
; codeLenInByte = 0
; NumSgprs: 4
; NumVgprs: 0
; NumAgprs: 0
; TotalNumVgprs: 0
; ScratchSize: 0
; MemoryBound: 0
; FloatMode: 240
; IeeeMode: 1
; LDSByteSize: 0 bytes/workgroup (compile time only)
; SGPRBlocks: 0
; VGPRBlocks: 0
; NumSGPRsForWavesPerEU: 4
; NumVGPRsForWavesPerEU: 1
; AccumOffset: 4
; Occupancy: 8
; WaveLimiterHint : 0
; COMPUTE_PGM_RSRC2:SCRATCH_EN: 0
; COMPUTE_PGM_RSRC2:USER_SGPR: 6
; COMPUTE_PGM_RSRC2:TRAP_HANDLER: 0
; COMPUTE_PGM_RSRC2:TGID_X_EN: 1
; COMPUTE_PGM_RSRC2:TGID_Y_EN: 0
; COMPUTE_PGM_RSRC2:TGID_Z_EN: 0
; COMPUTE_PGM_RSRC2:TIDIG_COMP_CNT: 0
; COMPUTE_PGM_RSRC3_GFX90A:ACCUM_OFFSET: 0
; COMPUTE_PGM_RSRC3_GFX90A:TG_SPLIT: 0
	.section	.text._ZN7rocprim17ROCPRIM_400000_NS6detail17trampoline_kernelINS0_14default_configENS1_35adjacent_difference_config_selectorILb1EfEEZNS1_24adjacent_difference_implIS3_Lb1ELb0EPfN6thrust23THRUST_200600_302600_NS16discard_iteratorINS9_11use_defaultEEENS9_5minusIfEEEE10hipError_tPvRmT2_T3_mT4_P12ihipStream_tbEUlT_E_NS1_11comp_targetILNS1_3genE0ELNS1_11target_archE4294967295ELNS1_3gpuE0ELNS1_3repE0EEENS1_30default_config_static_selectorELNS0_4arch9wavefront6targetE1EEEvT1_,"axG",@progbits,_ZN7rocprim17ROCPRIM_400000_NS6detail17trampoline_kernelINS0_14default_configENS1_35adjacent_difference_config_selectorILb1EfEEZNS1_24adjacent_difference_implIS3_Lb1ELb0EPfN6thrust23THRUST_200600_302600_NS16discard_iteratorINS9_11use_defaultEEENS9_5minusIfEEEE10hipError_tPvRmT2_T3_mT4_P12ihipStream_tbEUlT_E_NS1_11comp_targetILNS1_3genE0ELNS1_11target_archE4294967295ELNS1_3gpuE0ELNS1_3repE0EEENS1_30default_config_static_selectorELNS0_4arch9wavefront6targetE1EEEvT1_,comdat
	.protected	_ZN7rocprim17ROCPRIM_400000_NS6detail17trampoline_kernelINS0_14default_configENS1_35adjacent_difference_config_selectorILb1EfEEZNS1_24adjacent_difference_implIS3_Lb1ELb0EPfN6thrust23THRUST_200600_302600_NS16discard_iteratorINS9_11use_defaultEEENS9_5minusIfEEEE10hipError_tPvRmT2_T3_mT4_P12ihipStream_tbEUlT_E_NS1_11comp_targetILNS1_3genE0ELNS1_11target_archE4294967295ELNS1_3gpuE0ELNS1_3repE0EEENS1_30default_config_static_selectorELNS0_4arch9wavefront6targetE1EEEvT1_ ; -- Begin function _ZN7rocprim17ROCPRIM_400000_NS6detail17trampoline_kernelINS0_14default_configENS1_35adjacent_difference_config_selectorILb1EfEEZNS1_24adjacent_difference_implIS3_Lb1ELb0EPfN6thrust23THRUST_200600_302600_NS16discard_iteratorINS9_11use_defaultEEENS9_5minusIfEEEE10hipError_tPvRmT2_T3_mT4_P12ihipStream_tbEUlT_E_NS1_11comp_targetILNS1_3genE0ELNS1_11target_archE4294967295ELNS1_3gpuE0ELNS1_3repE0EEENS1_30default_config_static_selectorELNS0_4arch9wavefront6targetE1EEEvT1_
	.globl	_ZN7rocprim17ROCPRIM_400000_NS6detail17trampoline_kernelINS0_14default_configENS1_35adjacent_difference_config_selectorILb1EfEEZNS1_24adjacent_difference_implIS3_Lb1ELb0EPfN6thrust23THRUST_200600_302600_NS16discard_iteratorINS9_11use_defaultEEENS9_5minusIfEEEE10hipError_tPvRmT2_T3_mT4_P12ihipStream_tbEUlT_E_NS1_11comp_targetILNS1_3genE0ELNS1_11target_archE4294967295ELNS1_3gpuE0ELNS1_3repE0EEENS1_30default_config_static_selectorELNS0_4arch9wavefront6targetE1EEEvT1_
	.p2align	8
	.type	_ZN7rocprim17ROCPRIM_400000_NS6detail17trampoline_kernelINS0_14default_configENS1_35adjacent_difference_config_selectorILb1EfEEZNS1_24adjacent_difference_implIS3_Lb1ELb0EPfN6thrust23THRUST_200600_302600_NS16discard_iteratorINS9_11use_defaultEEENS9_5minusIfEEEE10hipError_tPvRmT2_T3_mT4_P12ihipStream_tbEUlT_E_NS1_11comp_targetILNS1_3genE0ELNS1_11target_archE4294967295ELNS1_3gpuE0ELNS1_3repE0EEENS1_30default_config_static_selectorELNS0_4arch9wavefront6targetE1EEEvT1_,@function
_ZN7rocprim17ROCPRIM_400000_NS6detail17trampoline_kernelINS0_14default_configENS1_35adjacent_difference_config_selectorILb1EfEEZNS1_24adjacent_difference_implIS3_Lb1ELb0EPfN6thrust23THRUST_200600_302600_NS16discard_iteratorINS9_11use_defaultEEENS9_5minusIfEEEE10hipError_tPvRmT2_T3_mT4_P12ihipStream_tbEUlT_E_NS1_11comp_targetILNS1_3genE0ELNS1_11target_archE4294967295ELNS1_3gpuE0ELNS1_3repE0EEENS1_30default_config_static_selectorELNS0_4arch9wavefront6targetE1EEEvT1_: ; @_ZN7rocprim17ROCPRIM_400000_NS6detail17trampoline_kernelINS0_14default_configENS1_35adjacent_difference_config_selectorILb1EfEEZNS1_24adjacent_difference_implIS3_Lb1ELb0EPfN6thrust23THRUST_200600_302600_NS16discard_iteratorINS9_11use_defaultEEENS9_5minusIfEEEE10hipError_tPvRmT2_T3_mT4_P12ihipStream_tbEUlT_E_NS1_11comp_targetILNS1_3genE0ELNS1_11target_archE4294967295ELNS1_3gpuE0ELNS1_3repE0EEENS1_30default_config_static_selectorELNS0_4arch9wavefront6targetE1EEEvT1_
; %bb.0:
	.section	.rodata,"a",@progbits
	.p2align	6, 0x0
	.amdhsa_kernel _ZN7rocprim17ROCPRIM_400000_NS6detail17trampoline_kernelINS0_14default_configENS1_35adjacent_difference_config_selectorILb1EfEEZNS1_24adjacent_difference_implIS3_Lb1ELb0EPfN6thrust23THRUST_200600_302600_NS16discard_iteratorINS9_11use_defaultEEENS9_5minusIfEEEE10hipError_tPvRmT2_T3_mT4_P12ihipStream_tbEUlT_E_NS1_11comp_targetILNS1_3genE0ELNS1_11target_archE4294967295ELNS1_3gpuE0ELNS1_3repE0EEENS1_30default_config_static_selectorELNS0_4arch9wavefront6targetE1EEEvT1_
		.amdhsa_group_segment_fixed_size 0
		.amdhsa_private_segment_fixed_size 0
		.amdhsa_kernarg_size 64
		.amdhsa_user_sgpr_count 6
		.amdhsa_user_sgpr_private_segment_buffer 1
		.amdhsa_user_sgpr_dispatch_ptr 0
		.amdhsa_user_sgpr_queue_ptr 0
		.amdhsa_user_sgpr_kernarg_segment_ptr 1
		.amdhsa_user_sgpr_dispatch_id 0
		.amdhsa_user_sgpr_flat_scratch_init 0
		.amdhsa_user_sgpr_kernarg_preload_length 0
		.amdhsa_user_sgpr_kernarg_preload_offset 0
		.amdhsa_user_sgpr_private_segment_size 0
		.amdhsa_uses_dynamic_stack 0
		.amdhsa_system_sgpr_private_segment_wavefront_offset 0
		.amdhsa_system_sgpr_workgroup_id_x 1
		.amdhsa_system_sgpr_workgroup_id_y 0
		.amdhsa_system_sgpr_workgroup_id_z 0
		.amdhsa_system_sgpr_workgroup_info 0
		.amdhsa_system_vgpr_workitem_id 0
		.amdhsa_next_free_vgpr 1
		.amdhsa_next_free_sgpr 0
		.amdhsa_accum_offset 4
		.amdhsa_reserve_vcc 0
		.amdhsa_reserve_flat_scratch 0
		.amdhsa_float_round_mode_32 0
		.amdhsa_float_round_mode_16_64 0
		.amdhsa_float_denorm_mode_32 3
		.amdhsa_float_denorm_mode_16_64 3
		.amdhsa_dx10_clamp 1
		.amdhsa_ieee_mode 1
		.amdhsa_fp16_overflow 0
		.amdhsa_tg_split 0
		.amdhsa_exception_fp_ieee_invalid_op 0
		.amdhsa_exception_fp_denorm_src 0
		.amdhsa_exception_fp_ieee_div_zero 0
		.amdhsa_exception_fp_ieee_overflow 0
		.amdhsa_exception_fp_ieee_underflow 0
		.amdhsa_exception_fp_ieee_inexact 0
		.amdhsa_exception_int_div_zero 0
	.end_amdhsa_kernel
	.section	.text._ZN7rocprim17ROCPRIM_400000_NS6detail17trampoline_kernelINS0_14default_configENS1_35adjacent_difference_config_selectorILb1EfEEZNS1_24adjacent_difference_implIS3_Lb1ELb0EPfN6thrust23THRUST_200600_302600_NS16discard_iteratorINS9_11use_defaultEEENS9_5minusIfEEEE10hipError_tPvRmT2_T3_mT4_P12ihipStream_tbEUlT_E_NS1_11comp_targetILNS1_3genE0ELNS1_11target_archE4294967295ELNS1_3gpuE0ELNS1_3repE0EEENS1_30default_config_static_selectorELNS0_4arch9wavefront6targetE1EEEvT1_,"axG",@progbits,_ZN7rocprim17ROCPRIM_400000_NS6detail17trampoline_kernelINS0_14default_configENS1_35adjacent_difference_config_selectorILb1EfEEZNS1_24adjacent_difference_implIS3_Lb1ELb0EPfN6thrust23THRUST_200600_302600_NS16discard_iteratorINS9_11use_defaultEEENS9_5minusIfEEEE10hipError_tPvRmT2_T3_mT4_P12ihipStream_tbEUlT_E_NS1_11comp_targetILNS1_3genE0ELNS1_11target_archE4294967295ELNS1_3gpuE0ELNS1_3repE0EEENS1_30default_config_static_selectorELNS0_4arch9wavefront6targetE1EEEvT1_,comdat
.Lfunc_end777:
	.size	_ZN7rocprim17ROCPRIM_400000_NS6detail17trampoline_kernelINS0_14default_configENS1_35adjacent_difference_config_selectorILb1EfEEZNS1_24adjacent_difference_implIS3_Lb1ELb0EPfN6thrust23THRUST_200600_302600_NS16discard_iteratorINS9_11use_defaultEEENS9_5minusIfEEEE10hipError_tPvRmT2_T3_mT4_P12ihipStream_tbEUlT_E_NS1_11comp_targetILNS1_3genE0ELNS1_11target_archE4294967295ELNS1_3gpuE0ELNS1_3repE0EEENS1_30default_config_static_selectorELNS0_4arch9wavefront6targetE1EEEvT1_, .Lfunc_end777-_ZN7rocprim17ROCPRIM_400000_NS6detail17trampoline_kernelINS0_14default_configENS1_35adjacent_difference_config_selectorILb1EfEEZNS1_24adjacent_difference_implIS3_Lb1ELb0EPfN6thrust23THRUST_200600_302600_NS16discard_iteratorINS9_11use_defaultEEENS9_5minusIfEEEE10hipError_tPvRmT2_T3_mT4_P12ihipStream_tbEUlT_E_NS1_11comp_targetILNS1_3genE0ELNS1_11target_archE4294967295ELNS1_3gpuE0ELNS1_3repE0EEENS1_30default_config_static_selectorELNS0_4arch9wavefront6targetE1EEEvT1_
                                        ; -- End function
	.section	.AMDGPU.csdata,"",@progbits
; Kernel info:
; codeLenInByte = 0
; NumSgprs: 4
; NumVgprs: 0
; NumAgprs: 0
; TotalNumVgprs: 0
; ScratchSize: 0
; MemoryBound: 0
; FloatMode: 240
; IeeeMode: 1
; LDSByteSize: 0 bytes/workgroup (compile time only)
; SGPRBlocks: 0
; VGPRBlocks: 0
; NumSGPRsForWavesPerEU: 4
; NumVGPRsForWavesPerEU: 1
; AccumOffset: 4
; Occupancy: 8
; WaveLimiterHint : 0
; COMPUTE_PGM_RSRC2:SCRATCH_EN: 0
; COMPUTE_PGM_RSRC2:USER_SGPR: 6
; COMPUTE_PGM_RSRC2:TRAP_HANDLER: 0
; COMPUTE_PGM_RSRC2:TGID_X_EN: 1
; COMPUTE_PGM_RSRC2:TGID_Y_EN: 0
; COMPUTE_PGM_RSRC2:TGID_Z_EN: 0
; COMPUTE_PGM_RSRC2:TIDIG_COMP_CNT: 0
; COMPUTE_PGM_RSRC3_GFX90A:ACCUM_OFFSET: 0
; COMPUTE_PGM_RSRC3_GFX90A:TG_SPLIT: 0
	.section	.text._ZN7rocprim17ROCPRIM_400000_NS6detail17trampoline_kernelINS0_14default_configENS1_35adjacent_difference_config_selectorILb1EfEEZNS1_24adjacent_difference_implIS3_Lb1ELb0EPfN6thrust23THRUST_200600_302600_NS16discard_iteratorINS9_11use_defaultEEENS9_5minusIfEEEE10hipError_tPvRmT2_T3_mT4_P12ihipStream_tbEUlT_E_NS1_11comp_targetILNS1_3genE10ELNS1_11target_archE1201ELNS1_3gpuE5ELNS1_3repE0EEENS1_30default_config_static_selectorELNS0_4arch9wavefront6targetE1EEEvT1_,"axG",@progbits,_ZN7rocprim17ROCPRIM_400000_NS6detail17trampoline_kernelINS0_14default_configENS1_35adjacent_difference_config_selectorILb1EfEEZNS1_24adjacent_difference_implIS3_Lb1ELb0EPfN6thrust23THRUST_200600_302600_NS16discard_iteratorINS9_11use_defaultEEENS9_5minusIfEEEE10hipError_tPvRmT2_T3_mT4_P12ihipStream_tbEUlT_E_NS1_11comp_targetILNS1_3genE10ELNS1_11target_archE1201ELNS1_3gpuE5ELNS1_3repE0EEENS1_30default_config_static_selectorELNS0_4arch9wavefront6targetE1EEEvT1_,comdat
	.protected	_ZN7rocprim17ROCPRIM_400000_NS6detail17trampoline_kernelINS0_14default_configENS1_35adjacent_difference_config_selectorILb1EfEEZNS1_24adjacent_difference_implIS3_Lb1ELb0EPfN6thrust23THRUST_200600_302600_NS16discard_iteratorINS9_11use_defaultEEENS9_5minusIfEEEE10hipError_tPvRmT2_T3_mT4_P12ihipStream_tbEUlT_E_NS1_11comp_targetILNS1_3genE10ELNS1_11target_archE1201ELNS1_3gpuE5ELNS1_3repE0EEENS1_30default_config_static_selectorELNS0_4arch9wavefront6targetE1EEEvT1_ ; -- Begin function _ZN7rocprim17ROCPRIM_400000_NS6detail17trampoline_kernelINS0_14default_configENS1_35adjacent_difference_config_selectorILb1EfEEZNS1_24adjacent_difference_implIS3_Lb1ELb0EPfN6thrust23THRUST_200600_302600_NS16discard_iteratorINS9_11use_defaultEEENS9_5minusIfEEEE10hipError_tPvRmT2_T3_mT4_P12ihipStream_tbEUlT_E_NS1_11comp_targetILNS1_3genE10ELNS1_11target_archE1201ELNS1_3gpuE5ELNS1_3repE0EEENS1_30default_config_static_selectorELNS0_4arch9wavefront6targetE1EEEvT1_
	.globl	_ZN7rocprim17ROCPRIM_400000_NS6detail17trampoline_kernelINS0_14default_configENS1_35adjacent_difference_config_selectorILb1EfEEZNS1_24adjacent_difference_implIS3_Lb1ELb0EPfN6thrust23THRUST_200600_302600_NS16discard_iteratorINS9_11use_defaultEEENS9_5minusIfEEEE10hipError_tPvRmT2_T3_mT4_P12ihipStream_tbEUlT_E_NS1_11comp_targetILNS1_3genE10ELNS1_11target_archE1201ELNS1_3gpuE5ELNS1_3repE0EEENS1_30default_config_static_selectorELNS0_4arch9wavefront6targetE1EEEvT1_
	.p2align	8
	.type	_ZN7rocprim17ROCPRIM_400000_NS6detail17trampoline_kernelINS0_14default_configENS1_35adjacent_difference_config_selectorILb1EfEEZNS1_24adjacent_difference_implIS3_Lb1ELb0EPfN6thrust23THRUST_200600_302600_NS16discard_iteratorINS9_11use_defaultEEENS9_5minusIfEEEE10hipError_tPvRmT2_T3_mT4_P12ihipStream_tbEUlT_E_NS1_11comp_targetILNS1_3genE10ELNS1_11target_archE1201ELNS1_3gpuE5ELNS1_3repE0EEENS1_30default_config_static_selectorELNS0_4arch9wavefront6targetE1EEEvT1_,@function
_ZN7rocprim17ROCPRIM_400000_NS6detail17trampoline_kernelINS0_14default_configENS1_35adjacent_difference_config_selectorILb1EfEEZNS1_24adjacent_difference_implIS3_Lb1ELb0EPfN6thrust23THRUST_200600_302600_NS16discard_iteratorINS9_11use_defaultEEENS9_5minusIfEEEE10hipError_tPvRmT2_T3_mT4_P12ihipStream_tbEUlT_E_NS1_11comp_targetILNS1_3genE10ELNS1_11target_archE1201ELNS1_3gpuE5ELNS1_3repE0EEENS1_30default_config_static_selectorELNS0_4arch9wavefront6targetE1EEEvT1_: ; @_ZN7rocprim17ROCPRIM_400000_NS6detail17trampoline_kernelINS0_14default_configENS1_35adjacent_difference_config_selectorILb1EfEEZNS1_24adjacent_difference_implIS3_Lb1ELb0EPfN6thrust23THRUST_200600_302600_NS16discard_iteratorINS9_11use_defaultEEENS9_5minusIfEEEE10hipError_tPvRmT2_T3_mT4_P12ihipStream_tbEUlT_E_NS1_11comp_targetILNS1_3genE10ELNS1_11target_archE1201ELNS1_3gpuE5ELNS1_3repE0EEENS1_30default_config_static_selectorELNS0_4arch9wavefront6targetE1EEEvT1_
; %bb.0:
	.section	.rodata,"a",@progbits
	.p2align	6, 0x0
	.amdhsa_kernel _ZN7rocprim17ROCPRIM_400000_NS6detail17trampoline_kernelINS0_14default_configENS1_35adjacent_difference_config_selectorILb1EfEEZNS1_24adjacent_difference_implIS3_Lb1ELb0EPfN6thrust23THRUST_200600_302600_NS16discard_iteratorINS9_11use_defaultEEENS9_5minusIfEEEE10hipError_tPvRmT2_T3_mT4_P12ihipStream_tbEUlT_E_NS1_11comp_targetILNS1_3genE10ELNS1_11target_archE1201ELNS1_3gpuE5ELNS1_3repE0EEENS1_30default_config_static_selectorELNS0_4arch9wavefront6targetE1EEEvT1_
		.amdhsa_group_segment_fixed_size 0
		.amdhsa_private_segment_fixed_size 0
		.amdhsa_kernarg_size 64
		.amdhsa_user_sgpr_count 6
		.amdhsa_user_sgpr_private_segment_buffer 1
		.amdhsa_user_sgpr_dispatch_ptr 0
		.amdhsa_user_sgpr_queue_ptr 0
		.amdhsa_user_sgpr_kernarg_segment_ptr 1
		.amdhsa_user_sgpr_dispatch_id 0
		.amdhsa_user_sgpr_flat_scratch_init 0
		.amdhsa_user_sgpr_kernarg_preload_length 0
		.amdhsa_user_sgpr_kernarg_preload_offset 0
		.amdhsa_user_sgpr_private_segment_size 0
		.amdhsa_uses_dynamic_stack 0
		.amdhsa_system_sgpr_private_segment_wavefront_offset 0
		.amdhsa_system_sgpr_workgroup_id_x 1
		.amdhsa_system_sgpr_workgroup_id_y 0
		.amdhsa_system_sgpr_workgroup_id_z 0
		.amdhsa_system_sgpr_workgroup_info 0
		.amdhsa_system_vgpr_workitem_id 0
		.amdhsa_next_free_vgpr 1
		.amdhsa_next_free_sgpr 0
		.amdhsa_accum_offset 4
		.amdhsa_reserve_vcc 0
		.amdhsa_reserve_flat_scratch 0
		.amdhsa_float_round_mode_32 0
		.amdhsa_float_round_mode_16_64 0
		.amdhsa_float_denorm_mode_32 3
		.amdhsa_float_denorm_mode_16_64 3
		.amdhsa_dx10_clamp 1
		.amdhsa_ieee_mode 1
		.amdhsa_fp16_overflow 0
		.amdhsa_tg_split 0
		.amdhsa_exception_fp_ieee_invalid_op 0
		.amdhsa_exception_fp_denorm_src 0
		.amdhsa_exception_fp_ieee_div_zero 0
		.amdhsa_exception_fp_ieee_overflow 0
		.amdhsa_exception_fp_ieee_underflow 0
		.amdhsa_exception_fp_ieee_inexact 0
		.amdhsa_exception_int_div_zero 0
	.end_amdhsa_kernel
	.section	.text._ZN7rocprim17ROCPRIM_400000_NS6detail17trampoline_kernelINS0_14default_configENS1_35adjacent_difference_config_selectorILb1EfEEZNS1_24adjacent_difference_implIS3_Lb1ELb0EPfN6thrust23THRUST_200600_302600_NS16discard_iteratorINS9_11use_defaultEEENS9_5minusIfEEEE10hipError_tPvRmT2_T3_mT4_P12ihipStream_tbEUlT_E_NS1_11comp_targetILNS1_3genE10ELNS1_11target_archE1201ELNS1_3gpuE5ELNS1_3repE0EEENS1_30default_config_static_selectorELNS0_4arch9wavefront6targetE1EEEvT1_,"axG",@progbits,_ZN7rocprim17ROCPRIM_400000_NS6detail17trampoline_kernelINS0_14default_configENS1_35adjacent_difference_config_selectorILb1EfEEZNS1_24adjacent_difference_implIS3_Lb1ELb0EPfN6thrust23THRUST_200600_302600_NS16discard_iteratorINS9_11use_defaultEEENS9_5minusIfEEEE10hipError_tPvRmT2_T3_mT4_P12ihipStream_tbEUlT_E_NS1_11comp_targetILNS1_3genE10ELNS1_11target_archE1201ELNS1_3gpuE5ELNS1_3repE0EEENS1_30default_config_static_selectorELNS0_4arch9wavefront6targetE1EEEvT1_,comdat
.Lfunc_end778:
	.size	_ZN7rocprim17ROCPRIM_400000_NS6detail17trampoline_kernelINS0_14default_configENS1_35adjacent_difference_config_selectorILb1EfEEZNS1_24adjacent_difference_implIS3_Lb1ELb0EPfN6thrust23THRUST_200600_302600_NS16discard_iteratorINS9_11use_defaultEEENS9_5minusIfEEEE10hipError_tPvRmT2_T3_mT4_P12ihipStream_tbEUlT_E_NS1_11comp_targetILNS1_3genE10ELNS1_11target_archE1201ELNS1_3gpuE5ELNS1_3repE0EEENS1_30default_config_static_selectorELNS0_4arch9wavefront6targetE1EEEvT1_, .Lfunc_end778-_ZN7rocprim17ROCPRIM_400000_NS6detail17trampoline_kernelINS0_14default_configENS1_35adjacent_difference_config_selectorILb1EfEEZNS1_24adjacent_difference_implIS3_Lb1ELb0EPfN6thrust23THRUST_200600_302600_NS16discard_iteratorINS9_11use_defaultEEENS9_5minusIfEEEE10hipError_tPvRmT2_T3_mT4_P12ihipStream_tbEUlT_E_NS1_11comp_targetILNS1_3genE10ELNS1_11target_archE1201ELNS1_3gpuE5ELNS1_3repE0EEENS1_30default_config_static_selectorELNS0_4arch9wavefront6targetE1EEEvT1_
                                        ; -- End function
	.section	.AMDGPU.csdata,"",@progbits
; Kernel info:
; codeLenInByte = 0
; NumSgprs: 4
; NumVgprs: 0
; NumAgprs: 0
; TotalNumVgprs: 0
; ScratchSize: 0
; MemoryBound: 0
; FloatMode: 240
; IeeeMode: 1
; LDSByteSize: 0 bytes/workgroup (compile time only)
; SGPRBlocks: 0
; VGPRBlocks: 0
; NumSGPRsForWavesPerEU: 4
; NumVGPRsForWavesPerEU: 1
; AccumOffset: 4
; Occupancy: 8
; WaveLimiterHint : 0
; COMPUTE_PGM_RSRC2:SCRATCH_EN: 0
; COMPUTE_PGM_RSRC2:USER_SGPR: 6
; COMPUTE_PGM_RSRC2:TRAP_HANDLER: 0
; COMPUTE_PGM_RSRC2:TGID_X_EN: 1
; COMPUTE_PGM_RSRC2:TGID_Y_EN: 0
; COMPUTE_PGM_RSRC2:TGID_Z_EN: 0
; COMPUTE_PGM_RSRC2:TIDIG_COMP_CNT: 0
; COMPUTE_PGM_RSRC3_GFX90A:ACCUM_OFFSET: 0
; COMPUTE_PGM_RSRC3_GFX90A:TG_SPLIT: 0
	.section	.text._ZN7rocprim17ROCPRIM_400000_NS6detail17trampoline_kernelINS0_14default_configENS1_35adjacent_difference_config_selectorILb1EfEEZNS1_24adjacent_difference_implIS3_Lb1ELb0EPfN6thrust23THRUST_200600_302600_NS16discard_iteratorINS9_11use_defaultEEENS9_5minusIfEEEE10hipError_tPvRmT2_T3_mT4_P12ihipStream_tbEUlT_E_NS1_11comp_targetILNS1_3genE5ELNS1_11target_archE942ELNS1_3gpuE9ELNS1_3repE0EEENS1_30default_config_static_selectorELNS0_4arch9wavefront6targetE1EEEvT1_,"axG",@progbits,_ZN7rocprim17ROCPRIM_400000_NS6detail17trampoline_kernelINS0_14default_configENS1_35adjacent_difference_config_selectorILb1EfEEZNS1_24adjacent_difference_implIS3_Lb1ELb0EPfN6thrust23THRUST_200600_302600_NS16discard_iteratorINS9_11use_defaultEEENS9_5minusIfEEEE10hipError_tPvRmT2_T3_mT4_P12ihipStream_tbEUlT_E_NS1_11comp_targetILNS1_3genE5ELNS1_11target_archE942ELNS1_3gpuE9ELNS1_3repE0EEENS1_30default_config_static_selectorELNS0_4arch9wavefront6targetE1EEEvT1_,comdat
	.protected	_ZN7rocprim17ROCPRIM_400000_NS6detail17trampoline_kernelINS0_14default_configENS1_35adjacent_difference_config_selectorILb1EfEEZNS1_24adjacent_difference_implIS3_Lb1ELb0EPfN6thrust23THRUST_200600_302600_NS16discard_iteratorINS9_11use_defaultEEENS9_5minusIfEEEE10hipError_tPvRmT2_T3_mT4_P12ihipStream_tbEUlT_E_NS1_11comp_targetILNS1_3genE5ELNS1_11target_archE942ELNS1_3gpuE9ELNS1_3repE0EEENS1_30default_config_static_selectorELNS0_4arch9wavefront6targetE1EEEvT1_ ; -- Begin function _ZN7rocprim17ROCPRIM_400000_NS6detail17trampoline_kernelINS0_14default_configENS1_35adjacent_difference_config_selectorILb1EfEEZNS1_24adjacent_difference_implIS3_Lb1ELb0EPfN6thrust23THRUST_200600_302600_NS16discard_iteratorINS9_11use_defaultEEENS9_5minusIfEEEE10hipError_tPvRmT2_T3_mT4_P12ihipStream_tbEUlT_E_NS1_11comp_targetILNS1_3genE5ELNS1_11target_archE942ELNS1_3gpuE9ELNS1_3repE0EEENS1_30default_config_static_selectorELNS0_4arch9wavefront6targetE1EEEvT1_
	.globl	_ZN7rocprim17ROCPRIM_400000_NS6detail17trampoline_kernelINS0_14default_configENS1_35adjacent_difference_config_selectorILb1EfEEZNS1_24adjacent_difference_implIS3_Lb1ELb0EPfN6thrust23THRUST_200600_302600_NS16discard_iteratorINS9_11use_defaultEEENS9_5minusIfEEEE10hipError_tPvRmT2_T3_mT4_P12ihipStream_tbEUlT_E_NS1_11comp_targetILNS1_3genE5ELNS1_11target_archE942ELNS1_3gpuE9ELNS1_3repE0EEENS1_30default_config_static_selectorELNS0_4arch9wavefront6targetE1EEEvT1_
	.p2align	8
	.type	_ZN7rocprim17ROCPRIM_400000_NS6detail17trampoline_kernelINS0_14default_configENS1_35adjacent_difference_config_selectorILb1EfEEZNS1_24adjacent_difference_implIS3_Lb1ELb0EPfN6thrust23THRUST_200600_302600_NS16discard_iteratorINS9_11use_defaultEEENS9_5minusIfEEEE10hipError_tPvRmT2_T3_mT4_P12ihipStream_tbEUlT_E_NS1_11comp_targetILNS1_3genE5ELNS1_11target_archE942ELNS1_3gpuE9ELNS1_3repE0EEENS1_30default_config_static_selectorELNS0_4arch9wavefront6targetE1EEEvT1_,@function
_ZN7rocprim17ROCPRIM_400000_NS6detail17trampoline_kernelINS0_14default_configENS1_35adjacent_difference_config_selectorILb1EfEEZNS1_24adjacent_difference_implIS3_Lb1ELb0EPfN6thrust23THRUST_200600_302600_NS16discard_iteratorINS9_11use_defaultEEENS9_5minusIfEEEE10hipError_tPvRmT2_T3_mT4_P12ihipStream_tbEUlT_E_NS1_11comp_targetILNS1_3genE5ELNS1_11target_archE942ELNS1_3gpuE9ELNS1_3repE0EEENS1_30default_config_static_selectorELNS0_4arch9wavefront6targetE1EEEvT1_: ; @_ZN7rocprim17ROCPRIM_400000_NS6detail17trampoline_kernelINS0_14default_configENS1_35adjacent_difference_config_selectorILb1EfEEZNS1_24adjacent_difference_implIS3_Lb1ELb0EPfN6thrust23THRUST_200600_302600_NS16discard_iteratorINS9_11use_defaultEEENS9_5minusIfEEEE10hipError_tPvRmT2_T3_mT4_P12ihipStream_tbEUlT_E_NS1_11comp_targetILNS1_3genE5ELNS1_11target_archE942ELNS1_3gpuE9ELNS1_3repE0EEENS1_30default_config_static_selectorELNS0_4arch9wavefront6targetE1EEEvT1_
; %bb.0:
	.section	.rodata,"a",@progbits
	.p2align	6, 0x0
	.amdhsa_kernel _ZN7rocprim17ROCPRIM_400000_NS6detail17trampoline_kernelINS0_14default_configENS1_35adjacent_difference_config_selectorILb1EfEEZNS1_24adjacent_difference_implIS3_Lb1ELb0EPfN6thrust23THRUST_200600_302600_NS16discard_iteratorINS9_11use_defaultEEENS9_5minusIfEEEE10hipError_tPvRmT2_T3_mT4_P12ihipStream_tbEUlT_E_NS1_11comp_targetILNS1_3genE5ELNS1_11target_archE942ELNS1_3gpuE9ELNS1_3repE0EEENS1_30default_config_static_selectorELNS0_4arch9wavefront6targetE1EEEvT1_
		.amdhsa_group_segment_fixed_size 0
		.amdhsa_private_segment_fixed_size 0
		.amdhsa_kernarg_size 64
		.amdhsa_user_sgpr_count 6
		.amdhsa_user_sgpr_private_segment_buffer 1
		.amdhsa_user_sgpr_dispatch_ptr 0
		.amdhsa_user_sgpr_queue_ptr 0
		.amdhsa_user_sgpr_kernarg_segment_ptr 1
		.amdhsa_user_sgpr_dispatch_id 0
		.amdhsa_user_sgpr_flat_scratch_init 0
		.amdhsa_user_sgpr_kernarg_preload_length 0
		.amdhsa_user_sgpr_kernarg_preload_offset 0
		.amdhsa_user_sgpr_private_segment_size 0
		.amdhsa_uses_dynamic_stack 0
		.amdhsa_system_sgpr_private_segment_wavefront_offset 0
		.amdhsa_system_sgpr_workgroup_id_x 1
		.amdhsa_system_sgpr_workgroup_id_y 0
		.amdhsa_system_sgpr_workgroup_id_z 0
		.amdhsa_system_sgpr_workgroup_info 0
		.amdhsa_system_vgpr_workitem_id 0
		.amdhsa_next_free_vgpr 1
		.amdhsa_next_free_sgpr 0
		.amdhsa_accum_offset 4
		.amdhsa_reserve_vcc 0
		.amdhsa_reserve_flat_scratch 0
		.amdhsa_float_round_mode_32 0
		.amdhsa_float_round_mode_16_64 0
		.amdhsa_float_denorm_mode_32 3
		.amdhsa_float_denorm_mode_16_64 3
		.amdhsa_dx10_clamp 1
		.amdhsa_ieee_mode 1
		.amdhsa_fp16_overflow 0
		.amdhsa_tg_split 0
		.amdhsa_exception_fp_ieee_invalid_op 0
		.amdhsa_exception_fp_denorm_src 0
		.amdhsa_exception_fp_ieee_div_zero 0
		.amdhsa_exception_fp_ieee_overflow 0
		.amdhsa_exception_fp_ieee_underflow 0
		.amdhsa_exception_fp_ieee_inexact 0
		.amdhsa_exception_int_div_zero 0
	.end_amdhsa_kernel
	.section	.text._ZN7rocprim17ROCPRIM_400000_NS6detail17trampoline_kernelINS0_14default_configENS1_35adjacent_difference_config_selectorILb1EfEEZNS1_24adjacent_difference_implIS3_Lb1ELb0EPfN6thrust23THRUST_200600_302600_NS16discard_iteratorINS9_11use_defaultEEENS9_5minusIfEEEE10hipError_tPvRmT2_T3_mT4_P12ihipStream_tbEUlT_E_NS1_11comp_targetILNS1_3genE5ELNS1_11target_archE942ELNS1_3gpuE9ELNS1_3repE0EEENS1_30default_config_static_selectorELNS0_4arch9wavefront6targetE1EEEvT1_,"axG",@progbits,_ZN7rocprim17ROCPRIM_400000_NS6detail17trampoline_kernelINS0_14default_configENS1_35adjacent_difference_config_selectorILb1EfEEZNS1_24adjacent_difference_implIS3_Lb1ELb0EPfN6thrust23THRUST_200600_302600_NS16discard_iteratorINS9_11use_defaultEEENS9_5minusIfEEEE10hipError_tPvRmT2_T3_mT4_P12ihipStream_tbEUlT_E_NS1_11comp_targetILNS1_3genE5ELNS1_11target_archE942ELNS1_3gpuE9ELNS1_3repE0EEENS1_30default_config_static_selectorELNS0_4arch9wavefront6targetE1EEEvT1_,comdat
.Lfunc_end779:
	.size	_ZN7rocprim17ROCPRIM_400000_NS6detail17trampoline_kernelINS0_14default_configENS1_35adjacent_difference_config_selectorILb1EfEEZNS1_24adjacent_difference_implIS3_Lb1ELb0EPfN6thrust23THRUST_200600_302600_NS16discard_iteratorINS9_11use_defaultEEENS9_5minusIfEEEE10hipError_tPvRmT2_T3_mT4_P12ihipStream_tbEUlT_E_NS1_11comp_targetILNS1_3genE5ELNS1_11target_archE942ELNS1_3gpuE9ELNS1_3repE0EEENS1_30default_config_static_selectorELNS0_4arch9wavefront6targetE1EEEvT1_, .Lfunc_end779-_ZN7rocprim17ROCPRIM_400000_NS6detail17trampoline_kernelINS0_14default_configENS1_35adjacent_difference_config_selectorILb1EfEEZNS1_24adjacent_difference_implIS3_Lb1ELb0EPfN6thrust23THRUST_200600_302600_NS16discard_iteratorINS9_11use_defaultEEENS9_5minusIfEEEE10hipError_tPvRmT2_T3_mT4_P12ihipStream_tbEUlT_E_NS1_11comp_targetILNS1_3genE5ELNS1_11target_archE942ELNS1_3gpuE9ELNS1_3repE0EEENS1_30default_config_static_selectorELNS0_4arch9wavefront6targetE1EEEvT1_
                                        ; -- End function
	.section	.AMDGPU.csdata,"",@progbits
; Kernel info:
; codeLenInByte = 0
; NumSgprs: 4
; NumVgprs: 0
; NumAgprs: 0
; TotalNumVgprs: 0
; ScratchSize: 0
; MemoryBound: 0
; FloatMode: 240
; IeeeMode: 1
; LDSByteSize: 0 bytes/workgroup (compile time only)
; SGPRBlocks: 0
; VGPRBlocks: 0
; NumSGPRsForWavesPerEU: 4
; NumVGPRsForWavesPerEU: 1
; AccumOffset: 4
; Occupancy: 8
; WaveLimiterHint : 0
; COMPUTE_PGM_RSRC2:SCRATCH_EN: 0
; COMPUTE_PGM_RSRC2:USER_SGPR: 6
; COMPUTE_PGM_RSRC2:TRAP_HANDLER: 0
; COMPUTE_PGM_RSRC2:TGID_X_EN: 1
; COMPUTE_PGM_RSRC2:TGID_Y_EN: 0
; COMPUTE_PGM_RSRC2:TGID_Z_EN: 0
; COMPUTE_PGM_RSRC2:TIDIG_COMP_CNT: 0
; COMPUTE_PGM_RSRC3_GFX90A:ACCUM_OFFSET: 0
; COMPUTE_PGM_RSRC3_GFX90A:TG_SPLIT: 0
	.section	.text._ZN7rocprim17ROCPRIM_400000_NS6detail17trampoline_kernelINS0_14default_configENS1_35adjacent_difference_config_selectorILb1EfEEZNS1_24adjacent_difference_implIS3_Lb1ELb0EPfN6thrust23THRUST_200600_302600_NS16discard_iteratorINS9_11use_defaultEEENS9_5minusIfEEEE10hipError_tPvRmT2_T3_mT4_P12ihipStream_tbEUlT_E_NS1_11comp_targetILNS1_3genE4ELNS1_11target_archE910ELNS1_3gpuE8ELNS1_3repE0EEENS1_30default_config_static_selectorELNS0_4arch9wavefront6targetE1EEEvT1_,"axG",@progbits,_ZN7rocprim17ROCPRIM_400000_NS6detail17trampoline_kernelINS0_14default_configENS1_35adjacent_difference_config_selectorILb1EfEEZNS1_24adjacent_difference_implIS3_Lb1ELb0EPfN6thrust23THRUST_200600_302600_NS16discard_iteratorINS9_11use_defaultEEENS9_5minusIfEEEE10hipError_tPvRmT2_T3_mT4_P12ihipStream_tbEUlT_E_NS1_11comp_targetILNS1_3genE4ELNS1_11target_archE910ELNS1_3gpuE8ELNS1_3repE0EEENS1_30default_config_static_selectorELNS0_4arch9wavefront6targetE1EEEvT1_,comdat
	.protected	_ZN7rocprim17ROCPRIM_400000_NS6detail17trampoline_kernelINS0_14default_configENS1_35adjacent_difference_config_selectorILb1EfEEZNS1_24adjacent_difference_implIS3_Lb1ELb0EPfN6thrust23THRUST_200600_302600_NS16discard_iteratorINS9_11use_defaultEEENS9_5minusIfEEEE10hipError_tPvRmT2_T3_mT4_P12ihipStream_tbEUlT_E_NS1_11comp_targetILNS1_3genE4ELNS1_11target_archE910ELNS1_3gpuE8ELNS1_3repE0EEENS1_30default_config_static_selectorELNS0_4arch9wavefront6targetE1EEEvT1_ ; -- Begin function _ZN7rocprim17ROCPRIM_400000_NS6detail17trampoline_kernelINS0_14default_configENS1_35adjacent_difference_config_selectorILb1EfEEZNS1_24adjacent_difference_implIS3_Lb1ELb0EPfN6thrust23THRUST_200600_302600_NS16discard_iteratorINS9_11use_defaultEEENS9_5minusIfEEEE10hipError_tPvRmT2_T3_mT4_P12ihipStream_tbEUlT_E_NS1_11comp_targetILNS1_3genE4ELNS1_11target_archE910ELNS1_3gpuE8ELNS1_3repE0EEENS1_30default_config_static_selectorELNS0_4arch9wavefront6targetE1EEEvT1_
	.globl	_ZN7rocprim17ROCPRIM_400000_NS6detail17trampoline_kernelINS0_14default_configENS1_35adjacent_difference_config_selectorILb1EfEEZNS1_24adjacent_difference_implIS3_Lb1ELb0EPfN6thrust23THRUST_200600_302600_NS16discard_iteratorINS9_11use_defaultEEENS9_5minusIfEEEE10hipError_tPvRmT2_T3_mT4_P12ihipStream_tbEUlT_E_NS1_11comp_targetILNS1_3genE4ELNS1_11target_archE910ELNS1_3gpuE8ELNS1_3repE0EEENS1_30default_config_static_selectorELNS0_4arch9wavefront6targetE1EEEvT1_
	.p2align	8
	.type	_ZN7rocprim17ROCPRIM_400000_NS6detail17trampoline_kernelINS0_14default_configENS1_35adjacent_difference_config_selectorILb1EfEEZNS1_24adjacent_difference_implIS3_Lb1ELb0EPfN6thrust23THRUST_200600_302600_NS16discard_iteratorINS9_11use_defaultEEENS9_5minusIfEEEE10hipError_tPvRmT2_T3_mT4_P12ihipStream_tbEUlT_E_NS1_11comp_targetILNS1_3genE4ELNS1_11target_archE910ELNS1_3gpuE8ELNS1_3repE0EEENS1_30default_config_static_selectorELNS0_4arch9wavefront6targetE1EEEvT1_,@function
_ZN7rocprim17ROCPRIM_400000_NS6detail17trampoline_kernelINS0_14default_configENS1_35adjacent_difference_config_selectorILb1EfEEZNS1_24adjacent_difference_implIS3_Lb1ELb0EPfN6thrust23THRUST_200600_302600_NS16discard_iteratorINS9_11use_defaultEEENS9_5minusIfEEEE10hipError_tPvRmT2_T3_mT4_P12ihipStream_tbEUlT_E_NS1_11comp_targetILNS1_3genE4ELNS1_11target_archE910ELNS1_3gpuE8ELNS1_3repE0EEENS1_30default_config_static_selectorELNS0_4arch9wavefront6targetE1EEEvT1_: ; @_ZN7rocprim17ROCPRIM_400000_NS6detail17trampoline_kernelINS0_14default_configENS1_35adjacent_difference_config_selectorILb1EfEEZNS1_24adjacent_difference_implIS3_Lb1ELb0EPfN6thrust23THRUST_200600_302600_NS16discard_iteratorINS9_11use_defaultEEENS9_5minusIfEEEE10hipError_tPvRmT2_T3_mT4_P12ihipStream_tbEUlT_E_NS1_11comp_targetILNS1_3genE4ELNS1_11target_archE910ELNS1_3gpuE8ELNS1_3repE0EEENS1_30default_config_static_selectorELNS0_4arch9wavefront6targetE1EEEvT1_
; %bb.0:
	s_load_dwordx4 s[0:3], s[4:5], 0x0
	s_load_dwordx2 s[12:13], s[4:5], 0x20
	s_load_dwordx4 s[8:11], s[4:5], 0x30
	s_mul_i32 s4, s6, 0xa00
	s_mov_b32 s7, 0
	s_waitcnt lgkmcnt(0)
	s_lshl_b64 s[2:3], s[2:3], 2
	s_add_u32 s18, s0, s2
	s_addc_u32 s19, s1, s3
	s_mov_b32 s0, 0x59999780
	s_add_u32 s0, 0xe0, s0
	s_addc_u32 s3, 0, 0
	v_add_co_u32_e64 v1, s[0:1], s0, 2.0
	s_cmp_lg_u64 s[0:1], 0
	s_addc_u32 s0, s3, 0x199999
	v_readfirstlane_b32 s3, v1
	s_mul_hi_u32 s14, s3, 0xfffff600
	s_mul_i32 s1, s0, 0xfffff600
	s_sub_i32 s14, s14, s3
	s_add_i32 s14, s14, s1
	s_mul_i32 s16, s3, 0xfffff600
	s_mul_hi_u32 s1, s3, s14
	s_mul_i32 s15, s3, s14
	s_mul_hi_u32 s3, s3, s16
	s_add_u32 s3, s3, s15
	s_addc_u32 s1, 0, s1
	s_mul_hi_u32 s17, s0, s16
	s_mul_i32 s16, s0, s16
	s_add_u32 s3, s3, s16
	s_mul_hi_u32 s15, s0, s14
	s_addc_u32 s1, s1, s17
	s_addc_u32 s3, s15, 0
	s_mul_i32 s14, s0, s14
	s_add_u32 s1, s1, s14
	s_addc_u32 s3, 0, s3
	v_add_co_u32_e32 v1, vcc, s1, v1
	s_cmp_lg_u64 vcc, 0
	s_addc_u32 s0, s0, s3
	v_readfirstlane_b32 s14, v1
	s_mul_i32 s3, s12, s0
	s_mul_hi_u32 s15, s12, s14
	s_mul_hi_u32 s1, s12, s0
	s_add_u32 s3, s15, s3
	s_addc_u32 s1, 0, s1
	s_mul_hi_u32 s16, s13, s14
	s_mul_i32 s14, s13, s14
	s_add_u32 s3, s3, s14
	s_mul_hi_u32 s15, s13, s0
	s_addc_u32 s1, s1, s16
	s_addc_u32 s3, s15, 0
	s_mul_i32 s0, s13, s0
	s_add_u32 s0, s1, s0
	s_addc_u32 s1, 0, s3
	s_add_u32 s3, s0, 1
	s_addc_u32 s14, s1, 0
	s_add_u32 s15, s0, 2
	s_mul_i32 s17, s1, 0xa00
	s_mul_hi_u32 s20, s0, 0xa00
	s_addc_u32 s16, s1, 0
	s_add_i32 s20, s20, s17
	s_mul_i32 s17, s0, 0xa00
	v_mov_b32_e32 v1, s17
	v_sub_co_u32_e32 v1, vcc, s12, v1
	s_movk_i32 s2, 0xa00
	s_cmp_lg_u64 vcc, 0
	s_subb_u32 s17, s13, s20
	v_subrev_co_u32_e32 v2, vcc, s2, v1
	s_cmp_lg_u64 vcc, 0
	s_subb_u32 s2, s17, 0
	v_readfirstlane_b32 s20, v2
	s_cmpk_gt_u32 s20, 0x9ff
	s_cselect_b32 s20, -1, 0
	s_cmp_eq_u32 s2, 0
	s_cselect_b32 s2, s20, -1
	s_cmp_lg_u32 s2, 0
	s_cselect_b32 s2, s15, s3
	s_cselect_b32 s3, s16, s14
	v_readfirstlane_b32 s14, v1
	s_cmpk_gt_u32 s14, 0x9ff
	s_cselect_b32 s14, -1, 0
	s_cmp_eq_u32 s17, 0
	s_cselect_b32 s14, s14, -1
	s_cmp_lg_u32 s14, 0
	s_cselect_b32 s3, s3, s1
	s_cselect_b32 s2, s2, s0
	s_mul_i32 s0, s3, 0xa00
	s_mul_hi_u32 s1, s2, 0xa00
	s_add_i32 s1, s1, s0
	s_mul_i32 s0, s2, 0xa00
	s_sub_u32 s0, s12, s0
	s_subb_u32 s1, s13, s1
	s_cmp_lg_u64 s[0:1], 0
	s_cselect_b64 s[0:1], -1, 0
	v_cndmask_b32_e64 v1, 0, 1, s[0:1]
	v_mov_b32_e32 v2, s3
	v_add_co_u32_e32 v14, vcc, s2, v1
	v_addc_co_u32_e32 v15, vcc, 0, v2, vcc
	s_add_u32 s2, s10, s6
	v_add_co_u32_e32 v8, vcc, -1, v14
	s_addc_u32 s3, s11, 0
	v_addc_co_u32_e32 v9, vcc, -1, v15, vcc
	v_cmp_ge_u64_e64 s[0:1], s[2:3], v[8:9]
	s_movk_i32 s5, 0xf600
	s_mov_b64 s[14:15], -1
	s_and_b64 vcc, exec, s[0:1]
	s_cbranch_vccz .LBB780_12
; %bb.1:
	v_mul_lo_u32 v1, v8, s5
	s_mov_b32 s5, s7
	s_lshl_b64 s[14:15], s[4:5], 2
	v_add_u32_e32 v1, s12, v1
	s_add_u32 s14, s18, s14
	s_addc_u32 s15, s19, s15
	v_cmp_lt_u32_e32 vcc, v0, v1
                                        ; implicit-def: $vgpr2_vgpr3_vgpr4_vgpr5_vgpr6
	s_and_saveexec_b64 s[16:17], vcc
	s_cbranch_execz .LBB780_3
; %bb.2:
	v_lshlrev_b32_e32 v2, 2, v0
	global_load_dword v2, v2, s[14:15]
.LBB780_3:
	s_or_b64 exec, exec, s[16:17]
	v_or_b32_e32 v7, 0x200, v0
	v_cmp_lt_u32_e32 vcc, v7, v1
	s_and_saveexec_b64 s[16:17], vcc
	s_cbranch_execz .LBB780_5
; %bb.4:
	v_lshlrev_b32_e32 v3, 2, v0
	global_load_dword v3, v3, s[14:15] offset:2048
.LBB780_5:
	s_or_b64 exec, exec, s[16:17]
	v_or_b32_e32 v7, 0x400, v0
	v_cmp_lt_u32_e32 vcc, v7, v1
	s_and_saveexec_b64 s[16:17], vcc
	s_cbranch_execz .LBB780_7
; %bb.6:
	v_lshlrev_b32_e32 v4, 2, v7
	global_load_dword v4, v4, s[14:15]
.LBB780_7:
	s_or_b64 exec, exec, s[16:17]
	v_or_b32_e32 v7, 0x600, v0
	v_cmp_lt_u32_e32 vcc, v7, v1
	s_and_saveexec_b64 s[16:17], vcc
	s_cbranch_execz .LBB780_9
; %bb.8:
	v_lshlrev_b32_e32 v5, 2, v7
	global_load_dword v5, v5, s[14:15]
.LBB780_9:
	;; [unrolled: 9-line block ×3, first 2 shown]
	s_or_b64 exec, exec, s[16:17]
	v_lshlrev_b32_e32 v1, 2, v0
	s_mov_b64 s[14:15], 0
	s_waitcnt vmcnt(0)
	ds_write2st64_b32 v1, v2, v3 offset1:8
	ds_write2st64_b32 v1, v4, v5 offset0:16 offset1:24
	ds_write_b32 v1, v6 offset:8192
	s_waitcnt lgkmcnt(0)
	s_barrier
.LBB780_12:
	s_and_b64 vcc, exec, s[14:15]
	v_lshlrev_b32_e32 v1, 2, v0
	s_cbranch_vccz .LBB780_14
; %bb.13:
	s_mov_b32 s5, 0
	s_lshl_b64 s[4:5], s[4:5], 2
	s_add_u32 s4, s18, s4
	s_addc_u32 s5, s19, s5
	v_mov_b32_e32 v2, s5
	v_add_co_u32_e32 v4, vcc, s4, v1
	v_addc_co_u32_e32 v5, vcc, 0, v2, vcc
	v_add_co_u32_e32 v2, vcc, 0x1000, v4
	v_addc_co_u32_e32 v3, vcc, 0, v5, vcc
	global_load_dword v6, v1, s[4:5]
	global_load_dword v7, v1, s[4:5] offset:2048
	global_load_dword v10, v[2:3], off
	global_load_dword v11, v[2:3], off offset:2048
	v_add_co_u32_e32 v2, vcc, 0x2000, v4
	v_addc_co_u32_e32 v3, vcc, 0, v5, vcc
	global_load_dword v2, v[2:3], off
	s_waitcnt vmcnt(3)
	ds_write2st64_b32 v1, v6, v7 offset1:8
	s_waitcnt vmcnt(1)
	ds_write2st64_b32 v1, v10, v11 offset0:16 offset1:24
	s_waitcnt vmcnt(0)
	ds_write_b32 v1, v2 offset:8192
	s_waitcnt lgkmcnt(0)
	s_barrier
.LBB780_14:
	v_mul_u32_u24_e32 v2, 5, v0
	v_lshlrev_b32_e32 v3, 2, v2
	ds_read_b32 v2, v3
	ds_read2_b32 v[4:5], v3 offset0:1 offset1:2
	ds_read2_b32 v[6:7], v3 offset0:3 offset1:4
	s_cmp_eq_u64 s[2:3], 0
	s_waitcnt lgkmcnt(0)
	s_barrier
	s_cbranch_scc1 .LBB780_19
; %bb.15:
	s_lshl_b64 s[4:5], s[10:11], 2
	s_add_u32 s8, s8, s4
	s_addc_u32 s9, s9, s5
	s_lshl_b64 s[4:5], s[6:7], 2
	s_add_u32 s4, s8, s4
	s_addc_u32 s5, s9, s5
	s_add_u32 s4, s4, -4
	s_addc_u32 s5, s5, -1
	s_load_dword s6, s[4:5], 0x0
	v_cmp_eq_u64_e32 vcc, s[2:3], v[8:9]
	s_cbranch_vccnz .LBB780_21
; %bb.16:
	v_cmp_ne_u32_e32 vcc, 0, v0
	s_waitcnt lgkmcnt(0)
	v_mov_b32_e32 v8, s6
	ds_write_b32 v1, v7
	s_waitcnt lgkmcnt(0)
	s_barrier
	s_and_saveexec_b64 s[4:5], vcc
	s_cbranch_execz .LBB780_18
; %bb.17:
	v_add_u32_e32 v3, -4, v1
	ds_read_b32 v8, v3
.LBB780_18:
	s_or_b64 exec, exec, s[4:5]
	v_mov_b32_e32 v10, v5
	v_mov_b32_e32 v11, v6
	;; [unrolled: 1-line block ×3, first 2 shown]
	v_pk_add_f32 v[10:11], v[6:7], v[10:11] neg_lo:[0,1] neg_hi:[0,1]
	v_pk_add_f32 v[12:13], v[4:5], v[2:3] neg_lo:[0,1] neg_hi:[0,1]
	s_waitcnt lgkmcnt(0)
	v_sub_f32_e32 v8, v2, v8
	s_branch .LBB780_25
.LBB780_19:
	s_mov_b64 s[4:5], 0
                                        ; implicit-def: $vgpr11
                                        ; implicit-def: $vgpr13
                                        ; implicit-def: $vgpr8
	s_branch .LBB780_26
.LBB780_20:
                                        ; implicit-def: $vgpr9
                                        ; implicit-def: $vgpr2_vgpr3_vgpr4_vgpr5_vgpr6
	s_and_saveexec_b64 s[2:3], s[4:5]
	s_cbranch_execnz .LBB780_35
	s_branch .LBB780_36
.LBB780_21:
                                        ; implicit-def: $vgpr11
                                        ; implicit-def: $vgpr13
                                        ; implicit-def: $vgpr8
	s_cbranch_execz .LBB780_25
; %bb.22:
	v_mul_u32_u24_e32 v3, 5, v0
	v_cmp_ne_u32_e32 vcc, 0, v0
	s_waitcnt lgkmcnt(0)
	v_mov_b32_e32 v8, s6
	ds_write_b32 v1, v7
	s_waitcnt lgkmcnt(0)
	s_barrier
	s_and_saveexec_b64 s[4:5], vcc
	s_cbranch_execz .LBB780_24
; %bb.23:
	v_add_u32_e32 v8, -4, v1
	ds_read_b32 v8, v8
.LBB780_24:
	s_or_b64 exec, exec, s[4:5]
	s_mulk_i32 s2, 0xf600
	s_add_i32 s2, s2, s12
	v_add_u32_e32 v9, 4, v3
	v_mov_b32_e32 v10, v7
	v_pk_add_f32 v[10:11], v[10:11], v[6:7] neg_lo:[0,1] neg_hi:[0,1]
	v_cmp_gt_u32_e32 vcc, s2, v9
	v_add_u32_e32 v9, 3, v3
	v_mov_b32_e32 v12, v5
	v_cndmask_b32_e32 v11, v7, v10, vcc
	v_pk_add_f32 v[16:17], v[6:7], v[12:13] neg_lo:[0,1] neg_hi:[0,1]
	v_cmp_gt_u32_e32 vcc, s2, v9
	v_add_u32_e32 v9, 2, v3
	v_cndmask_b32_e32 v10, v6, v16, vcc
	v_pk_add_f32 v[12:13], v[12:13], v[4:5] neg_lo:[0,1] neg_hi:[0,1]
	v_cmp_gt_u32_e32 vcc, s2, v9
	v_add_u32_e32 v9, 1, v3
	v_cndmask_b32_e32 v13, v5, v12, vcc
	v_sub_f32_e32 v12, v4, v2
	v_cmp_gt_u32_e32 vcc, s2, v9
	v_cndmask_b32_e32 v12, v4, v12, vcc
	s_waitcnt lgkmcnt(0)
	v_sub_f32_e32 v8, v2, v8
	v_cmp_gt_u32_e32 vcc, s2, v3
	v_cndmask_b32_e32 v8, v2, v8, vcc
.LBB780_25:
	s_mov_b64 s[4:5], -1
	s_cbranch_execnz .LBB780_20
.LBB780_26:
	v_cmp_ne_u64_e32 vcc, 1, v[14:15]
	v_cmp_ne_u32_e64 s[2:3], 0, v0
	s_cbranch_vccz .LBB780_31
; %bb.27:
	v_mov_b32_e32 v8, v5
	v_mov_b32_e32 v9, v6
	;; [unrolled: 1-line block ×3, first 2 shown]
	v_pk_add_f32 v[10:11], v[6:7], v[8:9] neg_lo:[0,1] neg_hi:[0,1]
	v_pk_add_f32 v[12:13], v[4:5], v[2:3] neg_lo:[0,1] neg_hi:[0,1]
	s_mov_b32 s8, 0
	ds_write_b32 v1, v7
	s_waitcnt lgkmcnt(0)
	s_barrier
	s_waitcnt lgkmcnt(0)
                                        ; implicit-def: $vgpr8
	s_and_saveexec_b64 s[6:7], s[2:3]
	s_cbranch_execz .LBB780_29
; %bb.28:
	v_add_u32_e32 v3, -4, v1
	ds_read_b32 v3, v3
	s_or_b64 s[4:5], s[4:5], exec
	s_waitcnt lgkmcnt(0)
	v_sub_f32_e32 v8, v2, v3
.LBB780_29:
	s_or_b64 exec, exec, s[6:7]
.LBB780_30:
	v_mov_b32_e32 v9, s8
	s_and_saveexec_b64 s[2:3], s[4:5]
	s_cbranch_execnz .LBB780_35
	s_branch .LBB780_36
.LBB780_31:
                                        ; implicit-def: $vgpr11
                                        ; implicit-def: $vgpr13
                                        ; implicit-def: $vgpr8
                                        ; implicit-def: $sgpr8
	s_cbranch_execz .LBB780_30
; %bb.32:
	v_mad_u32_u24 v10, v0, 5, 4
	v_mov_b32_e32 v8, v7
	v_pk_add_f32 v[8:9], v[8:9], v[6:7] neg_lo:[0,1] neg_hi:[0,1]
	v_cmp_gt_u32_e32 vcc, s12, v10
	v_cndmask_b32_e32 v11, v7, v8, vcc
	v_mad_u32_u24 v9, v0, 5, 3
	v_mov_b32_e32 v8, v5
	v_pk_add_f32 v[12:13], v[6:7], v[8:9] neg_lo:[0,1] neg_hi:[0,1]
	v_cmp_gt_u32_e32 vcc, s12, v9
	v_mad_u32_u24 v9, v0, 5, 2
	ds_write_b32 v1, v7
	v_cndmask_b32_e32 v10, v6, v12, vcc
	v_pk_add_f32 v[6:7], v[8:9], v[4:5] neg_lo:[0,1] neg_hi:[0,1]
	v_cmp_gt_u32_e32 vcc, s12, v9
	v_cndmask_b32_e32 v13, v5, v6, vcc
	v_mad_u32_u24 v5, v0, 5, 1
	v_mul_u32_u24_e32 v3, 5, v0
	v_sub_f32_e32 v6, v4, v2
	v_cmp_gt_u32_e32 vcc, s12, v5
	v_cndmask_b32_e32 v12, v4, v6, vcc
	v_cmp_ne_u32_e32 vcc, 0, v0
	v_cmp_gt_u32_e64 s[2:3], s12, v3
	s_waitcnt lgkmcnt(0)
	s_and_b64 s[6:7], vcc, s[2:3]
	s_barrier
	s_waitcnt lgkmcnt(0)
                                        ; implicit-def: $vgpr8
	s_and_saveexec_b64 s[2:3], s[6:7]
	s_cbranch_execz .LBB780_34
; %bb.33:
	v_add_u32_e32 v1, -4, v1
	ds_read_b32 v1, v1
	s_or_b64 s[4:5], s[4:5], exec
	s_waitcnt lgkmcnt(0)
	v_sub_f32_e32 v8, v2, v1
                                        ; implicit-def: $vgpr2_vgpr3_vgpr4_vgpr5_vgpr6
.LBB780_34:
	s_or_b64 exec, exec, s[2:3]
	v_mov_b32_e32 v9, v0
	s_and_saveexec_b64 s[2:3], s[4:5]
.LBB780_35:
	v_mov_b32_e32 v2, v8
	v_mov_b32_e32 v3, v9
	;; [unrolled: 1-line block ×6, first 2 shown]
.LBB780_36:
	s_or_b64 exec, exec, s[2:3]
	v_mul_i32_i24_e32 v0, 20, v9
	s_mov_b64 s[2:3], -1
	s_and_b64 vcc, exec, s[0:1]
	s_waitcnt lgkmcnt(0)
	s_barrier
	ds_write2_b32 v0, v2, v12 offset1:1
	ds_write2_b32 v0, v13, v10 offset0:2 offset1:3
	ds_write_b32 v0, v11 offset:16
	s_waitcnt lgkmcnt(0)
	s_cbranch_vccnz .LBB780_39
; %bb.37:
	s_andn2_b64 vcc, exec, s[2:3]
	s_cbranch_vccz .LBB780_40
.LBB780_38:
	s_endpgm
.LBB780_39:
	s_barrier
	s_cbranch_execnz .LBB780_38
.LBB780_40:
	s_barrier
	s_endpgm
	.section	.rodata,"a",@progbits
	.p2align	6, 0x0
	.amdhsa_kernel _ZN7rocprim17ROCPRIM_400000_NS6detail17trampoline_kernelINS0_14default_configENS1_35adjacent_difference_config_selectorILb1EfEEZNS1_24adjacent_difference_implIS3_Lb1ELb0EPfN6thrust23THRUST_200600_302600_NS16discard_iteratorINS9_11use_defaultEEENS9_5minusIfEEEE10hipError_tPvRmT2_T3_mT4_P12ihipStream_tbEUlT_E_NS1_11comp_targetILNS1_3genE4ELNS1_11target_archE910ELNS1_3gpuE8ELNS1_3repE0EEENS1_30default_config_static_selectorELNS0_4arch9wavefront6targetE1EEEvT1_
		.amdhsa_group_segment_fixed_size 10240
		.amdhsa_private_segment_fixed_size 0
		.amdhsa_kernarg_size 64
		.amdhsa_user_sgpr_count 6
		.amdhsa_user_sgpr_private_segment_buffer 1
		.amdhsa_user_sgpr_dispatch_ptr 0
		.amdhsa_user_sgpr_queue_ptr 0
		.amdhsa_user_sgpr_kernarg_segment_ptr 1
		.amdhsa_user_sgpr_dispatch_id 0
		.amdhsa_user_sgpr_flat_scratch_init 0
		.amdhsa_user_sgpr_kernarg_preload_length 0
		.amdhsa_user_sgpr_kernarg_preload_offset 0
		.amdhsa_user_sgpr_private_segment_size 0
		.amdhsa_uses_dynamic_stack 0
		.amdhsa_system_sgpr_private_segment_wavefront_offset 0
		.amdhsa_system_sgpr_workgroup_id_x 1
		.amdhsa_system_sgpr_workgroup_id_y 0
		.amdhsa_system_sgpr_workgroup_id_z 0
		.amdhsa_system_sgpr_workgroup_info 0
		.amdhsa_system_vgpr_workitem_id 0
		.amdhsa_next_free_vgpr 18
		.amdhsa_next_free_sgpr 21
		.amdhsa_accum_offset 20
		.amdhsa_reserve_vcc 1
		.amdhsa_reserve_flat_scratch 0
		.amdhsa_float_round_mode_32 0
		.amdhsa_float_round_mode_16_64 0
		.amdhsa_float_denorm_mode_32 3
		.amdhsa_float_denorm_mode_16_64 3
		.amdhsa_dx10_clamp 1
		.amdhsa_ieee_mode 1
		.amdhsa_fp16_overflow 0
		.amdhsa_tg_split 0
		.amdhsa_exception_fp_ieee_invalid_op 0
		.amdhsa_exception_fp_denorm_src 0
		.amdhsa_exception_fp_ieee_div_zero 0
		.amdhsa_exception_fp_ieee_overflow 0
		.amdhsa_exception_fp_ieee_underflow 0
		.amdhsa_exception_fp_ieee_inexact 0
		.amdhsa_exception_int_div_zero 0
	.end_amdhsa_kernel
	.section	.text._ZN7rocprim17ROCPRIM_400000_NS6detail17trampoline_kernelINS0_14default_configENS1_35adjacent_difference_config_selectorILb1EfEEZNS1_24adjacent_difference_implIS3_Lb1ELb0EPfN6thrust23THRUST_200600_302600_NS16discard_iteratorINS9_11use_defaultEEENS9_5minusIfEEEE10hipError_tPvRmT2_T3_mT4_P12ihipStream_tbEUlT_E_NS1_11comp_targetILNS1_3genE4ELNS1_11target_archE910ELNS1_3gpuE8ELNS1_3repE0EEENS1_30default_config_static_selectorELNS0_4arch9wavefront6targetE1EEEvT1_,"axG",@progbits,_ZN7rocprim17ROCPRIM_400000_NS6detail17trampoline_kernelINS0_14default_configENS1_35adjacent_difference_config_selectorILb1EfEEZNS1_24adjacent_difference_implIS3_Lb1ELb0EPfN6thrust23THRUST_200600_302600_NS16discard_iteratorINS9_11use_defaultEEENS9_5minusIfEEEE10hipError_tPvRmT2_T3_mT4_P12ihipStream_tbEUlT_E_NS1_11comp_targetILNS1_3genE4ELNS1_11target_archE910ELNS1_3gpuE8ELNS1_3repE0EEENS1_30default_config_static_selectorELNS0_4arch9wavefront6targetE1EEEvT1_,comdat
.Lfunc_end780:
	.size	_ZN7rocprim17ROCPRIM_400000_NS6detail17trampoline_kernelINS0_14default_configENS1_35adjacent_difference_config_selectorILb1EfEEZNS1_24adjacent_difference_implIS3_Lb1ELb0EPfN6thrust23THRUST_200600_302600_NS16discard_iteratorINS9_11use_defaultEEENS9_5minusIfEEEE10hipError_tPvRmT2_T3_mT4_P12ihipStream_tbEUlT_E_NS1_11comp_targetILNS1_3genE4ELNS1_11target_archE910ELNS1_3gpuE8ELNS1_3repE0EEENS1_30default_config_static_selectorELNS0_4arch9wavefront6targetE1EEEvT1_, .Lfunc_end780-_ZN7rocprim17ROCPRIM_400000_NS6detail17trampoline_kernelINS0_14default_configENS1_35adjacent_difference_config_selectorILb1EfEEZNS1_24adjacent_difference_implIS3_Lb1ELb0EPfN6thrust23THRUST_200600_302600_NS16discard_iteratorINS9_11use_defaultEEENS9_5minusIfEEEE10hipError_tPvRmT2_T3_mT4_P12ihipStream_tbEUlT_E_NS1_11comp_targetILNS1_3genE4ELNS1_11target_archE910ELNS1_3gpuE8ELNS1_3repE0EEENS1_30default_config_static_selectorELNS0_4arch9wavefront6targetE1EEEvT1_
                                        ; -- End function
	.section	.AMDGPU.csdata,"",@progbits
; Kernel info:
; codeLenInByte = 1692
; NumSgprs: 25
; NumVgprs: 18
; NumAgprs: 0
; TotalNumVgprs: 18
; ScratchSize: 0
; MemoryBound: 0
; FloatMode: 240
; IeeeMode: 1
; LDSByteSize: 10240 bytes/workgroup (compile time only)
; SGPRBlocks: 3
; VGPRBlocks: 2
; NumSGPRsForWavesPerEU: 25
; NumVGPRsForWavesPerEU: 18
; AccumOffset: 20
; Occupancy: 8
; WaveLimiterHint : 1
; COMPUTE_PGM_RSRC2:SCRATCH_EN: 0
; COMPUTE_PGM_RSRC2:USER_SGPR: 6
; COMPUTE_PGM_RSRC2:TRAP_HANDLER: 0
; COMPUTE_PGM_RSRC2:TGID_X_EN: 1
; COMPUTE_PGM_RSRC2:TGID_Y_EN: 0
; COMPUTE_PGM_RSRC2:TGID_Z_EN: 0
; COMPUTE_PGM_RSRC2:TIDIG_COMP_CNT: 0
; COMPUTE_PGM_RSRC3_GFX90A:ACCUM_OFFSET: 4
; COMPUTE_PGM_RSRC3_GFX90A:TG_SPLIT: 0
	.section	.text._ZN7rocprim17ROCPRIM_400000_NS6detail17trampoline_kernelINS0_14default_configENS1_35adjacent_difference_config_selectorILb1EfEEZNS1_24adjacent_difference_implIS3_Lb1ELb0EPfN6thrust23THRUST_200600_302600_NS16discard_iteratorINS9_11use_defaultEEENS9_5minusIfEEEE10hipError_tPvRmT2_T3_mT4_P12ihipStream_tbEUlT_E_NS1_11comp_targetILNS1_3genE3ELNS1_11target_archE908ELNS1_3gpuE7ELNS1_3repE0EEENS1_30default_config_static_selectorELNS0_4arch9wavefront6targetE1EEEvT1_,"axG",@progbits,_ZN7rocprim17ROCPRIM_400000_NS6detail17trampoline_kernelINS0_14default_configENS1_35adjacent_difference_config_selectorILb1EfEEZNS1_24adjacent_difference_implIS3_Lb1ELb0EPfN6thrust23THRUST_200600_302600_NS16discard_iteratorINS9_11use_defaultEEENS9_5minusIfEEEE10hipError_tPvRmT2_T3_mT4_P12ihipStream_tbEUlT_E_NS1_11comp_targetILNS1_3genE3ELNS1_11target_archE908ELNS1_3gpuE7ELNS1_3repE0EEENS1_30default_config_static_selectorELNS0_4arch9wavefront6targetE1EEEvT1_,comdat
	.protected	_ZN7rocprim17ROCPRIM_400000_NS6detail17trampoline_kernelINS0_14default_configENS1_35adjacent_difference_config_selectorILb1EfEEZNS1_24adjacent_difference_implIS3_Lb1ELb0EPfN6thrust23THRUST_200600_302600_NS16discard_iteratorINS9_11use_defaultEEENS9_5minusIfEEEE10hipError_tPvRmT2_T3_mT4_P12ihipStream_tbEUlT_E_NS1_11comp_targetILNS1_3genE3ELNS1_11target_archE908ELNS1_3gpuE7ELNS1_3repE0EEENS1_30default_config_static_selectorELNS0_4arch9wavefront6targetE1EEEvT1_ ; -- Begin function _ZN7rocprim17ROCPRIM_400000_NS6detail17trampoline_kernelINS0_14default_configENS1_35adjacent_difference_config_selectorILb1EfEEZNS1_24adjacent_difference_implIS3_Lb1ELb0EPfN6thrust23THRUST_200600_302600_NS16discard_iteratorINS9_11use_defaultEEENS9_5minusIfEEEE10hipError_tPvRmT2_T3_mT4_P12ihipStream_tbEUlT_E_NS1_11comp_targetILNS1_3genE3ELNS1_11target_archE908ELNS1_3gpuE7ELNS1_3repE0EEENS1_30default_config_static_selectorELNS0_4arch9wavefront6targetE1EEEvT1_
	.globl	_ZN7rocprim17ROCPRIM_400000_NS6detail17trampoline_kernelINS0_14default_configENS1_35adjacent_difference_config_selectorILb1EfEEZNS1_24adjacent_difference_implIS3_Lb1ELb0EPfN6thrust23THRUST_200600_302600_NS16discard_iteratorINS9_11use_defaultEEENS9_5minusIfEEEE10hipError_tPvRmT2_T3_mT4_P12ihipStream_tbEUlT_E_NS1_11comp_targetILNS1_3genE3ELNS1_11target_archE908ELNS1_3gpuE7ELNS1_3repE0EEENS1_30default_config_static_selectorELNS0_4arch9wavefront6targetE1EEEvT1_
	.p2align	8
	.type	_ZN7rocprim17ROCPRIM_400000_NS6detail17trampoline_kernelINS0_14default_configENS1_35adjacent_difference_config_selectorILb1EfEEZNS1_24adjacent_difference_implIS3_Lb1ELb0EPfN6thrust23THRUST_200600_302600_NS16discard_iteratorINS9_11use_defaultEEENS9_5minusIfEEEE10hipError_tPvRmT2_T3_mT4_P12ihipStream_tbEUlT_E_NS1_11comp_targetILNS1_3genE3ELNS1_11target_archE908ELNS1_3gpuE7ELNS1_3repE0EEENS1_30default_config_static_selectorELNS0_4arch9wavefront6targetE1EEEvT1_,@function
_ZN7rocprim17ROCPRIM_400000_NS6detail17trampoline_kernelINS0_14default_configENS1_35adjacent_difference_config_selectorILb1EfEEZNS1_24adjacent_difference_implIS3_Lb1ELb0EPfN6thrust23THRUST_200600_302600_NS16discard_iteratorINS9_11use_defaultEEENS9_5minusIfEEEE10hipError_tPvRmT2_T3_mT4_P12ihipStream_tbEUlT_E_NS1_11comp_targetILNS1_3genE3ELNS1_11target_archE908ELNS1_3gpuE7ELNS1_3repE0EEENS1_30default_config_static_selectorELNS0_4arch9wavefront6targetE1EEEvT1_: ; @_ZN7rocprim17ROCPRIM_400000_NS6detail17trampoline_kernelINS0_14default_configENS1_35adjacent_difference_config_selectorILb1EfEEZNS1_24adjacent_difference_implIS3_Lb1ELb0EPfN6thrust23THRUST_200600_302600_NS16discard_iteratorINS9_11use_defaultEEENS9_5minusIfEEEE10hipError_tPvRmT2_T3_mT4_P12ihipStream_tbEUlT_E_NS1_11comp_targetILNS1_3genE3ELNS1_11target_archE908ELNS1_3gpuE7ELNS1_3repE0EEENS1_30default_config_static_selectorELNS0_4arch9wavefront6targetE1EEEvT1_
; %bb.0:
	.section	.rodata,"a",@progbits
	.p2align	6, 0x0
	.amdhsa_kernel _ZN7rocprim17ROCPRIM_400000_NS6detail17trampoline_kernelINS0_14default_configENS1_35adjacent_difference_config_selectorILb1EfEEZNS1_24adjacent_difference_implIS3_Lb1ELb0EPfN6thrust23THRUST_200600_302600_NS16discard_iteratorINS9_11use_defaultEEENS9_5minusIfEEEE10hipError_tPvRmT2_T3_mT4_P12ihipStream_tbEUlT_E_NS1_11comp_targetILNS1_3genE3ELNS1_11target_archE908ELNS1_3gpuE7ELNS1_3repE0EEENS1_30default_config_static_selectorELNS0_4arch9wavefront6targetE1EEEvT1_
		.amdhsa_group_segment_fixed_size 0
		.amdhsa_private_segment_fixed_size 0
		.amdhsa_kernarg_size 64
		.amdhsa_user_sgpr_count 6
		.amdhsa_user_sgpr_private_segment_buffer 1
		.amdhsa_user_sgpr_dispatch_ptr 0
		.amdhsa_user_sgpr_queue_ptr 0
		.amdhsa_user_sgpr_kernarg_segment_ptr 1
		.amdhsa_user_sgpr_dispatch_id 0
		.amdhsa_user_sgpr_flat_scratch_init 0
		.amdhsa_user_sgpr_kernarg_preload_length 0
		.amdhsa_user_sgpr_kernarg_preload_offset 0
		.amdhsa_user_sgpr_private_segment_size 0
		.amdhsa_uses_dynamic_stack 0
		.amdhsa_system_sgpr_private_segment_wavefront_offset 0
		.amdhsa_system_sgpr_workgroup_id_x 1
		.amdhsa_system_sgpr_workgroup_id_y 0
		.amdhsa_system_sgpr_workgroup_id_z 0
		.amdhsa_system_sgpr_workgroup_info 0
		.amdhsa_system_vgpr_workitem_id 0
		.amdhsa_next_free_vgpr 1
		.amdhsa_next_free_sgpr 0
		.amdhsa_accum_offset 4
		.amdhsa_reserve_vcc 0
		.amdhsa_reserve_flat_scratch 0
		.amdhsa_float_round_mode_32 0
		.amdhsa_float_round_mode_16_64 0
		.amdhsa_float_denorm_mode_32 3
		.amdhsa_float_denorm_mode_16_64 3
		.amdhsa_dx10_clamp 1
		.amdhsa_ieee_mode 1
		.amdhsa_fp16_overflow 0
		.amdhsa_tg_split 0
		.amdhsa_exception_fp_ieee_invalid_op 0
		.amdhsa_exception_fp_denorm_src 0
		.amdhsa_exception_fp_ieee_div_zero 0
		.amdhsa_exception_fp_ieee_overflow 0
		.amdhsa_exception_fp_ieee_underflow 0
		.amdhsa_exception_fp_ieee_inexact 0
		.amdhsa_exception_int_div_zero 0
	.end_amdhsa_kernel
	.section	.text._ZN7rocprim17ROCPRIM_400000_NS6detail17trampoline_kernelINS0_14default_configENS1_35adjacent_difference_config_selectorILb1EfEEZNS1_24adjacent_difference_implIS3_Lb1ELb0EPfN6thrust23THRUST_200600_302600_NS16discard_iteratorINS9_11use_defaultEEENS9_5minusIfEEEE10hipError_tPvRmT2_T3_mT4_P12ihipStream_tbEUlT_E_NS1_11comp_targetILNS1_3genE3ELNS1_11target_archE908ELNS1_3gpuE7ELNS1_3repE0EEENS1_30default_config_static_selectorELNS0_4arch9wavefront6targetE1EEEvT1_,"axG",@progbits,_ZN7rocprim17ROCPRIM_400000_NS6detail17trampoline_kernelINS0_14default_configENS1_35adjacent_difference_config_selectorILb1EfEEZNS1_24adjacent_difference_implIS3_Lb1ELb0EPfN6thrust23THRUST_200600_302600_NS16discard_iteratorINS9_11use_defaultEEENS9_5minusIfEEEE10hipError_tPvRmT2_T3_mT4_P12ihipStream_tbEUlT_E_NS1_11comp_targetILNS1_3genE3ELNS1_11target_archE908ELNS1_3gpuE7ELNS1_3repE0EEENS1_30default_config_static_selectorELNS0_4arch9wavefront6targetE1EEEvT1_,comdat
.Lfunc_end781:
	.size	_ZN7rocprim17ROCPRIM_400000_NS6detail17trampoline_kernelINS0_14default_configENS1_35adjacent_difference_config_selectorILb1EfEEZNS1_24adjacent_difference_implIS3_Lb1ELb0EPfN6thrust23THRUST_200600_302600_NS16discard_iteratorINS9_11use_defaultEEENS9_5minusIfEEEE10hipError_tPvRmT2_T3_mT4_P12ihipStream_tbEUlT_E_NS1_11comp_targetILNS1_3genE3ELNS1_11target_archE908ELNS1_3gpuE7ELNS1_3repE0EEENS1_30default_config_static_selectorELNS0_4arch9wavefront6targetE1EEEvT1_, .Lfunc_end781-_ZN7rocprim17ROCPRIM_400000_NS6detail17trampoline_kernelINS0_14default_configENS1_35adjacent_difference_config_selectorILb1EfEEZNS1_24adjacent_difference_implIS3_Lb1ELb0EPfN6thrust23THRUST_200600_302600_NS16discard_iteratorINS9_11use_defaultEEENS9_5minusIfEEEE10hipError_tPvRmT2_T3_mT4_P12ihipStream_tbEUlT_E_NS1_11comp_targetILNS1_3genE3ELNS1_11target_archE908ELNS1_3gpuE7ELNS1_3repE0EEENS1_30default_config_static_selectorELNS0_4arch9wavefront6targetE1EEEvT1_
                                        ; -- End function
	.section	.AMDGPU.csdata,"",@progbits
; Kernel info:
; codeLenInByte = 0
; NumSgprs: 4
; NumVgprs: 0
; NumAgprs: 0
; TotalNumVgprs: 0
; ScratchSize: 0
; MemoryBound: 0
; FloatMode: 240
; IeeeMode: 1
; LDSByteSize: 0 bytes/workgroup (compile time only)
; SGPRBlocks: 0
; VGPRBlocks: 0
; NumSGPRsForWavesPerEU: 4
; NumVGPRsForWavesPerEU: 1
; AccumOffset: 4
; Occupancy: 8
; WaveLimiterHint : 0
; COMPUTE_PGM_RSRC2:SCRATCH_EN: 0
; COMPUTE_PGM_RSRC2:USER_SGPR: 6
; COMPUTE_PGM_RSRC2:TRAP_HANDLER: 0
; COMPUTE_PGM_RSRC2:TGID_X_EN: 1
; COMPUTE_PGM_RSRC2:TGID_Y_EN: 0
; COMPUTE_PGM_RSRC2:TGID_Z_EN: 0
; COMPUTE_PGM_RSRC2:TIDIG_COMP_CNT: 0
; COMPUTE_PGM_RSRC3_GFX90A:ACCUM_OFFSET: 0
; COMPUTE_PGM_RSRC3_GFX90A:TG_SPLIT: 0
	.section	.text._ZN7rocprim17ROCPRIM_400000_NS6detail17trampoline_kernelINS0_14default_configENS1_35adjacent_difference_config_selectorILb1EfEEZNS1_24adjacent_difference_implIS3_Lb1ELb0EPfN6thrust23THRUST_200600_302600_NS16discard_iteratorINS9_11use_defaultEEENS9_5minusIfEEEE10hipError_tPvRmT2_T3_mT4_P12ihipStream_tbEUlT_E_NS1_11comp_targetILNS1_3genE2ELNS1_11target_archE906ELNS1_3gpuE6ELNS1_3repE0EEENS1_30default_config_static_selectorELNS0_4arch9wavefront6targetE1EEEvT1_,"axG",@progbits,_ZN7rocprim17ROCPRIM_400000_NS6detail17trampoline_kernelINS0_14default_configENS1_35adjacent_difference_config_selectorILb1EfEEZNS1_24adjacent_difference_implIS3_Lb1ELb0EPfN6thrust23THRUST_200600_302600_NS16discard_iteratorINS9_11use_defaultEEENS9_5minusIfEEEE10hipError_tPvRmT2_T3_mT4_P12ihipStream_tbEUlT_E_NS1_11comp_targetILNS1_3genE2ELNS1_11target_archE906ELNS1_3gpuE6ELNS1_3repE0EEENS1_30default_config_static_selectorELNS0_4arch9wavefront6targetE1EEEvT1_,comdat
	.protected	_ZN7rocprim17ROCPRIM_400000_NS6detail17trampoline_kernelINS0_14default_configENS1_35adjacent_difference_config_selectorILb1EfEEZNS1_24adjacent_difference_implIS3_Lb1ELb0EPfN6thrust23THRUST_200600_302600_NS16discard_iteratorINS9_11use_defaultEEENS9_5minusIfEEEE10hipError_tPvRmT2_T3_mT4_P12ihipStream_tbEUlT_E_NS1_11comp_targetILNS1_3genE2ELNS1_11target_archE906ELNS1_3gpuE6ELNS1_3repE0EEENS1_30default_config_static_selectorELNS0_4arch9wavefront6targetE1EEEvT1_ ; -- Begin function _ZN7rocprim17ROCPRIM_400000_NS6detail17trampoline_kernelINS0_14default_configENS1_35adjacent_difference_config_selectorILb1EfEEZNS1_24adjacent_difference_implIS3_Lb1ELb0EPfN6thrust23THRUST_200600_302600_NS16discard_iteratorINS9_11use_defaultEEENS9_5minusIfEEEE10hipError_tPvRmT2_T3_mT4_P12ihipStream_tbEUlT_E_NS1_11comp_targetILNS1_3genE2ELNS1_11target_archE906ELNS1_3gpuE6ELNS1_3repE0EEENS1_30default_config_static_selectorELNS0_4arch9wavefront6targetE1EEEvT1_
	.globl	_ZN7rocprim17ROCPRIM_400000_NS6detail17trampoline_kernelINS0_14default_configENS1_35adjacent_difference_config_selectorILb1EfEEZNS1_24adjacent_difference_implIS3_Lb1ELb0EPfN6thrust23THRUST_200600_302600_NS16discard_iteratorINS9_11use_defaultEEENS9_5minusIfEEEE10hipError_tPvRmT2_T3_mT4_P12ihipStream_tbEUlT_E_NS1_11comp_targetILNS1_3genE2ELNS1_11target_archE906ELNS1_3gpuE6ELNS1_3repE0EEENS1_30default_config_static_selectorELNS0_4arch9wavefront6targetE1EEEvT1_
	.p2align	8
	.type	_ZN7rocprim17ROCPRIM_400000_NS6detail17trampoline_kernelINS0_14default_configENS1_35adjacent_difference_config_selectorILb1EfEEZNS1_24adjacent_difference_implIS3_Lb1ELb0EPfN6thrust23THRUST_200600_302600_NS16discard_iteratorINS9_11use_defaultEEENS9_5minusIfEEEE10hipError_tPvRmT2_T3_mT4_P12ihipStream_tbEUlT_E_NS1_11comp_targetILNS1_3genE2ELNS1_11target_archE906ELNS1_3gpuE6ELNS1_3repE0EEENS1_30default_config_static_selectorELNS0_4arch9wavefront6targetE1EEEvT1_,@function
_ZN7rocprim17ROCPRIM_400000_NS6detail17trampoline_kernelINS0_14default_configENS1_35adjacent_difference_config_selectorILb1EfEEZNS1_24adjacent_difference_implIS3_Lb1ELb0EPfN6thrust23THRUST_200600_302600_NS16discard_iteratorINS9_11use_defaultEEENS9_5minusIfEEEE10hipError_tPvRmT2_T3_mT4_P12ihipStream_tbEUlT_E_NS1_11comp_targetILNS1_3genE2ELNS1_11target_archE906ELNS1_3gpuE6ELNS1_3repE0EEENS1_30default_config_static_selectorELNS0_4arch9wavefront6targetE1EEEvT1_: ; @_ZN7rocprim17ROCPRIM_400000_NS6detail17trampoline_kernelINS0_14default_configENS1_35adjacent_difference_config_selectorILb1EfEEZNS1_24adjacent_difference_implIS3_Lb1ELb0EPfN6thrust23THRUST_200600_302600_NS16discard_iteratorINS9_11use_defaultEEENS9_5minusIfEEEE10hipError_tPvRmT2_T3_mT4_P12ihipStream_tbEUlT_E_NS1_11comp_targetILNS1_3genE2ELNS1_11target_archE906ELNS1_3gpuE6ELNS1_3repE0EEENS1_30default_config_static_selectorELNS0_4arch9wavefront6targetE1EEEvT1_
; %bb.0:
	.section	.rodata,"a",@progbits
	.p2align	6, 0x0
	.amdhsa_kernel _ZN7rocprim17ROCPRIM_400000_NS6detail17trampoline_kernelINS0_14default_configENS1_35adjacent_difference_config_selectorILb1EfEEZNS1_24adjacent_difference_implIS3_Lb1ELb0EPfN6thrust23THRUST_200600_302600_NS16discard_iteratorINS9_11use_defaultEEENS9_5minusIfEEEE10hipError_tPvRmT2_T3_mT4_P12ihipStream_tbEUlT_E_NS1_11comp_targetILNS1_3genE2ELNS1_11target_archE906ELNS1_3gpuE6ELNS1_3repE0EEENS1_30default_config_static_selectorELNS0_4arch9wavefront6targetE1EEEvT1_
		.amdhsa_group_segment_fixed_size 0
		.amdhsa_private_segment_fixed_size 0
		.amdhsa_kernarg_size 64
		.amdhsa_user_sgpr_count 6
		.amdhsa_user_sgpr_private_segment_buffer 1
		.amdhsa_user_sgpr_dispatch_ptr 0
		.amdhsa_user_sgpr_queue_ptr 0
		.amdhsa_user_sgpr_kernarg_segment_ptr 1
		.amdhsa_user_sgpr_dispatch_id 0
		.amdhsa_user_sgpr_flat_scratch_init 0
		.amdhsa_user_sgpr_kernarg_preload_length 0
		.amdhsa_user_sgpr_kernarg_preload_offset 0
		.amdhsa_user_sgpr_private_segment_size 0
		.amdhsa_uses_dynamic_stack 0
		.amdhsa_system_sgpr_private_segment_wavefront_offset 0
		.amdhsa_system_sgpr_workgroup_id_x 1
		.amdhsa_system_sgpr_workgroup_id_y 0
		.amdhsa_system_sgpr_workgroup_id_z 0
		.amdhsa_system_sgpr_workgroup_info 0
		.amdhsa_system_vgpr_workitem_id 0
		.amdhsa_next_free_vgpr 1
		.amdhsa_next_free_sgpr 0
		.amdhsa_accum_offset 4
		.amdhsa_reserve_vcc 0
		.amdhsa_reserve_flat_scratch 0
		.amdhsa_float_round_mode_32 0
		.amdhsa_float_round_mode_16_64 0
		.amdhsa_float_denorm_mode_32 3
		.amdhsa_float_denorm_mode_16_64 3
		.amdhsa_dx10_clamp 1
		.amdhsa_ieee_mode 1
		.amdhsa_fp16_overflow 0
		.amdhsa_tg_split 0
		.amdhsa_exception_fp_ieee_invalid_op 0
		.amdhsa_exception_fp_denorm_src 0
		.amdhsa_exception_fp_ieee_div_zero 0
		.amdhsa_exception_fp_ieee_overflow 0
		.amdhsa_exception_fp_ieee_underflow 0
		.amdhsa_exception_fp_ieee_inexact 0
		.amdhsa_exception_int_div_zero 0
	.end_amdhsa_kernel
	.section	.text._ZN7rocprim17ROCPRIM_400000_NS6detail17trampoline_kernelINS0_14default_configENS1_35adjacent_difference_config_selectorILb1EfEEZNS1_24adjacent_difference_implIS3_Lb1ELb0EPfN6thrust23THRUST_200600_302600_NS16discard_iteratorINS9_11use_defaultEEENS9_5minusIfEEEE10hipError_tPvRmT2_T3_mT4_P12ihipStream_tbEUlT_E_NS1_11comp_targetILNS1_3genE2ELNS1_11target_archE906ELNS1_3gpuE6ELNS1_3repE0EEENS1_30default_config_static_selectorELNS0_4arch9wavefront6targetE1EEEvT1_,"axG",@progbits,_ZN7rocprim17ROCPRIM_400000_NS6detail17trampoline_kernelINS0_14default_configENS1_35adjacent_difference_config_selectorILb1EfEEZNS1_24adjacent_difference_implIS3_Lb1ELb0EPfN6thrust23THRUST_200600_302600_NS16discard_iteratorINS9_11use_defaultEEENS9_5minusIfEEEE10hipError_tPvRmT2_T3_mT4_P12ihipStream_tbEUlT_E_NS1_11comp_targetILNS1_3genE2ELNS1_11target_archE906ELNS1_3gpuE6ELNS1_3repE0EEENS1_30default_config_static_selectorELNS0_4arch9wavefront6targetE1EEEvT1_,comdat
.Lfunc_end782:
	.size	_ZN7rocprim17ROCPRIM_400000_NS6detail17trampoline_kernelINS0_14default_configENS1_35adjacent_difference_config_selectorILb1EfEEZNS1_24adjacent_difference_implIS3_Lb1ELb0EPfN6thrust23THRUST_200600_302600_NS16discard_iteratorINS9_11use_defaultEEENS9_5minusIfEEEE10hipError_tPvRmT2_T3_mT4_P12ihipStream_tbEUlT_E_NS1_11comp_targetILNS1_3genE2ELNS1_11target_archE906ELNS1_3gpuE6ELNS1_3repE0EEENS1_30default_config_static_selectorELNS0_4arch9wavefront6targetE1EEEvT1_, .Lfunc_end782-_ZN7rocprim17ROCPRIM_400000_NS6detail17trampoline_kernelINS0_14default_configENS1_35adjacent_difference_config_selectorILb1EfEEZNS1_24adjacent_difference_implIS3_Lb1ELb0EPfN6thrust23THRUST_200600_302600_NS16discard_iteratorINS9_11use_defaultEEENS9_5minusIfEEEE10hipError_tPvRmT2_T3_mT4_P12ihipStream_tbEUlT_E_NS1_11comp_targetILNS1_3genE2ELNS1_11target_archE906ELNS1_3gpuE6ELNS1_3repE0EEENS1_30default_config_static_selectorELNS0_4arch9wavefront6targetE1EEEvT1_
                                        ; -- End function
	.section	.AMDGPU.csdata,"",@progbits
; Kernel info:
; codeLenInByte = 0
; NumSgprs: 4
; NumVgprs: 0
; NumAgprs: 0
; TotalNumVgprs: 0
; ScratchSize: 0
; MemoryBound: 0
; FloatMode: 240
; IeeeMode: 1
; LDSByteSize: 0 bytes/workgroup (compile time only)
; SGPRBlocks: 0
; VGPRBlocks: 0
; NumSGPRsForWavesPerEU: 4
; NumVGPRsForWavesPerEU: 1
; AccumOffset: 4
; Occupancy: 8
; WaveLimiterHint : 0
; COMPUTE_PGM_RSRC2:SCRATCH_EN: 0
; COMPUTE_PGM_RSRC2:USER_SGPR: 6
; COMPUTE_PGM_RSRC2:TRAP_HANDLER: 0
; COMPUTE_PGM_RSRC2:TGID_X_EN: 1
; COMPUTE_PGM_RSRC2:TGID_Y_EN: 0
; COMPUTE_PGM_RSRC2:TGID_Z_EN: 0
; COMPUTE_PGM_RSRC2:TIDIG_COMP_CNT: 0
; COMPUTE_PGM_RSRC3_GFX90A:ACCUM_OFFSET: 0
; COMPUTE_PGM_RSRC3_GFX90A:TG_SPLIT: 0
	.section	.text._ZN7rocprim17ROCPRIM_400000_NS6detail17trampoline_kernelINS0_14default_configENS1_35adjacent_difference_config_selectorILb1EfEEZNS1_24adjacent_difference_implIS3_Lb1ELb0EPfN6thrust23THRUST_200600_302600_NS16discard_iteratorINS9_11use_defaultEEENS9_5minusIfEEEE10hipError_tPvRmT2_T3_mT4_P12ihipStream_tbEUlT_E_NS1_11comp_targetILNS1_3genE9ELNS1_11target_archE1100ELNS1_3gpuE3ELNS1_3repE0EEENS1_30default_config_static_selectorELNS0_4arch9wavefront6targetE1EEEvT1_,"axG",@progbits,_ZN7rocprim17ROCPRIM_400000_NS6detail17trampoline_kernelINS0_14default_configENS1_35adjacent_difference_config_selectorILb1EfEEZNS1_24adjacent_difference_implIS3_Lb1ELb0EPfN6thrust23THRUST_200600_302600_NS16discard_iteratorINS9_11use_defaultEEENS9_5minusIfEEEE10hipError_tPvRmT2_T3_mT4_P12ihipStream_tbEUlT_E_NS1_11comp_targetILNS1_3genE9ELNS1_11target_archE1100ELNS1_3gpuE3ELNS1_3repE0EEENS1_30default_config_static_selectorELNS0_4arch9wavefront6targetE1EEEvT1_,comdat
	.protected	_ZN7rocprim17ROCPRIM_400000_NS6detail17trampoline_kernelINS0_14default_configENS1_35adjacent_difference_config_selectorILb1EfEEZNS1_24adjacent_difference_implIS3_Lb1ELb0EPfN6thrust23THRUST_200600_302600_NS16discard_iteratorINS9_11use_defaultEEENS9_5minusIfEEEE10hipError_tPvRmT2_T3_mT4_P12ihipStream_tbEUlT_E_NS1_11comp_targetILNS1_3genE9ELNS1_11target_archE1100ELNS1_3gpuE3ELNS1_3repE0EEENS1_30default_config_static_selectorELNS0_4arch9wavefront6targetE1EEEvT1_ ; -- Begin function _ZN7rocprim17ROCPRIM_400000_NS6detail17trampoline_kernelINS0_14default_configENS1_35adjacent_difference_config_selectorILb1EfEEZNS1_24adjacent_difference_implIS3_Lb1ELb0EPfN6thrust23THRUST_200600_302600_NS16discard_iteratorINS9_11use_defaultEEENS9_5minusIfEEEE10hipError_tPvRmT2_T3_mT4_P12ihipStream_tbEUlT_E_NS1_11comp_targetILNS1_3genE9ELNS1_11target_archE1100ELNS1_3gpuE3ELNS1_3repE0EEENS1_30default_config_static_selectorELNS0_4arch9wavefront6targetE1EEEvT1_
	.globl	_ZN7rocprim17ROCPRIM_400000_NS6detail17trampoline_kernelINS0_14default_configENS1_35adjacent_difference_config_selectorILb1EfEEZNS1_24adjacent_difference_implIS3_Lb1ELb0EPfN6thrust23THRUST_200600_302600_NS16discard_iteratorINS9_11use_defaultEEENS9_5minusIfEEEE10hipError_tPvRmT2_T3_mT4_P12ihipStream_tbEUlT_E_NS1_11comp_targetILNS1_3genE9ELNS1_11target_archE1100ELNS1_3gpuE3ELNS1_3repE0EEENS1_30default_config_static_selectorELNS0_4arch9wavefront6targetE1EEEvT1_
	.p2align	8
	.type	_ZN7rocprim17ROCPRIM_400000_NS6detail17trampoline_kernelINS0_14default_configENS1_35adjacent_difference_config_selectorILb1EfEEZNS1_24adjacent_difference_implIS3_Lb1ELb0EPfN6thrust23THRUST_200600_302600_NS16discard_iteratorINS9_11use_defaultEEENS9_5minusIfEEEE10hipError_tPvRmT2_T3_mT4_P12ihipStream_tbEUlT_E_NS1_11comp_targetILNS1_3genE9ELNS1_11target_archE1100ELNS1_3gpuE3ELNS1_3repE0EEENS1_30default_config_static_selectorELNS0_4arch9wavefront6targetE1EEEvT1_,@function
_ZN7rocprim17ROCPRIM_400000_NS6detail17trampoline_kernelINS0_14default_configENS1_35adjacent_difference_config_selectorILb1EfEEZNS1_24adjacent_difference_implIS3_Lb1ELb0EPfN6thrust23THRUST_200600_302600_NS16discard_iteratorINS9_11use_defaultEEENS9_5minusIfEEEE10hipError_tPvRmT2_T3_mT4_P12ihipStream_tbEUlT_E_NS1_11comp_targetILNS1_3genE9ELNS1_11target_archE1100ELNS1_3gpuE3ELNS1_3repE0EEENS1_30default_config_static_selectorELNS0_4arch9wavefront6targetE1EEEvT1_: ; @_ZN7rocprim17ROCPRIM_400000_NS6detail17trampoline_kernelINS0_14default_configENS1_35adjacent_difference_config_selectorILb1EfEEZNS1_24adjacent_difference_implIS3_Lb1ELb0EPfN6thrust23THRUST_200600_302600_NS16discard_iteratorINS9_11use_defaultEEENS9_5minusIfEEEE10hipError_tPvRmT2_T3_mT4_P12ihipStream_tbEUlT_E_NS1_11comp_targetILNS1_3genE9ELNS1_11target_archE1100ELNS1_3gpuE3ELNS1_3repE0EEENS1_30default_config_static_selectorELNS0_4arch9wavefront6targetE1EEEvT1_
; %bb.0:
	.section	.rodata,"a",@progbits
	.p2align	6, 0x0
	.amdhsa_kernel _ZN7rocprim17ROCPRIM_400000_NS6detail17trampoline_kernelINS0_14default_configENS1_35adjacent_difference_config_selectorILb1EfEEZNS1_24adjacent_difference_implIS3_Lb1ELb0EPfN6thrust23THRUST_200600_302600_NS16discard_iteratorINS9_11use_defaultEEENS9_5minusIfEEEE10hipError_tPvRmT2_T3_mT4_P12ihipStream_tbEUlT_E_NS1_11comp_targetILNS1_3genE9ELNS1_11target_archE1100ELNS1_3gpuE3ELNS1_3repE0EEENS1_30default_config_static_selectorELNS0_4arch9wavefront6targetE1EEEvT1_
		.amdhsa_group_segment_fixed_size 0
		.amdhsa_private_segment_fixed_size 0
		.amdhsa_kernarg_size 64
		.amdhsa_user_sgpr_count 6
		.amdhsa_user_sgpr_private_segment_buffer 1
		.amdhsa_user_sgpr_dispatch_ptr 0
		.amdhsa_user_sgpr_queue_ptr 0
		.amdhsa_user_sgpr_kernarg_segment_ptr 1
		.amdhsa_user_sgpr_dispatch_id 0
		.amdhsa_user_sgpr_flat_scratch_init 0
		.amdhsa_user_sgpr_kernarg_preload_length 0
		.amdhsa_user_sgpr_kernarg_preload_offset 0
		.amdhsa_user_sgpr_private_segment_size 0
		.amdhsa_uses_dynamic_stack 0
		.amdhsa_system_sgpr_private_segment_wavefront_offset 0
		.amdhsa_system_sgpr_workgroup_id_x 1
		.amdhsa_system_sgpr_workgroup_id_y 0
		.amdhsa_system_sgpr_workgroup_id_z 0
		.amdhsa_system_sgpr_workgroup_info 0
		.amdhsa_system_vgpr_workitem_id 0
		.amdhsa_next_free_vgpr 1
		.amdhsa_next_free_sgpr 0
		.amdhsa_accum_offset 4
		.amdhsa_reserve_vcc 0
		.amdhsa_reserve_flat_scratch 0
		.amdhsa_float_round_mode_32 0
		.amdhsa_float_round_mode_16_64 0
		.amdhsa_float_denorm_mode_32 3
		.amdhsa_float_denorm_mode_16_64 3
		.amdhsa_dx10_clamp 1
		.amdhsa_ieee_mode 1
		.amdhsa_fp16_overflow 0
		.amdhsa_tg_split 0
		.amdhsa_exception_fp_ieee_invalid_op 0
		.amdhsa_exception_fp_denorm_src 0
		.amdhsa_exception_fp_ieee_div_zero 0
		.amdhsa_exception_fp_ieee_overflow 0
		.amdhsa_exception_fp_ieee_underflow 0
		.amdhsa_exception_fp_ieee_inexact 0
		.amdhsa_exception_int_div_zero 0
	.end_amdhsa_kernel
	.section	.text._ZN7rocprim17ROCPRIM_400000_NS6detail17trampoline_kernelINS0_14default_configENS1_35adjacent_difference_config_selectorILb1EfEEZNS1_24adjacent_difference_implIS3_Lb1ELb0EPfN6thrust23THRUST_200600_302600_NS16discard_iteratorINS9_11use_defaultEEENS9_5minusIfEEEE10hipError_tPvRmT2_T3_mT4_P12ihipStream_tbEUlT_E_NS1_11comp_targetILNS1_3genE9ELNS1_11target_archE1100ELNS1_3gpuE3ELNS1_3repE0EEENS1_30default_config_static_selectorELNS0_4arch9wavefront6targetE1EEEvT1_,"axG",@progbits,_ZN7rocprim17ROCPRIM_400000_NS6detail17trampoline_kernelINS0_14default_configENS1_35adjacent_difference_config_selectorILb1EfEEZNS1_24adjacent_difference_implIS3_Lb1ELb0EPfN6thrust23THRUST_200600_302600_NS16discard_iteratorINS9_11use_defaultEEENS9_5minusIfEEEE10hipError_tPvRmT2_T3_mT4_P12ihipStream_tbEUlT_E_NS1_11comp_targetILNS1_3genE9ELNS1_11target_archE1100ELNS1_3gpuE3ELNS1_3repE0EEENS1_30default_config_static_selectorELNS0_4arch9wavefront6targetE1EEEvT1_,comdat
.Lfunc_end783:
	.size	_ZN7rocprim17ROCPRIM_400000_NS6detail17trampoline_kernelINS0_14default_configENS1_35adjacent_difference_config_selectorILb1EfEEZNS1_24adjacent_difference_implIS3_Lb1ELb0EPfN6thrust23THRUST_200600_302600_NS16discard_iteratorINS9_11use_defaultEEENS9_5minusIfEEEE10hipError_tPvRmT2_T3_mT4_P12ihipStream_tbEUlT_E_NS1_11comp_targetILNS1_3genE9ELNS1_11target_archE1100ELNS1_3gpuE3ELNS1_3repE0EEENS1_30default_config_static_selectorELNS0_4arch9wavefront6targetE1EEEvT1_, .Lfunc_end783-_ZN7rocprim17ROCPRIM_400000_NS6detail17trampoline_kernelINS0_14default_configENS1_35adjacent_difference_config_selectorILb1EfEEZNS1_24adjacent_difference_implIS3_Lb1ELb0EPfN6thrust23THRUST_200600_302600_NS16discard_iteratorINS9_11use_defaultEEENS9_5minusIfEEEE10hipError_tPvRmT2_T3_mT4_P12ihipStream_tbEUlT_E_NS1_11comp_targetILNS1_3genE9ELNS1_11target_archE1100ELNS1_3gpuE3ELNS1_3repE0EEENS1_30default_config_static_selectorELNS0_4arch9wavefront6targetE1EEEvT1_
                                        ; -- End function
	.section	.AMDGPU.csdata,"",@progbits
; Kernel info:
; codeLenInByte = 0
; NumSgprs: 4
; NumVgprs: 0
; NumAgprs: 0
; TotalNumVgprs: 0
; ScratchSize: 0
; MemoryBound: 0
; FloatMode: 240
; IeeeMode: 1
; LDSByteSize: 0 bytes/workgroup (compile time only)
; SGPRBlocks: 0
; VGPRBlocks: 0
; NumSGPRsForWavesPerEU: 4
; NumVGPRsForWavesPerEU: 1
; AccumOffset: 4
; Occupancy: 8
; WaveLimiterHint : 0
; COMPUTE_PGM_RSRC2:SCRATCH_EN: 0
; COMPUTE_PGM_RSRC2:USER_SGPR: 6
; COMPUTE_PGM_RSRC2:TRAP_HANDLER: 0
; COMPUTE_PGM_RSRC2:TGID_X_EN: 1
; COMPUTE_PGM_RSRC2:TGID_Y_EN: 0
; COMPUTE_PGM_RSRC2:TGID_Z_EN: 0
; COMPUTE_PGM_RSRC2:TIDIG_COMP_CNT: 0
; COMPUTE_PGM_RSRC3_GFX90A:ACCUM_OFFSET: 0
; COMPUTE_PGM_RSRC3_GFX90A:TG_SPLIT: 0
	.section	.text._ZN7rocprim17ROCPRIM_400000_NS6detail17trampoline_kernelINS0_14default_configENS1_35adjacent_difference_config_selectorILb1EfEEZNS1_24adjacent_difference_implIS3_Lb1ELb0EPfN6thrust23THRUST_200600_302600_NS16discard_iteratorINS9_11use_defaultEEENS9_5minusIfEEEE10hipError_tPvRmT2_T3_mT4_P12ihipStream_tbEUlT_E_NS1_11comp_targetILNS1_3genE8ELNS1_11target_archE1030ELNS1_3gpuE2ELNS1_3repE0EEENS1_30default_config_static_selectorELNS0_4arch9wavefront6targetE1EEEvT1_,"axG",@progbits,_ZN7rocprim17ROCPRIM_400000_NS6detail17trampoline_kernelINS0_14default_configENS1_35adjacent_difference_config_selectorILb1EfEEZNS1_24adjacent_difference_implIS3_Lb1ELb0EPfN6thrust23THRUST_200600_302600_NS16discard_iteratorINS9_11use_defaultEEENS9_5minusIfEEEE10hipError_tPvRmT2_T3_mT4_P12ihipStream_tbEUlT_E_NS1_11comp_targetILNS1_3genE8ELNS1_11target_archE1030ELNS1_3gpuE2ELNS1_3repE0EEENS1_30default_config_static_selectorELNS0_4arch9wavefront6targetE1EEEvT1_,comdat
	.protected	_ZN7rocprim17ROCPRIM_400000_NS6detail17trampoline_kernelINS0_14default_configENS1_35adjacent_difference_config_selectorILb1EfEEZNS1_24adjacent_difference_implIS3_Lb1ELb0EPfN6thrust23THRUST_200600_302600_NS16discard_iteratorINS9_11use_defaultEEENS9_5minusIfEEEE10hipError_tPvRmT2_T3_mT4_P12ihipStream_tbEUlT_E_NS1_11comp_targetILNS1_3genE8ELNS1_11target_archE1030ELNS1_3gpuE2ELNS1_3repE0EEENS1_30default_config_static_selectorELNS0_4arch9wavefront6targetE1EEEvT1_ ; -- Begin function _ZN7rocprim17ROCPRIM_400000_NS6detail17trampoline_kernelINS0_14default_configENS1_35adjacent_difference_config_selectorILb1EfEEZNS1_24adjacent_difference_implIS3_Lb1ELb0EPfN6thrust23THRUST_200600_302600_NS16discard_iteratorINS9_11use_defaultEEENS9_5minusIfEEEE10hipError_tPvRmT2_T3_mT4_P12ihipStream_tbEUlT_E_NS1_11comp_targetILNS1_3genE8ELNS1_11target_archE1030ELNS1_3gpuE2ELNS1_3repE0EEENS1_30default_config_static_selectorELNS0_4arch9wavefront6targetE1EEEvT1_
	.globl	_ZN7rocprim17ROCPRIM_400000_NS6detail17trampoline_kernelINS0_14default_configENS1_35adjacent_difference_config_selectorILb1EfEEZNS1_24adjacent_difference_implIS3_Lb1ELb0EPfN6thrust23THRUST_200600_302600_NS16discard_iteratorINS9_11use_defaultEEENS9_5minusIfEEEE10hipError_tPvRmT2_T3_mT4_P12ihipStream_tbEUlT_E_NS1_11comp_targetILNS1_3genE8ELNS1_11target_archE1030ELNS1_3gpuE2ELNS1_3repE0EEENS1_30default_config_static_selectorELNS0_4arch9wavefront6targetE1EEEvT1_
	.p2align	8
	.type	_ZN7rocprim17ROCPRIM_400000_NS6detail17trampoline_kernelINS0_14default_configENS1_35adjacent_difference_config_selectorILb1EfEEZNS1_24adjacent_difference_implIS3_Lb1ELb0EPfN6thrust23THRUST_200600_302600_NS16discard_iteratorINS9_11use_defaultEEENS9_5minusIfEEEE10hipError_tPvRmT2_T3_mT4_P12ihipStream_tbEUlT_E_NS1_11comp_targetILNS1_3genE8ELNS1_11target_archE1030ELNS1_3gpuE2ELNS1_3repE0EEENS1_30default_config_static_selectorELNS0_4arch9wavefront6targetE1EEEvT1_,@function
_ZN7rocprim17ROCPRIM_400000_NS6detail17trampoline_kernelINS0_14default_configENS1_35adjacent_difference_config_selectorILb1EfEEZNS1_24adjacent_difference_implIS3_Lb1ELb0EPfN6thrust23THRUST_200600_302600_NS16discard_iteratorINS9_11use_defaultEEENS9_5minusIfEEEE10hipError_tPvRmT2_T3_mT4_P12ihipStream_tbEUlT_E_NS1_11comp_targetILNS1_3genE8ELNS1_11target_archE1030ELNS1_3gpuE2ELNS1_3repE0EEENS1_30default_config_static_selectorELNS0_4arch9wavefront6targetE1EEEvT1_: ; @_ZN7rocprim17ROCPRIM_400000_NS6detail17trampoline_kernelINS0_14default_configENS1_35adjacent_difference_config_selectorILb1EfEEZNS1_24adjacent_difference_implIS3_Lb1ELb0EPfN6thrust23THRUST_200600_302600_NS16discard_iteratorINS9_11use_defaultEEENS9_5minusIfEEEE10hipError_tPvRmT2_T3_mT4_P12ihipStream_tbEUlT_E_NS1_11comp_targetILNS1_3genE8ELNS1_11target_archE1030ELNS1_3gpuE2ELNS1_3repE0EEENS1_30default_config_static_selectorELNS0_4arch9wavefront6targetE1EEEvT1_
; %bb.0:
	.section	.rodata,"a",@progbits
	.p2align	6, 0x0
	.amdhsa_kernel _ZN7rocprim17ROCPRIM_400000_NS6detail17trampoline_kernelINS0_14default_configENS1_35adjacent_difference_config_selectorILb1EfEEZNS1_24adjacent_difference_implIS3_Lb1ELb0EPfN6thrust23THRUST_200600_302600_NS16discard_iteratorINS9_11use_defaultEEENS9_5minusIfEEEE10hipError_tPvRmT2_T3_mT4_P12ihipStream_tbEUlT_E_NS1_11comp_targetILNS1_3genE8ELNS1_11target_archE1030ELNS1_3gpuE2ELNS1_3repE0EEENS1_30default_config_static_selectorELNS0_4arch9wavefront6targetE1EEEvT1_
		.amdhsa_group_segment_fixed_size 0
		.amdhsa_private_segment_fixed_size 0
		.amdhsa_kernarg_size 64
		.amdhsa_user_sgpr_count 6
		.amdhsa_user_sgpr_private_segment_buffer 1
		.amdhsa_user_sgpr_dispatch_ptr 0
		.amdhsa_user_sgpr_queue_ptr 0
		.amdhsa_user_sgpr_kernarg_segment_ptr 1
		.amdhsa_user_sgpr_dispatch_id 0
		.amdhsa_user_sgpr_flat_scratch_init 0
		.amdhsa_user_sgpr_kernarg_preload_length 0
		.amdhsa_user_sgpr_kernarg_preload_offset 0
		.amdhsa_user_sgpr_private_segment_size 0
		.amdhsa_uses_dynamic_stack 0
		.amdhsa_system_sgpr_private_segment_wavefront_offset 0
		.amdhsa_system_sgpr_workgroup_id_x 1
		.amdhsa_system_sgpr_workgroup_id_y 0
		.amdhsa_system_sgpr_workgroup_id_z 0
		.amdhsa_system_sgpr_workgroup_info 0
		.amdhsa_system_vgpr_workitem_id 0
		.amdhsa_next_free_vgpr 1
		.amdhsa_next_free_sgpr 0
		.amdhsa_accum_offset 4
		.amdhsa_reserve_vcc 0
		.amdhsa_reserve_flat_scratch 0
		.amdhsa_float_round_mode_32 0
		.amdhsa_float_round_mode_16_64 0
		.amdhsa_float_denorm_mode_32 3
		.amdhsa_float_denorm_mode_16_64 3
		.amdhsa_dx10_clamp 1
		.amdhsa_ieee_mode 1
		.amdhsa_fp16_overflow 0
		.amdhsa_tg_split 0
		.amdhsa_exception_fp_ieee_invalid_op 0
		.amdhsa_exception_fp_denorm_src 0
		.amdhsa_exception_fp_ieee_div_zero 0
		.amdhsa_exception_fp_ieee_overflow 0
		.amdhsa_exception_fp_ieee_underflow 0
		.amdhsa_exception_fp_ieee_inexact 0
		.amdhsa_exception_int_div_zero 0
	.end_amdhsa_kernel
	.section	.text._ZN7rocprim17ROCPRIM_400000_NS6detail17trampoline_kernelINS0_14default_configENS1_35adjacent_difference_config_selectorILb1EfEEZNS1_24adjacent_difference_implIS3_Lb1ELb0EPfN6thrust23THRUST_200600_302600_NS16discard_iteratorINS9_11use_defaultEEENS9_5minusIfEEEE10hipError_tPvRmT2_T3_mT4_P12ihipStream_tbEUlT_E_NS1_11comp_targetILNS1_3genE8ELNS1_11target_archE1030ELNS1_3gpuE2ELNS1_3repE0EEENS1_30default_config_static_selectorELNS0_4arch9wavefront6targetE1EEEvT1_,"axG",@progbits,_ZN7rocprim17ROCPRIM_400000_NS6detail17trampoline_kernelINS0_14default_configENS1_35adjacent_difference_config_selectorILb1EfEEZNS1_24adjacent_difference_implIS3_Lb1ELb0EPfN6thrust23THRUST_200600_302600_NS16discard_iteratorINS9_11use_defaultEEENS9_5minusIfEEEE10hipError_tPvRmT2_T3_mT4_P12ihipStream_tbEUlT_E_NS1_11comp_targetILNS1_3genE8ELNS1_11target_archE1030ELNS1_3gpuE2ELNS1_3repE0EEENS1_30default_config_static_selectorELNS0_4arch9wavefront6targetE1EEEvT1_,comdat
.Lfunc_end784:
	.size	_ZN7rocprim17ROCPRIM_400000_NS6detail17trampoline_kernelINS0_14default_configENS1_35adjacent_difference_config_selectorILb1EfEEZNS1_24adjacent_difference_implIS3_Lb1ELb0EPfN6thrust23THRUST_200600_302600_NS16discard_iteratorINS9_11use_defaultEEENS9_5minusIfEEEE10hipError_tPvRmT2_T3_mT4_P12ihipStream_tbEUlT_E_NS1_11comp_targetILNS1_3genE8ELNS1_11target_archE1030ELNS1_3gpuE2ELNS1_3repE0EEENS1_30default_config_static_selectorELNS0_4arch9wavefront6targetE1EEEvT1_, .Lfunc_end784-_ZN7rocprim17ROCPRIM_400000_NS6detail17trampoline_kernelINS0_14default_configENS1_35adjacent_difference_config_selectorILb1EfEEZNS1_24adjacent_difference_implIS3_Lb1ELb0EPfN6thrust23THRUST_200600_302600_NS16discard_iteratorINS9_11use_defaultEEENS9_5minusIfEEEE10hipError_tPvRmT2_T3_mT4_P12ihipStream_tbEUlT_E_NS1_11comp_targetILNS1_3genE8ELNS1_11target_archE1030ELNS1_3gpuE2ELNS1_3repE0EEENS1_30default_config_static_selectorELNS0_4arch9wavefront6targetE1EEEvT1_
                                        ; -- End function
	.section	.AMDGPU.csdata,"",@progbits
; Kernel info:
; codeLenInByte = 0
; NumSgprs: 4
; NumVgprs: 0
; NumAgprs: 0
; TotalNumVgprs: 0
; ScratchSize: 0
; MemoryBound: 0
; FloatMode: 240
; IeeeMode: 1
; LDSByteSize: 0 bytes/workgroup (compile time only)
; SGPRBlocks: 0
; VGPRBlocks: 0
; NumSGPRsForWavesPerEU: 4
; NumVGPRsForWavesPerEU: 1
; AccumOffset: 4
; Occupancy: 8
; WaveLimiterHint : 0
; COMPUTE_PGM_RSRC2:SCRATCH_EN: 0
; COMPUTE_PGM_RSRC2:USER_SGPR: 6
; COMPUTE_PGM_RSRC2:TRAP_HANDLER: 0
; COMPUTE_PGM_RSRC2:TGID_X_EN: 1
; COMPUTE_PGM_RSRC2:TGID_Y_EN: 0
; COMPUTE_PGM_RSRC2:TGID_Z_EN: 0
; COMPUTE_PGM_RSRC2:TIDIG_COMP_CNT: 0
; COMPUTE_PGM_RSRC3_GFX90A:ACCUM_OFFSET: 0
; COMPUTE_PGM_RSRC3_GFX90A:TG_SPLIT: 0
	.section	.text._ZN7rocprim17ROCPRIM_400000_NS6detail17trampoline_kernelINS0_14default_configENS1_25transform_config_selectorIdLb0EEEZNS1_14transform_implILb0ES3_S5_NS0_18transform_iteratorINS0_17counting_iteratorImlEEZNS1_24adjacent_difference_implIS3_Lb1ELb0EPdN6thrust23THRUST_200600_302600_NS16discard_iteratorINSD_11use_defaultEEENSD_5minusIdEEEE10hipError_tPvRmT2_T3_mT4_P12ihipStream_tbEUlmE_dEESB_NS0_8identityIvEEEESJ_SM_SN_mSO_SQ_bEUlT_E_NS1_11comp_targetILNS1_3genE0ELNS1_11target_archE4294967295ELNS1_3gpuE0ELNS1_3repE0EEENS1_30default_config_static_selectorELNS0_4arch9wavefront6targetE1EEEvT1_,"axG",@progbits,_ZN7rocprim17ROCPRIM_400000_NS6detail17trampoline_kernelINS0_14default_configENS1_25transform_config_selectorIdLb0EEEZNS1_14transform_implILb0ES3_S5_NS0_18transform_iteratorINS0_17counting_iteratorImlEEZNS1_24adjacent_difference_implIS3_Lb1ELb0EPdN6thrust23THRUST_200600_302600_NS16discard_iteratorINSD_11use_defaultEEENSD_5minusIdEEEE10hipError_tPvRmT2_T3_mT4_P12ihipStream_tbEUlmE_dEESB_NS0_8identityIvEEEESJ_SM_SN_mSO_SQ_bEUlT_E_NS1_11comp_targetILNS1_3genE0ELNS1_11target_archE4294967295ELNS1_3gpuE0ELNS1_3repE0EEENS1_30default_config_static_selectorELNS0_4arch9wavefront6targetE1EEEvT1_,comdat
	.protected	_ZN7rocprim17ROCPRIM_400000_NS6detail17trampoline_kernelINS0_14default_configENS1_25transform_config_selectorIdLb0EEEZNS1_14transform_implILb0ES3_S5_NS0_18transform_iteratorINS0_17counting_iteratorImlEEZNS1_24adjacent_difference_implIS3_Lb1ELb0EPdN6thrust23THRUST_200600_302600_NS16discard_iteratorINSD_11use_defaultEEENSD_5minusIdEEEE10hipError_tPvRmT2_T3_mT4_P12ihipStream_tbEUlmE_dEESB_NS0_8identityIvEEEESJ_SM_SN_mSO_SQ_bEUlT_E_NS1_11comp_targetILNS1_3genE0ELNS1_11target_archE4294967295ELNS1_3gpuE0ELNS1_3repE0EEENS1_30default_config_static_selectorELNS0_4arch9wavefront6targetE1EEEvT1_ ; -- Begin function _ZN7rocprim17ROCPRIM_400000_NS6detail17trampoline_kernelINS0_14default_configENS1_25transform_config_selectorIdLb0EEEZNS1_14transform_implILb0ES3_S5_NS0_18transform_iteratorINS0_17counting_iteratorImlEEZNS1_24adjacent_difference_implIS3_Lb1ELb0EPdN6thrust23THRUST_200600_302600_NS16discard_iteratorINSD_11use_defaultEEENSD_5minusIdEEEE10hipError_tPvRmT2_T3_mT4_P12ihipStream_tbEUlmE_dEESB_NS0_8identityIvEEEESJ_SM_SN_mSO_SQ_bEUlT_E_NS1_11comp_targetILNS1_3genE0ELNS1_11target_archE4294967295ELNS1_3gpuE0ELNS1_3repE0EEENS1_30default_config_static_selectorELNS0_4arch9wavefront6targetE1EEEvT1_
	.globl	_ZN7rocprim17ROCPRIM_400000_NS6detail17trampoline_kernelINS0_14default_configENS1_25transform_config_selectorIdLb0EEEZNS1_14transform_implILb0ES3_S5_NS0_18transform_iteratorINS0_17counting_iteratorImlEEZNS1_24adjacent_difference_implIS3_Lb1ELb0EPdN6thrust23THRUST_200600_302600_NS16discard_iteratorINSD_11use_defaultEEENSD_5minusIdEEEE10hipError_tPvRmT2_T3_mT4_P12ihipStream_tbEUlmE_dEESB_NS0_8identityIvEEEESJ_SM_SN_mSO_SQ_bEUlT_E_NS1_11comp_targetILNS1_3genE0ELNS1_11target_archE4294967295ELNS1_3gpuE0ELNS1_3repE0EEENS1_30default_config_static_selectorELNS0_4arch9wavefront6targetE1EEEvT1_
	.p2align	8
	.type	_ZN7rocprim17ROCPRIM_400000_NS6detail17trampoline_kernelINS0_14default_configENS1_25transform_config_selectorIdLb0EEEZNS1_14transform_implILb0ES3_S5_NS0_18transform_iteratorINS0_17counting_iteratorImlEEZNS1_24adjacent_difference_implIS3_Lb1ELb0EPdN6thrust23THRUST_200600_302600_NS16discard_iteratorINSD_11use_defaultEEENSD_5minusIdEEEE10hipError_tPvRmT2_T3_mT4_P12ihipStream_tbEUlmE_dEESB_NS0_8identityIvEEEESJ_SM_SN_mSO_SQ_bEUlT_E_NS1_11comp_targetILNS1_3genE0ELNS1_11target_archE4294967295ELNS1_3gpuE0ELNS1_3repE0EEENS1_30default_config_static_selectorELNS0_4arch9wavefront6targetE1EEEvT1_,@function
_ZN7rocprim17ROCPRIM_400000_NS6detail17trampoline_kernelINS0_14default_configENS1_25transform_config_selectorIdLb0EEEZNS1_14transform_implILb0ES3_S5_NS0_18transform_iteratorINS0_17counting_iteratorImlEEZNS1_24adjacent_difference_implIS3_Lb1ELb0EPdN6thrust23THRUST_200600_302600_NS16discard_iteratorINSD_11use_defaultEEENSD_5minusIdEEEE10hipError_tPvRmT2_T3_mT4_P12ihipStream_tbEUlmE_dEESB_NS0_8identityIvEEEESJ_SM_SN_mSO_SQ_bEUlT_E_NS1_11comp_targetILNS1_3genE0ELNS1_11target_archE4294967295ELNS1_3gpuE0ELNS1_3repE0EEENS1_30default_config_static_selectorELNS0_4arch9wavefront6targetE1EEEvT1_: ; @_ZN7rocprim17ROCPRIM_400000_NS6detail17trampoline_kernelINS0_14default_configENS1_25transform_config_selectorIdLb0EEEZNS1_14transform_implILb0ES3_S5_NS0_18transform_iteratorINS0_17counting_iteratorImlEEZNS1_24adjacent_difference_implIS3_Lb1ELb0EPdN6thrust23THRUST_200600_302600_NS16discard_iteratorINSD_11use_defaultEEENSD_5minusIdEEEE10hipError_tPvRmT2_T3_mT4_P12ihipStream_tbEUlmE_dEESB_NS0_8identityIvEEEESJ_SM_SN_mSO_SQ_bEUlT_E_NS1_11comp_targetILNS1_3genE0ELNS1_11target_archE4294967295ELNS1_3gpuE0ELNS1_3repE0EEENS1_30default_config_static_selectorELNS0_4arch9wavefront6targetE1EEEvT1_
; %bb.0:
	.section	.rodata,"a",@progbits
	.p2align	6, 0x0
	.amdhsa_kernel _ZN7rocprim17ROCPRIM_400000_NS6detail17trampoline_kernelINS0_14default_configENS1_25transform_config_selectorIdLb0EEEZNS1_14transform_implILb0ES3_S5_NS0_18transform_iteratorINS0_17counting_iteratorImlEEZNS1_24adjacent_difference_implIS3_Lb1ELb0EPdN6thrust23THRUST_200600_302600_NS16discard_iteratorINSD_11use_defaultEEENSD_5minusIdEEEE10hipError_tPvRmT2_T3_mT4_P12ihipStream_tbEUlmE_dEESB_NS0_8identityIvEEEESJ_SM_SN_mSO_SQ_bEUlT_E_NS1_11comp_targetILNS1_3genE0ELNS1_11target_archE4294967295ELNS1_3gpuE0ELNS1_3repE0EEENS1_30default_config_static_selectorELNS0_4arch9wavefront6targetE1EEEvT1_
		.amdhsa_group_segment_fixed_size 0
		.amdhsa_private_segment_fixed_size 0
		.amdhsa_kernarg_size 56
		.amdhsa_user_sgpr_count 6
		.amdhsa_user_sgpr_private_segment_buffer 1
		.amdhsa_user_sgpr_dispatch_ptr 0
		.amdhsa_user_sgpr_queue_ptr 0
		.amdhsa_user_sgpr_kernarg_segment_ptr 1
		.amdhsa_user_sgpr_dispatch_id 0
		.amdhsa_user_sgpr_flat_scratch_init 0
		.amdhsa_user_sgpr_kernarg_preload_length 0
		.amdhsa_user_sgpr_kernarg_preload_offset 0
		.amdhsa_user_sgpr_private_segment_size 0
		.amdhsa_uses_dynamic_stack 0
		.amdhsa_system_sgpr_private_segment_wavefront_offset 0
		.amdhsa_system_sgpr_workgroup_id_x 1
		.amdhsa_system_sgpr_workgroup_id_y 0
		.amdhsa_system_sgpr_workgroup_id_z 0
		.amdhsa_system_sgpr_workgroup_info 0
		.amdhsa_system_vgpr_workitem_id 0
		.amdhsa_next_free_vgpr 1
		.amdhsa_next_free_sgpr 0
		.amdhsa_accum_offset 4
		.amdhsa_reserve_vcc 0
		.amdhsa_reserve_flat_scratch 0
		.amdhsa_float_round_mode_32 0
		.amdhsa_float_round_mode_16_64 0
		.amdhsa_float_denorm_mode_32 3
		.amdhsa_float_denorm_mode_16_64 3
		.amdhsa_dx10_clamp 1
		.amdhsa_ieee_mode 1
		.amdhsa_fp16_overflow 0
		.amdhsa_tg_split 0
		.amdhsa_exception_fp_ieee_invalid_op 0
		.amdhsa_exception_fp_denorm_src 0
		.amdhsa_exception_fp_ieee_div_zero 0
		.amdhsa_exception_fp_ieee_overflow 0
		.amdhsa_exception_fp_ieee_underflow 0
		.amdhsa_exception_fp_ieee_inexact 0
		.amdhsa_exception_int_div_zero 0
	.end_amdhsa_kernel
	.section	.text._ZN7rocprim17ROCPRIM_400000_NS6detail17trampoline_kernelINS0_14default_configENS1_25transform_config_selectorIdLb0EEEZNS1_14transform_implILb0ES3_S5_NS0_18transform_iteratorINS0_17counting_iteratorImlEEZNS1_24adjacent_difference_implIS3_Lb1ELb0EPdN6thrust23THRUST_200600_302600_NS16discard_iteratorINSD_11use_defaultEEENSD_5minusIdEEEE10hipError_tPvRmT2_T3_mT4_P12ihipStream_tbEUlmE_dEESB_NS0_8identityIvEEEESJ_SM_SN_mSO_SQ_bEUlT_E_NS1_11comp_targetILNS1_3genE0ELNS1_11target_archE4294967295ELNS1_3gpuE0ELNS1_3repE0EEENS1_30default_config_static_selectorELNS0_4arch9wavefront6targetE1EEEvT1_,"axG",@progbits,_ZN7rocprim17ROCPRIM_400000_NS6detail17trampoline_kernelINS0_14default_configENS1_25transform_config_selectorIdLb0EEEZNS1_14transform_implILb0ES3_S5_NS0_18transform_iteratorINS0_17counting_iteratorImlEEZNS1_24adjacent_difference_implIS3_Lb1ELb0EPdN6thrust23THRUST_200600_302600_NS16discard_iteratorINSD_11use_defaultEEENSD_5minusIdEEEE10hipError_tPvRmT2_T3_mT4_P12ihipStream_tbEUlmE_dEESB_NS0_8identityIvEEEESJ_SM_SN_mSO_SQ_bEUlT_E_NS1_11comp_targetILNS1_3genE0ELNS1_11target_archE4294967295ELNS1_3gpuE0ELNS1_3repE0EEENS1_30default_config_static_selectorELNS0_4arch9wavefront6targetE1EEEvT1_,comdat
.Lfunc_end785:
	.size	_ZN7rocprim17ROCPRIM_400000_NS6detail17trampoline_kernelINS0_14default_configENS1_25transform_config_selectorIdLb0EEEZNS1_14transform_implILb0ES3_S5_NS0_18transform_iteratorINS0_17counting_iteratorImlEEZNS1_24adjacent_difference_implIS3_Lb1ELb0EPdN6thrust23THRUST_200600_302600_NS16discard_iteratorINSD_11use_defaultEEENSD_5minusIdEEEE10hipError_tPvRmT2_T3_mT4_P12ihipStream_tbEUlmE_dEESB_NS0_8identityIvEEEESJ_SM_SN_mSO_SQ_bEUlT_E_NS1_11comp_targetILNS1_3genE0ELNS1_11target_archE4294967295ELNS1_3gpuE0ELNS1_3repE0EEENS1_30default_config_static_selectorELNS0_4arch9wavefront6targetE1EEEvT1_, .Lfunc_end785-_ZN7rocprim17ROCPRIM_400000_NS6detail17trampoline_kernelINS0_14default_configENS1_25transform_config_selectorIdLb0EEEZNS1_14transform_implILb0ES3_S5_NS0_18transform_iteratorINS0_17counting_iteratorImlEEZNS1_24adjacent_difference_implIS3_Lb1ELb0EPdN6thrust23THRUST_200600_302600_NS16discard_iteratorINSD_11use_defaultEEENSD_5minusIdEEEE10hipError_tPvRmT2_T3_mT4_P12ihipStream_tbEUlmE_dEESB_NS0_8identityIvEEEESJ_SM_SN_mSO_SQ_bEUlT_E_NS1_11comp_targetILNS1_3genE0ELNS1_11target_archE4294967295ELNS1_3gpuE0ELNS1_3repE0EEENS1_30default_config_static_selectorELNS0_4arch9wavefront6targetE1EEEvT1_
                                        ; -- End function
	.section	.AMDGPU.csdata,"",@progbits
; Kernel info:
; codeLenInByte = 0
; NumSgprs: 4
; NumVgprs: 0
; NumAgprs: 0
; TotalNumVgprs: 0
; ScratchSize: 0
; MemoryBound: 0
; FloatMode: 240
; IeeeMode: 1
; LDSByteSize: 0 bytes/workgroup (compile time only)
; SGPRBlocks: 0
; VGPRBlocks: 0
; NumSGPRsForWavesPerEU: 4
; NumVGPRsForWavesPerEU: 1
; AccumOffset: 4
; Occupancy: 8
; WaveLimiterHint : 0
; COMPUTE_PGM_RSRC2:SCRATCH_EN: 0
; COMPUTE_PGM_RSRC2:USER_SGPR: 6
; COMPUTE_PGM_RSRC2:TRAP_HANDLER: 0
; COMPUTE_PGM_RSRC2:TGID_X_EN: 1
; COMPUTE_PGM_RSRC2:TGID_Y_EN: 0
; COMPUTE_PGM_RSRC2:TGID_Z_EN: 0
; COMPUTE_PGM_RSRC2:TIDIG_COMP_CNT: 0
; COMPUTE_PGM_RSRC3_GFX90A:ACCUM_OFFSET: 0
; COMPUTE_PGM_RSRC3_GFX90A:TG_SPLIT: 0
	.section	.text._ZN7rocprim17ROCPRIM_400000_NS6detail17trampoline_kernelINS0_14default_configENS1_25transform_config_selectorIdLb0EEEZNS1_14transform_implILb0ES3_S5_NS0_18transform_iteratorINS0_17counting_iteratorImlEEZNS1_24adjacent_difference_implIS3_Lb1ELb0EPdN6thrust23THRUST_200600_302600_NS16discard_iteratorINSD_11use_defaultEEENSD_5minusIdEEEE10hipError_tPvRmT2_T3_mT4_P12ihipStream_tbEUlmE_dEESB_NS0_8identityIvEEEESJ_SM_SN_mSO_SQ_bEUlT_E_NS1_11comp_targetILNS1_3genE5ELNS1_11target_archE942ELNS1_3gpuE9ELNS1_3repE0EEENS1_30default_config_static_selectorELNS0_4arch9wavefront6targetE1EEEvT1_,"axG",@progbits,_ZN7rocprim17ROCPRIM_400000_NS6detail17trampoline_kernelINS0_14default_configENS1_25transform_config_selectorIdLb0EEEZNS1_14transform_implILb0ES3_S5_NS0_18transform_iteratorINS0_17counting_iteratorImlEEZNS1_24adjacent_difference_implIS3_Lb1ELb0EPdN6thrust23THRUST_200600_302600_NS16discard_iteratorINSD_11use_defaultEEENSD_5minusIdEEEE10hipError_tPvRmT2_T3_mT4_P12ihipStream_tbEUlmE_dEESB_NS0_8identityIvEEEESJ_SM_SN_mSO_SQ_bEUlT_E_NS1_11comp_targetILNS1_3genE5ELNS1_11target_archE942ELNS1_3gpuE9ELNS1_3repE0EEENS1_30default_config_static_selectorELNS0_4arch9wavefront6targetE1EEEvT1_,comdat
	.protected	_ZN7rocprim17ROCPRIM_400000_NS6detail17trampoline_kernelINS0_14default_configENS1_25transform_config_selectorIdLb0EEEZNS1_14transform_implILb0ES3_S5_NS0_18transform_iteratorINS0_17counting_iteratorImlEEZNS1_24adjacent_difference_implIS3_Lb1ELb0EPdN6thrust23THRUST_200600_302600_NS16discard_iteratorINSD_11use_defaultEEENSD_5minusIdEEEE10hipError_tPvRmT2_T3_mT4_P12ihipStream_tbEUlmE_dEESB_NS0_8identityIvEEEESJ_SM_SN_mSO_SQ_bEUlT_E_NS1_11comp_targetILNS1_3genE5ELNS1_11target_archE942ELNS1_3gpuE9ELNS1_3repE0EEENS1_30default_config_static_selectorELNS0_4arch9wavefront6targetE1EEEvT1_ ; -- Begin function _ZN7rocprim17ROCPRIM_400000_NS6detail17trampoline_kernelINS0_14default_configENS1_25transform_config_selectorIdLb0EEEZNS1_14transform_implILb0ES3_S5_NS0_18transform_iteratorINS0_17counting_iteratorImlEEZNS1_24adjacent_difference_implIS3_Lb1ELb0EPdN6thrust23THRUST_200600_302600_NS16discard_iteratorINSD_11use_defaultEEENSD_5minusIdEEEE10hipError_tPvRmT2_T3_mT4_P12ihipStream_tbEUlmE_dEESB_NS0_8identityIvEEEESJ_SM_SN_mSO_SQ_bEUlT_E_NS1_11comp_targetILNS1_3genE5ELNS1_11target_archE942ELNS1_3gpuE9ELNS1_3repE0EEENS1_30default_config_static_selectorELNS0_4arch9wavefront6targetE1EEEvT1_
	.globl	_ZN7rocprim17ROCPRIM_400000_NS6detail17trampoline_kernelINS0_14default_configENS1_25transform_config_selectorIdLb0EEEZNS1_14transform_implILb0ES3_S5_NS0_18transform_iteratorINS0_17counting_iteratorImlEEZNS1_24adjacent_difference_implIS3_Lb1ELb0EPdN6thrust23THRUST_200600_302600_NS16discard_iteratorINSD_11use_defaultEEENSD_5minusIdEEEE10hipError_tPvRmT2_T3_mT4_P12ihipStream_tbEUlmE_dEESB_NS0_8identityIvEEEESJ_SM_SN_mSO_SQ_bEUlT_E_NS1_11comp_targetILNS1_3genE5ELNS1_11target_archE942ELNS1_3gpuE9ELNS1_3repE0EEENS1_30default_config_static_selectorELNS0_4arch9wavefront6targetE1EEEvT1_
	.p2align	8
	.type	_ZN7rocprim17ROCPRIM_400000_NS6detail17trampoline_kernelINS0_14default_configENS1_25transform_config_selectorIdLb0EEEZNS1_14transform_implILb0ES3_S5_NS0_18transform_iteratorINS0_17counting_iteratorImlEEZNS1_24adjacent_difference_implIS3_Lb1ELb0EPdN6thrust23THRUST_200600_302600_NS16discard_iteratorINSD_11use_defaultEEENSD_5minusIdEEEE10hipError_tPvRmT2_T3_mT4_P12ihipStream_tbEUlmE_dEESB_NS0_8identityIvEEEESJ_SM_SN_mSO_SQ_bEUlT_E_NS1_11comp_targetILNS1_3genE5ELNS1_11target_archE942ELNS1_3gpuE9ELNS1_3repE0EEENS1_30default_config_static_selectorELNS0_4arch9wavefront6targetE1EEEvT1_,@function
_ZN7rocprim17ROCPRIM_400000_NS6detail17trampoline_kernelINS0_14default_configENS1_25transform_config_selectorIdLb0EEEZNS1_14transform_implILb0ES3_S5_NS0_18transform_iteratorINS0_17counting_iteratorImlEEZNS1_24adjacent_difference_implIS3_Lb1ELb0EPdN6thrust23THRUST_200600_302600_NS16discard_iteratorINSD_11use_defaultEEENSD_5minusIdEEEE10hipError_tPvRmT2_T3_mT4_P12ihipStream_tbEUlmE_dEESB_NS0_8identityIvEEEESJ_SM_SN_mSO_SQ_bEUlT_E_NS1_11comp_targetILNS1_3genE5ELNS1_11target_archE942ELNS1_3gpuE9ELNS1_3repE0EEENS1_30default_config_static_selectorELNS0_4arch9wavefront6targetE1EEEvT1_: ; @_ZN7rocprim17ROCPRIM_400000_NS6detail17trampoline_kernelINS0_14default_configENS1_25transform_config_selectorIdLb0EEEZNS1_14transform_implILb0ES3_S5_NS0_18transform_iteratorINS0_17counting_iteratorImlEEZNS1_24adjacent_difference_implIS3_Lb1ELb0EPdN6thrust23THRUST_200600_302600_NS16discard_iteratorINSD_11use_defaultEEENSD_5minusIdEEEE10hipError_tPvRmT2_T3_mT4_P12ihipStream_tbEUlmE_dEESB_NS0_8identityIvEEEESJ_SM_SN_mSO_SQ_bEUlT_E_NS1_11comp_targetILNS1_3genE5ELNS1_11target_archE942ELNS1_3gpuE9ELNS1_3repE0EEENS1_30default_config_static_selectorELNS0_4arch9wavefront6targetE1EEEvT1_
; %bb.0:
	.section	.rodata,"a",@progbits
	.p2align	6, 0x0
	.amdhsa_kernel _ZN7rocprim17ROCPRIM_400000_NS6detail17trampoline_kernelINS0_14default_configENS1_25transform_config_selectorIdLb0EEEZNS1_14transform_implILb0ES3_S5_NS0_18transform_iteratorINS0_17counting_iteratorImlEEZNS1_24adjacent_difference_implIS3_Lb1ELb0EPdN6thrust23THRUST_200600_302600_NS16discard_iteratorINSD_11use_defaultEEENSD_5minusIdEEEE10hipError_tPvRmT2_T3_mT4_P12ihipStream_tbEUlmE_dEESB_NS0_8identityIvEEEESJ_SM_SN_mSO_SQ_bEUlT_E_NS1_11comp_targetILNS1_3genE5ELNS1_11target_archE942ELNS1_3gpuE9ELNS1_3repE0EEENS1_30default_config_static_selectorELNS0_4arch9wavefront6targetE1EEEvT1_
		.amdhsa_group_segment_fixed_size 0
		.amdhsa_private_segment_fixed_size 0
		.amdhsa_kernarg_size 56
		.amdhsa_user_sgpr_count 6
		.amdhsa_user_sgpr_private_segment_buffer 1
		.amdhsa_user_sgpr_dispatch_ptr 0
		.amdhsa_user_sgpr_queue_ptr 0
		.amdhsa_user_sgpr_kernarg_segment_ptr 1
		.amdhsa_user_sgpr_dispatch_id 0
		.amdhsa_user_sgpr_flat_scratch_init 0
		.amdhsa_user_sgpr_kernarg_preload_length 0
		.amdhsa_user_sgpr_kernarg_preload_offset 0
		.amdhsa_user_sgpr_private_segment_size 0
		.amdhsa_uses_dynamic_stack 0
		.amdhsa_system_sgpr_private_segment_wavefront_offset 0
		.amdhsa_system_sgpr_workgroup_id_x 1
		.amdhsa_system_sgpr_workgroup_id_y 0
		.amdhsa_system_sgpr_workgroup_id_z 0
		.amdhsa_system_sgpr_workgroup_info 0
		.amdhsa_system_vgpr_workitem_id 0
		.amdhsa_next_free_vgpr 1
		.amdhsa_next_free_sgpr 0
		.amdhsa_accum_offset 4
		.amdhsa_reserve_vcc 0
		.amdhsa_reserve_flat_scratch 0
		.amdhsa_float_round_mode_32 0
		.amdhsa_float_round_mode_16_64 0
		.amdhsa_float_denorm_mode_32 3
		.amdhsa_float_denorm_mode_16_64 3
		.amdhsa_dx10_clamp 1
		.amdhsa_ieee_mode 1
		.amdhsa_fp16_overflow 0
		.amdhsa_tg_split 0
		.amdhsa_exception_fp_ieee_invalid_op 0
		.amdhsa_exception_fp_denorm_src 0
		.amdhsa_exception_fp_ieee_div_zero 0
		.amdhsa_exception_fp_ieee_overflow 0
		.amdhsa_exception_fp_ieee_underflow 0
		.amdhsa_exception_fp_ieee_inexact 0
		.amdhsa_exception_int_div_zero 0
	.end_amdhsa_kernel
	.section	.text._ZN7rocprim17ROCPRIM_400000_NS6detail17trampoline_kernelINS0_14default_configENS1_25transform_config_selectorIdLb0EEEZNS1_14transform_implILb0ES3_S5_NS0_18transform_iteratorINS0_17counting_iteratorImlEEZNS1_24adjacent_difference_implIS3_Lb1ELb0EPdN6thrust23THRUST_200600_302600_NS16discard_iteratorINSD_11use_defaultEEENSD_5minusIdEEEE10hipError_tPvRmT2_T3_mT4_P12ihipStream_tbEUlmE_dEESB_NS0_8identityIvEEEESJ_SM_SN_mSO_SQ_bEUlT_E_NS1_11comp_targetILNS1_3genE5ELNS1_11target_archE942ELNS1_3gpuE9ELNS1_3repE0EEENS1_30default_config_static_selectorELNS0_4arch9wavefront6targetE1EEEvT1_,"axG",@progbits,_ZN7rocprim17ROCPRIM_400000_NS6detail17trampoline_kernelINS0_14default_configENS1_25transform_config_selectorIdLb0EEEZNS1_14transform_implILb0ES3_S5_NS0_18transform_iteratorINS0_17counting_iteratorImlEEZNS1_24adjacent_difference_implIS3_Lb1ELb0EPdN6thrust23THRUST_200600_302600_NS16discard_iteratorINSD_11use_defaultEEENSD_5minusIdEEEE10hipError_tPvRmT2_T3_mT4_P12ihipStream_tbEUlmE_dEESB_NS0_8identityIvEEEESJ_SM_SN_mSO_SQ_bEUlT_E_NS1_11comp_targetILNS1_3genE5ELNS1_11target_archE942ELNS1_3gpuE9ELNS1_3repE0EEENS1_30default_config_static_selectorELNS0_4arch9wavefront6targetE1EEEvT1_,comdat
.Lfunc_end786:
	.size	_ZN7rocprim17ROCPRIM_400000_NS6detail17trampoline_kernelINS0_14default_configENS1_25transform_config_selectorIdLb0EEEZNS1_14transform_implILb0ES3_S5_NS0_18transform_iteratorINS0_17counting_iteratorImlEEZNS1_24adjacent_difference_implIS3_Lb1ELb0EPdN6thrust23THRUST_200600_302600_NS16discard_iteratorINSD_11use_defaultEEENSD_5minusIdEEEE10hipError_tPvRmT2_T3_mT4_P12ihipStream_tbEUlmE_dEESB_NS0_8identityIvEEEESJ_SM_SN_mSO_SQ_bEUlT_E_NS1_11comp_targetILNS1_3genE5ELNS1_11target_archE942ELNS1_3gpuE9ELNS1_3repE0EEENS1_30default_config_static_selectorELNS0_4arch9wavefront6targetE1EEEvT1_, .Lfunc_end786-_ZN7rocprim17ROCPRIM_400000_NS6detail17trampoline_kernelINS0_14default_configENS1_25transform_config_selectorIdLb0EEEZNS1_14transform_implILb0ES3_S5_NS0_18transform_iteratorINS0_17counting_iteratorImlEEZNS1_24adjacent_difference_implIS3_Lb1ELb0EPdN6thrust23THRUST_200600_302600_NS16discard_iteratorINSD_11use_defaultEEENSD_5minusIdEEEE10hipError_tPvRmT2_T3_mT4_P12ihipStream_tbEUlmE_dEESB_NS0_8identityIvEEEESJ_SM_SN_mSO_SQ_bEUlT_E_NS1_11comp_targetILNS1_3genE5ELNS1_11target_archE942ELNS1_3gpuE9ELNS1_3repE0EEENS1_30default_config_static_selectorELNS0_4arch9wavefront6targetE1EEEvT1_
                                        ; -- End function
	.section	.AMDGPU.csdata,"",@progbits
; Kernel info:
; codeLenInByte = 0
; NumSgprs: 4
; NumVgprs: 0
; NumAgprs: 0
; TotalNumVgprs: 0
; ScratchSize: 0
; MemoryBound: 0
; FloatMode: 240
; IeeeMode: 1
; LDSByteSize: 0 bytes/workgroup (compile time only)
; SGPRBlocks: 0
; VGPRBlocks: 0
; NumSGPRsForWavesPerEU: 4
; NumVGPRsForWavesPerEU: 1
; AccumOffset: 4
; Occupancy: 8
; WaveLimiterHint : 0
; COMPUTE_PGM_RSRC2:SCRATCH_EN: 0
; COMPUTE_PGM_RSRC2:USER_SGPR: 6
; COMPUTE_PGM_RSRC2:TRAP_HANDLER: 0
; COMPUTE_PGM_RSRC2:TGID_X_EN: 1
; COMPUTE_PGM_RSRC2:TGID_Y_EN: 0
; COMPUTE_PGM_RSRC2:TGID_Z_EN: 0
; COMPUTE_PGM_RSRC2:TIDIG_COMP_CNT: 0
; COMPUTE_PGM_RSRC3_GFX90A:ACCUM_OFFSET: 0
; COMPUTE_PGM_RSRC3_GFX90A:TG_SPLIT: 0
	.section	.text._ZN7rocprim17ROCPRIM_400000_NS6detail17trampoline_kernelINS0_14default_configENS1_25transform_config_selectorIdLb0EEEZNS1_14transform_implILb0ES3_S5_NS0_18transform_iteratorINS0_17counting_iteratorImlEEZNS1_24adjacent_difference_implIS3_Lb1ELb0EPdN6thrust23THRUST_200600_302600_NS16discard_iteratorINSD_11use_defaultEEENSD_5minusIdEEEE10hipError_tPvRmT2_T3_mT4_P12ihipStream_tbEUlmE_dEESB_NS0_8identityIvEEEESJ_SM_SN_mSO_SQ_bEUlT_E_NS1_11comp_targetILNS1_3genE4ELNS1_11target_archE910ELNS1_3gpuE8ELNS1_3repE0EEENS1_30default_config_static_selectorELNS0_4arch9wavefront6targetE1EEEvT1_,"axG",@progbits,_ZN7rocprim17ROCPRIM_400000_NS6detail17trampoline_kernelINS0_14default_configENS1_25transform_config_selectorIdLb0EEEZNS1_14transform_implILb0ES3_S5_NS0_18transform_iteratorINS0_17counting_iteratorImlEEZNS1_24adjacent_difference_implIS3_Lb1ELb0EPdN6thrust23THRUST_200600_302600_NS16discard_iteratorINSD_11use_defaultEEENSD_5minusIdEEEE10hipError_tPvRmT2_T3_mT4_P12ihipStream_tbEUlmE_dEESB_NS0_8identityIvEEEESJ_SM_SN_mSO_SQ_bEUlT_E_NS1_11comp_targetILNS1_3genE4ELNS1_11target_archE910ELNS1_3gpuE8ELNS1_3repE0EEENS1_30default_config_static_selectorELNS0_4arch9wavefront6targetE1EEEvT1_,comdat
	.protected	_ZN7rocprim17ROCPRIM_400000_NS6detail17trampoline_kernelINS0_14default_configENS1_25transform_config_selectorIdLb0EEEZNS1_14transform_implILb0ES3_S5_NS0_18transform_iteratorINS0_17counting_iteratorImlEEZNS1_24adjacent_difference_implIS3_Lb1ELb0EPdN6thrust23THRUST_200600_302600_NS16discard_iteratorINSD_11use_defaultEEENSD_5minusIdEEEE10hipError_tPvRmT2_T3_mT4_P12ihipStream_tbEUlmE_dEESB_NS0_8identityIvEEEESJ_SM_SN_mSO_SQ_bEUlT_E_NS1_11comp_targetILNS1_3genE4ELNS1_11target_archE910ELNS1_3gpuE8ELNS1_3repE0EEENS1_30default_config_static_selectorELNS0_4arch9wavefront6targetE1EEEvT1_ ; -- Begin function _ZN7rocprim17ROCPRIM_400000_NS6detail17trampoline_kernelINS0_14default_configENS1_25transform_config_selectorIdLb0EEEZNS1_14transform_implILb0ES3_S5_NS0_18transform_iteratorINS0_17counting_iteratorImlEEZNS1_24adjacent_difference_implIS3_Lb1ELb0EPdN6thrust23THRUST_200600_302600_NS16discard_iteratorINSD_11use_defaultEEENSD_5minusIdEEEE10hipError_tPvRmT2_T3_mT4_P12ihipStream_tbEUlmE_dEESB_NS0_8identityIvEEEESJ_SM_SN_mSO_SQ_bEUlT_E_NS1_11comp_targetILNS1_3genE4ELNS1_11target_archE910ELNS1_3gpuE8ELNS1_3repE0EEENS1_30default_config_static_selectorELNS0_4arch9wavefront6targetE1EEEvT1_
	.globl	_ZN7rocprim17ROCPRIM_400000_NS6detail17trampoline_kernelINS0_14default_configENS1_25transform_config_selectorIdLb0EEEZNS1_14transform_implILb0ES3_S5_NS0_18transform_iteratorINS0_17counting_iteratorImlEEZNS1_24adjacent_difference_implIS3_Lb1ELb0EPdN6thrust23THRUST_200600_302600_NS16discard_iteratorINSD_11use_defaultEEENSD_5minusIdEEEE10hipError_tPvRmT2_T3_mT4_P12ihipStream_tbEUlmE_dEESB_NS0_8identityIvEEEESJ_SM_SN_mSO_SQ_bEUlT_E_NS1_11comp_targetILNS1_3genE4ELNS1_11target_archE910ELNS1_3gpuE8ELNS1_3repE0EEENS1_30default_config_static_selectorELNS0_4arch9wavefront6targetE1EEEvT1_
	.p2align	8
	.type	_ZN7rocprim17ROCPRIM_400000_NS6detail17trampoline_kernelINS0_14default_configENS1_25transform_config_selectorIdLb0EEEZNS1_14transform_implILb0ES3_S5_NS0_18transform_iteratorINS0_17counting_iteratorImlEEZNS1_24adjacent_difference_implIS3_Lb1ELb0EPdN6thrust23THRUST_200600_302600_NS16discard_iteratorINSD_11use_defaultEEENSD_5minusIdEEEE10hipError_tPvRmT2_T3_mT4_P12ihipStream_tbEUlmE_dEESB_NS0_8identityIvEEEESJ_SM_SN_mSO_SQ_bEUlT_E_NS1_11comp_targetILNS1_3genE4ELNS1_11target_archE910ELNS1_3gpuE8ELNS1_3repE0EEENS1_30default_config_static_selectorELNS0_4arch9wavefront6targetE1EEEvT1_,@function
_ZN7rocprim17ROCPRIM_400000_NS6detail17trampoline_kernelINS0_14default_configENS1_25transform_config_selectorIdLb0EEEZNS1_14transform_implILb0ES3_S5_NS0_18transform_iteratorINS0_17counting_iteratorImlEEZNS1_24adjacent_difference_implIS3_Lb1ELb0EPdN6thrust23THRUST_200600_302600_NS16discard_iteratorINSD_11use_defaultEEENSD_5minusIdEEEE10hipError_tPvRmT2_T3_mT4_P12ihipStream_tbEUlmE_dEESB_NS0_8identityIvEEEESJ_SM_SN_mSO_SQ_bEUlT_E_NS1_11comp_targetILNS1_3genE4ELNS1_11target_archE910ELNS1_3gpuE8ELNS1_3repE0EEENS1_30default_config_static_selectorELNS0_4arch9wavefront6targetE1EEEvT1_: ; @_ZN7rocprim17ROCPRIM_400000_NS6detail17trampoline_kernelINS0_14default_configENS1_25transform_config_selectorIdLb0EEEZNS1_14transform_implILb0ES3_S5_NS0_18transform_iteratorINS0_17counting_iteratorImlEEZNS1_24adjacent_difference_implIS3_Lb1ELb0EPdN6thrust23THRUST_200600_302600_NS16discard_iteratorINSD_11use_defaultEEENSD_5minusIdEEEE10hipError_tPvRmT2_T3_mT4_P12ihipStream_tbEUlmE_dEESB_NS0_8identityIvEEEESJ_SM_SN_mSO_SQ_bEUlT_E_NS1_11comp_targetILNS1_3genE4ELNS1_11target_archE910ELNS1_3gpuE8ELNS1_3repE0EEENS1_30default_config_static_selectorELNS0_4arch9wavefront6targetE1EEEvT1_
; %bb.0:
	s_load_dwordx4 s[0:3], s[4:5], 0x18
	s_load_dwordx2 s[14:15], s[4:5], 0x28
	s_load_dwordx4 s[8:11], s[4:5], 0x0
	s_load_dword s12, s[4:5], 0x10
	s_waitcnt lgkmcnt(0)
	s_load_dword s3, s[4:5], 0x38
                                        ; kill: killed $sgpr4_sgpr5
	s_lshl_b64 s[4:5], s[0:1], 3
	s_add_u32 s14, s14, s4
	s_addc_u32 s15, s15, s5
	s_lshl_b32 s4, s6, 9
	s_waitcnt lgkmcnt(0)
	s_add_i32 s3, s3, -1
	s_add_u32 s7, s8, s4
	s_addc_u32 s8, s9, 0
	s_add_u32 s16, s7, s0
	s_addc_u32 s17, s8, s1
	s_mov_b32 s5, 0
	s_cmp_lg_u32 s6, s3
	v_lshlrev_b32_e32 v1, 3, v0
	s_cbranch_scc0 .LBB787_2
; %bb.1:
	v_mov_b32_e32 v2, s17
	v_add_co_u32_e32 v3, vcc, s16, v0
	v_addc_co_u32_e32 v5, vcc, 0, v2, vcc
	v_mad_u64_u32 v[2:3], s[0:1], v3, s12, 0
	v_mov_b32_e32 v4, v3
	v_mad_u64_u32 v[4:5], s[0:1], v5, s12, v[4:5]
	v_mov_b32_e32 v3, v4
	v_lshlrev_b64 v[2:3], 3, v[2:3]
	s_mov_b32 s13, s5
	v_mov_b32_e32 v4, s11
	v_add_co_u32_e32 v2, vcc, s10, v2
	v_addc_co_u32_e32 v3, vcc, v4, v3, vcc
	s_lshl_b64 s[0:1], s[12:13], 11
	global_load_dwordx2 v[8:9], v[2:3], off
	v_mov_b32_e32 v4, s1
	v_add_co_u32_e32 v2, vcc, s0, v2
	v_addc_co_u32_e32 v3, vcc, v3, v4, vcc
	global_load_dwordx2 v[4:5], v[2:3], off
	s_lshl_b64 s[6:7], s[4:5], 3
	s_add_u32 s6, s14, s6
	s_addc_u32 s7, s15, s7
	v_mov_b32_e32 v2, s7
	v_add_co_u32_e32 v6, vcc, s6, v1
	v_addc_co_u32_e32 v7, vcc, 0, v2, vcc
	s_waitcnt vmcnt(1)
	global_store_dwordx2 v1, v[8:9], s[6:7]
	s_mov_b64 s[6:7], -1
	s_cbranch_execz .LBB787_3
	s_branch .LBB787_12
.LBB787_2:
	s_mov_b64 s[6:7], 0
                                        ; implicit-def: $vgpr4_vgpr5
                                        ; implicit-def: $vgpr6_vgpr7
.LBB787_3:
	s_sub_i32 s8, s2, s4
	v_cmp_gt_u32_e32 vcc, s8, v0
                                        ; implicit-def: $vgpr2_vgpr3_vgpr4_vgpr5
	s_and_saveexec_b64 s[2:3], vcc
	s_cbranch_execz .LBB787_5
; %bb.4:
	v_mov_b32_e32 v2, s17
	v_add_co_u32_e64 v3, s[0:1], s16, v0
	s_waitcnt vmcnt(1)
	v_addc_co_u32_e64 v5, s[0:1], 0, v2, s[0:1]
	v_mad_u64_u32 v[2:3], s[0:1], v3, s12, 0
	v_mov_b32_e32 v4, v3
	v_mad_u64_u32 v[4:5], s[0:1], v5, s12, v[4:5]
	v_mov_b32_e32 v3, v4
	v_lshlrev_b64 v[2:3], 3, v[2:3]
	v_mov_b32_e32 v4, s11
	v_add_co_u32_e64 v2, s[0:1], s10, v2
	v_addc_co_u32_e64 v3, s[0:1], v4, v3, s[0:1]
	global_load_dwordx2 v[2:3], v[2:3], off
.LBB787_5:
	s_or_b64 exec, exec, s[2:3]
	v_or_b32_e32 v0, 0x100, v0
	v_cmp_gt_u32_e64 s[0:1], s8, v0
	s_and_saveexec_b64 s[8:9], s[0:1]
	s_cbranch_execz .LBB787_7
; %bb.6:
	s_waitcnt vmcnt(1)
	v_mov_b32_e32 v4, s17
	v_add_co_u32_e64 v0, s[2:3], s16, v0
	v_addc_co_u32_e64 v6, s[2:3], 0, v4, s[2:3]
	v_mad_u64_u32 v[4:5], s[2:3], v0, s12, 0
	v_mov_b32_e32 v0, v5
	v_mad_u64_u32 v[6:7], s[2:3], v6, s12, v[0:1]
	v_mov_b32_e32 v5, v6
	v_lshlrev_b64 v[4:5], 3, v[4:5]
	v_mov_b32_e32 v0, s11
	v_add_co_u32_e64 v4, s[2:3], s10, v4
	v_addc_co_u32_e64 v5, s[2:3], v0, v5, s[2:3]
	global_load_dwordx2 v[4:5], v[4:5], off
.LBB787_7:
	s_or_b64 exec, exec, s[8:9]
	s_lshl_b64 s[2:3], s[4:5], 3
	s_add_u32 s2, s14, s2
	s_addc_u32 s3, s15, s3
	v_mov_b32_e32 v0, s3
	v_add_co_u32_e64 v6, s[2:3], s2, v1
	v_addc_co_u32_e64 v7, s[2:3], 0, v0, s[2:3]
	s_and_saveexec_b64 s[2:3], vcc
	s_cbranch_execz .LBB787_9
; %bb.8:
	s_waitcnt vmcnt(0)
	global_store_dwordx2 v[6:7], v[2:3], off
.LBB787_9:
	s_or_b64 exec, exec, s[2:3]
	s_and_saveexec_b64 s[2:3], s[0:1]
; %bb.10:
	s_or_b64 s[6:7], s[6:7], exec
; %bb.11:
	s_or_b64 exec, exec, s[2:3]
.LBB787_12:
	s_and_saveexec_b64 s[0:1], s[6:7]
	s_cbranch_execnz .LBB787_14
; %bb.13:
	s_endpgm
.LBB787_14:
	s_waitcnt vmcnt(0)
	global_store_dwordx2 v[6:7], v[4:5], off offset:2048
	s_endpgm
	.section	.rodata,"a",@progbits
	.p2align	6, 0x0
	.amdhsa_kernel _ZN7rocprim17ROCPRIM_400000_NS6detail17trampoline_kernelINS0_14default_configENS1_25transform_config_selectorIdLb0EEEZNS1_14transform_implILb0ES3_S5_NS0_18transform_iteratorINS0_17counting_iteratorImlEEZNS1_24adjacent_difference_implIS3_Lb1ELb0EPdN6thrust23THRUST_200600_302600_NS16discard_iteratorINSD_11use_defaultEEENSD_5minusIdEEEE10hipError_tPvRmT2_T3_mT4_P12ihipStream_tbEUlmE_dEESB_NS0_8identityIvEEEESJ_SM_SN_mSO_SQ_bEUlT_E_NS1_11comp_targetILNS1_3genE4ELNS1_11target_archE910ELNS1_3gpuE8ELNS1_3repE0EEENS1_30default_config_static_selectorELNS0_4arch9wavefront6targetE1EEEvT1_
		.amdhsa_group_segment_fixed_size 0
		.amdhsa_private_segment_fixed_size 0
		.amdhsa_kernarg_size 312
		.amdhsa_user_sgpr_count 6
		.amdhsa_user_sgpr_private_segment_buffer 1
		.amdhsa_user_sgpr_dispatch_ptr 0
		.amdhsa_user_sgpr_queue_ptr 0
		.amdhsa_user_sgpr_kernarg_segment_ptr 1
		.amdhsa_user_sgpr_dispatch_id 0
		.amdhsa_user_sgpr_flat_scratch_init 0
		.amdhsa_user_sgpr_kernarg_preload_length 0
		.amdhsa_user_sgpr_kernarg_preload_offset 0
		.amdhsa_user_sgpr_private_segment_size 0
		.amdhsa_uses_dynamic_stack 0
		.amdhsa_system_sgpr_private_segment_wavefront_offset 0
		.amdhsa_system_sgpr_workgroup_id_x 1
		.amdhsa_system_sgpr_workgroup_id_y 0
		.amdhsa_system_sgpr_workgroup_id_z 0
		.amdhsa_system_sgpr_workgroup_info 0
		.amdhsa_system_vgpr_workitem_id 0
		.amdhsa_next_free_vgpr 10
		.amdhsa_next_free_sgpr 18
		.amdhsa_accum_offset 12
		.amdhsa_reserve_vcc 1
		.amdhsa_reserve_flat_scratch 0
		.amdhsa_float_round_mode_32 0
		.amdhsa_float_round_mode_16_64 0
		.amdhsa_float_denorm_mode_32 3
		.amdhsa_float_denorm_mode_16_64 3
		.amdhsa_dx10_clamp 1
		.amdhsa_ieee_mode 1
		.amdhsa_fp16_overflow 0
		.amdhsa_tg_split 0
		.amdhsa_exception_fp_ieee_invalid_op 0
		.amdhsa_exception_fp_denorm_src 0
		.amdhsa_exception_fp_ieee_div_zero 0
		.amdhsa_exception_fp_ieee_overflow 0
		.amdhsa_exception_fp_ieee_underflow 0
		.amdhsa_exception_fp_ieee_inexact 0
		.amdhsa_exception_int_div_zero 0
	.end_amdhsa_kernel
	.section	.text._ZN7rocprim17ROCPRIM_400000_NS6detail17trampoline_kernelINS0_14default_configENS1_25transform_config_selectorIdLb0EEEZNS1_14transform_implILb0ES3_S5_NS0_18transform_iteratorINS0_17counting_iteratorImlEEZNS1_24adjacent_difference_implIS3_Lb1ELb0EPdN6thrust23THRUST_200600_302600_NS16discard_iteratorINSD_11use_defaultEEENSD_5minusIdEEEE10hipError_tPvRmT2_T3_mT4_P12ihipStream_tbEUlmE_dEESB_NS0_8identityIvEEEESJ_SM_SN_mSO_SQ_bEUlT_E_NS1_11comp_targetILNS1_3genE4ELNS1_11target_archE910ELNS1_3gpuE8ELNS1_3repE0EEENS1_30default_config_static_selectorELNS0_4arch9wavefront6targetE1EEEvT1_,"axG",@progbits,_ZN7rocprim17ROCPRIM_400000_NS6detail17trampoline_kernelINS0_14default_configENS1_25transform_config_selectorIdLb0EEEZNS1_14transform_implILb0ES3_S5_NS0_18transform_iteratorINS0_17counting_iteratorImlEEZNS1_24adjacent_difference_implIS3_Lb1ELb0EPdN6thrust23THRUST_200600_302600_NS16discard_iteratorINSD_11use_defaultEEENSD_5minusIdEEEE10hipError_tPvRmT2_T3_mT4_P12ihipStream_tbEUlmE_dEESB_NS0_8identityIvEEEESJ_SM_SN_mSO_SQ_bEUlT_E_NS1_11comp_targetILNS1_3genE4ELNS1_11target_archE910ELNS1_3gpuE8ELNS1_3repE0EEENS1_30default_config_static_selectorELNS0_4arch9wavefront6targetE1EEEvT1_,comdat
.Lfunc_end787:
	.size	_ZN7rocprim17ROCPRIM_400000_NS6detail17trampoline_kernelINS0_14default_configENS1_25transform_config_selectorIdLb0EEEZNS1_14transform_implILb0ES3_S5_NS0_18transform_iteratorINS0_17counting_iteratorImlEEZNS1_24adjacent_difference_implIS3_Lb1ELb0EPdN6thrust23THRUST_200600_302600_NS16discard_iteratorINSD_11use_defaultEEENSD_5minusIdEEEE10hipError_tPvRmT2_T3_mT4_P12ihipStream_tbEUlmE_dEESB_NS0_8identityIvEEEESJ_SM_SN_mSO_SQ_bEUlT_E_NS1_11comp_targetILNS1_3genE4ELNS1_11target_archE910ELNS1_3gpuE8ELNS1_3repE0EEENS1_30default_config_static_selectorELNS0_4arch9wavefront6targetE1EEEvT1_, .Lfunc_end787-_ZN7rocprim17ROCPRIM_400000_NS6detail17trampoline_kernelINS0_14default_configENS1_25transform_config_selectorIdLb0EEEZNS1_14transform_implILb0ES3_S5_NS0_18transform_iteratorINS0_17counting_iteratorImlEEZNS1_24adjacent_difference_implIS3_Lb1ELb0EPdN6thrust23THRUST_200600_302600_NS16discard_iteratorINSD_11use_defaultEEENSD_5minusIdEEEE10hipError_tPvRmT2_T3_mT4_P12ihipStream_tbEUlmE_dEESB_NS0_8identityIvEEEESJ_SM_SN_mSO_SQ_bEUlT_E_NS1_11comp_targetILNS1_3genE4ELNS1_11target_archE910ELNS1_3gpuE8ELNS1_3repE0EEENS1_30default_config_static_selectorELNS0_4arch9wavefront6targetE1EEEvT1_
                                        ; -- End function
	.section	.AMDGPU.csdata,"",@progbits
; Kernel info:
; codeLenInByte = 556
; NumSgprs: 22
; NumVgprs: 10
; NumAgprs: 0
; TotalNumVgprs: 10
; ScratchSize: 0
; MemoryBound: 0
; FloatMode: 240
; IeeeMode: 1
; LDSByteSize: 0 bytes/workgroup (compile time only)
; SGPRBlocks: 2
; VGPRBlocks: 1
; NumSGPRsForWavesPerEU: 22
; NumVGPRsForWavesPerEU: 10
; AccumOffset: 12
; Occupancy: 8
; WaveLimiterHint : 0
; COMPUTE_PGM_RSRC2:SCRATCH_EN: 0
; COMPUTE_PGM_RSRC2:USER_SGPR: 6
; COMPUTE_PGM_RSRC2:TRAP_HANDLER: 0
; COMPUTE_PGM_RSRC2:TGID_X_EN: 1
; COMPUTE_PGM_RSRC2:TGID_Y_EN: 0
; COMPUTE_PGM_RSRC2:TGID_Z_EN: 0
; COMPUTE_PGM_RSRC2:TIDIG_COMP_CNT: 0
; COMPUTE_PGM_RSRC3_GFX90A:ACCUM_OFFSET: 2
; COMPUTE_PGM_RSRC3_GFX90A:TG_SPLIT: 0
	.section	.text._ZN7rocprim17ROCPRIM_400000_NS6detail17trampoline_kernelINS0_14default_configENS1_25transform_config_selectorIdLb0EEEZNS1_14transform_implILb0ES3_S5_NS0_18transform_iteratorINS0_17counting_iteratorImlEEZNS1_24adjacent_difference_implIS3_Lb1ELb0EPdN6thrust23THRUST_200600_302600_NS16discard_iteratorINSD_11use_defaultEEENSD_5minusIdEEEE10hipError_tPvRmT2_T3_mT4_P12ihipStream_tbEUlmE_dEESB_NS0_8identityIvEEEESJ_SM_SN_mSO_SQ_bEUlT_E_NS1_11comp_targetILNS1_3genE3ELNS1_11target_archE908ELNS1_3gpuE7ELNS1_3repE0EEENS1_30default_config_static_selectorELNS0_4arch9wavefront6targetE1EEEvT1_,"axG",@progbits,_ZN7rocprim17ROCPRIM_400000_NS6detail17trampoline_kernelINS0_14default_configENS1_25transform_config_selectorIdLb0EEEZNS1_14transform_implILb0ES3_S5_NS0_18transform_iteratorINS0_17counting_iteratorImlEEZNS1_24adjacent_difference_implIS3_Lb1ELb0EPdN6thrust23THRUST_200600_302600_NS16discard_iteratorINSD_11use_defaultEEENSD_5minusIdEEEE10hipError_tPvRmT2_T3_mT4_P12ihipStream_tbEUlmE_dEESB_NS0_8identityIvEEEESJ_SM_SN_mSO_SQ_bEUlT_E_NS1_11comp_targetILNS1_3genE3ELNS1_11target_archE908ELNS1_3gpuE7ELNS1_3repE0EEENS1_30default_config_static_selectorELNS0_4arch9wavefront6targetE1EEEvT1_,comdat
	.protected	_ZN7rocprim17ROCPRIM_400000_NS6detail17trampoline_kernelINS0_14default_configENS1_25transform_config_selectorIdLb0EEEZNS1_14transform_implILb0ES3_S5_NS0_18transform_iteratorINS0_17counting_iteratorImlEEZNS1_24adjacent_difference_implIS3_Lb1ELb0EPdN6thrust23THRUST_200600_302600_NS16discard_iteratorINSD_11use_defaultEEENSD_5minusIdEEEE10hipError_tPvRmT2_T3_mT4_P12ihipStream_tbEUlmE_dEESB_NS0_8identityIvEEEESJ_SM_SN_mSO_SQ_bEUlT_E_NS1_11comp_targetILNS1_3genE3ELNS1_11target_archE908ELNS1_3gpuE7ELNS1_3repE0EEENS1_30default_config_static_selectorELNS0_4arch9wavefront6targetE1EEEvT1_ ; -- Begin function _ZN7rocprim17ROCPRIM_400000_NS6detail17trampoline_kernelINS0_14default_configENS1_25transform_config_selectorIdLb0EEEZNS1_14transform_implILb0ES3_S5_NS0_18transform_iteratorINS0_17counting_iteratorImlEEZNS1_24adjacent_difference_implIS3_Lb1ELb0EPdN6thrust23THRUST_200600_302600_NS16discard_iteratorINSD_11use_defaultEEENSD_5minusIdEEEE10hipError_tPvRmT2_T3_mT4_P12ihipStream_tbEUlmE_dEESB_NS0_8identityIvEEEESJ_SM_SN_mSO_SQ_bEUlT_E_NS1_11comp_targetILNS1_3genE3ELNS1_11target_archE908ELNS1_3gpuE7ELNS1_3repE0EEENS1_30default_config_static_selectorELNS0_4arch9wavefront6targetE1EEEvT1_
	.globl	_ZN7rocprim17ROCPRIM_400000_NS6detail17trampoline_kernelINS0_14default_configENS1_25transform_config_selectorIdLb0EEEZNS1_14transform_implILb0ES3_S5_NS0_18transform_iteratorINS0_17counting_iteratorImlEEZNS1_24adjacent_difference_implIS3_Lb1ELb0EPdN6thrust23THRUST_200600_302600_NS16discard_iteratorINSD_11use_defaultEEENSD_5minusIdEEEE10hipError_tPvRmT2_T3_mT4_P12ihipStream_tbEUlmE_dEESB_NS0_8identityIvEEEESJ_SM_SN_mSO_SQ_bEUlT_E_NS1_11comp_targetILNS1_3genE3ELNS1_11target_archE908ELNS1_3gpuE7ELNS1_3repE0EEENS1_30default_config_static_selectorELNS0_4arch9wavefront6targetE1EEEvT1_
	.p2align	8
	.type	_ZN7rocprim17ROCPRIM_400000_NS6detail17trampoline_kernelINS0_14default_configENS1_25transform_config_selectorIdLb0EEEZNS1_14transform_implILb0ES3_S5_NS0_18transform_iteratorINS0_17counting_iteratorImlEEZNS1_24adjacent_difference_implIS3_Lb1ELb0EPdN6thrust23THRUST_200600_302600_NS16discard_iteratorINSD_11use_defaultEEENSD_5minusIdEEEE10hipError_tPvRmT2_T3_mT4_P12ihipStream_tbEUlmE_dEESB_NS0_8identityIvEEEESJ_SM_SN_mSO_SQ_bEUlT_E_NS1_11comp_targetILNS1_3genE3ELNS1_11target_archE908ELNS1_3gpuE7ELNS1_3repE0EEENS1_30default_config_static_selectorELNS0_4arch9wavefront6targetE1EEEvT1_,@function
_ZN7rocprim17ROCPRIM_400000_NS6detail17trampoline_kernelINS0_14default_configENS1_25transform_config_selectorIdLb0EEEZNS1_14transform_implILb0ES3_S5_NS0_18transform_iteratorINS0_17counting_iteratorImlEEZNS1_24adjacent_difference_implIS3_Lb1ELb0EPdN6thrust23THRUST_200600_302600_NS16discard_iteratorINSD_11use_defaultEEENSD_5minusIdEEEE10hipError_tPvRmT2_T3_mT4_P12ihipStream_tbEUlmE_dEESB_NS0_8identityIvEEEESJ_SM_SN_mSO_SQ_bEUlT_E_NS1_11comp_targetILNS1_3genE3ELNS1_11target_archE908ELNS1_3gpuE7ELNS1_3repE0EEENS1_30default_config_static_selectorELNS0_4arch9wavefront6targetE1EEEvT1_: ; @_ZN7rocprim17ROCPRIM_400000_NS6detail17trampoline_kernelINS0_14default_configENS1_25transform_config_selectorIdLb0EEEZNS1_14transform_implILb0ES3_S5_NS0_18transform_iteratorINS0_17counting_iteratorImlEEZNS1_24adjacent_difference_implIS3_Lb1ELb0EPdN6thrust23THRUST_200600_302600_NS16discard_iteratorINSD_11use_defaultEEENSD_5minusIdEEEE10hipError_tPvRmT2_T3_mT4_P12ihipStream_tbEUlmE_dEESB_NS0_8identityIvEEEESJ_SM_SN_mSO_SQ_bEUlT_E_NS1_11comp_targetILNS1_3genE3ELNS1_11target_archE908ELNS1_3gpuE7ELNS1_3repE0EEENS1_30default_config_static_selectorELNS0_4arch9wavefront6targetE1EEEvT1_
; %bb.0:
	.section	.rodata,"a",@progbits
	.p2align	6, 0x0
	.amdhsa_kernel _ZN7rocprim17ROCPRIM_400000_NS6detail17trampoline_kernelINS0_14default_configENS1_25transform_config_selectorIdLb0EEEZNS1_14transform_implILb0ES3_S5_NS0_18transform_iteratorINS0_17counting_iteratorImlEEZNS1_24adjacent_difference_implIS3_Lb1ELb0EPdN6thrust23THRUST_200600_302600_NS16discard_iteratorINSD_11use_defaultEEENSD_5minusIdEEEE10hipError_tPvRmT2_T3_mT4_P12ihipStream_tbEUlmE_dEESB_NS0_8identityIvEEEESJ_SM_SN_mSO_SQ_bEUlT_E_NS1_11comp_targetILNS1_3genE3ELNS1_11target_archE908ELNS1_3gpuE7ELNS1_3repE0EEENS1_30default_config_static_selectorELNS0_4arch9wavefront6targetE1EEEvT1_
		.amdhsa_group_segment_fixed_size 0
		.amdhsa_private_segment_fixed_size 0
		.amdhsa_kernarg_size 56
		.amdhsa_user_sgpr_count 6
		.amdhsa_user_sgpr_private_segment_buffer 1
		.amdhsa_user_sgpr_dispatch_ptr 0
		.amdhsa_user_sgpr_queue_ptr 0
		.amdhsa_user_sgpr_kernarg_segment_ptr 1
		.amdhsa_user_sgpr_dispatch_id 0
		.amdhsa_user_sgpr_flat_scratch_init 0
		.amdhsa_user_sgpr_kernarg_preload_length 0
		.amdhsa_user_sgpr_kernarg_preload_offset 0
		.amdhsa_user_sgpr_private_segment_size 0
		.amdhsa_uses_dynamic_stack 0
		.amdhsa_system_sgpr_private_segment_wavefront_offset 0
		.amdhsa_system_sgpr_workgroup_id_x 1
		.amdhsa_system_sgpr_workgroup_id_y 0
		.amdhsa_system_sgpr_workgroup_id_z 0
		.amdhsa_system_sgpr_workgroup_info 0
		.amdhsa_system_vgpr_workitem_id 0
		.amdhsa_next_free_vgpr 1
		.amdhsa_next_free_sgpr 0
		.amdhsa_accum_offset 4
		.amdhsa_reserve_vcc 0
		.amdhsa_reserve_flat_scratch 0
		.amdhsa_float_round_mode_32 0
		.amdhsa_float_round_mode_16_64 0
		.amdhsa_float_denorm_mode_32 3
		.amdhsa_float_denorm_mode_16_64 3
		.amdhsa_dx10_clamp 1
		.amdhsa_ieee_mode 1
		.amdhsa_fp16_overflow 0
		.amdhsa_tg_split 0
		.amdhsa_exception_fp_ieee_invalid_op 0
		.amdhsa_exception_fp_denorm_src 0
		.amdhsa_exception_fp_ieee_div_zero 0
		.amdhsa_exception_fp_ieee_overflow 0
		.amdhsa_exception_fp_ieee_underflow 0
		.amdhsa_exception_fp_ieee_inexact 0
		.amdhsa_exception_int_div_zero 0
	.end_amdhsa_kernel
	.section	.text._ZN7rocprim17ROCPRIM_400000_NS6detail17trampoline_kernelINS0_14default_configENS1_25transform_config_selectorIdLb0EEEZNS1_14transform_implILb0ES3_S5_NS0_18transform_iteratorINS0_17counting_iteratorImlEEZNS1_24adjacent_difference_implIS3_Lb1ELb0EPdN6thrust23THRUST_200600_302600_NS16discard_iteratorINSD_11use_defaultEEENSD_5minusIdEEEE10hipError_tPvRmT2_T3_mT4_P12ihipStream_tbEUlmE_dEESB_NS0_8identityIvEEEESJ_SM_SN_mSO_SQ_bEUlT_E_NS1_11comp_targetILNS1_3genE3ELNS1_11target_archE908ELNS1_3gpuE7ELNS1_3repE0EEENS1_30default_config_static_selectorELNS0_4arch9wavefront6targetE1EEEvT1_,"axG",@progbits,_ZN7rocprim17ROCPRIM_400000_NS6detail17trampoline_kernelINS0_14default_configENS1_25transform_config_selectorIdLb0EEEZNS1_14transform_implILb0ES3_S5_NS0_18transform_iteratorINS0_17counting_iteratorImlEEZNS1_24adjacent_difference_implIS3_Lb1ELb0EPdN6thrust23THRUST_200600_302600_NS16discard_iteratorINSD_11use_defaultEEENSD_5minusIdEEEE10hipError_tPvRmT2_T3_mT4_P12ihipStream_tbEUlmE_dEESB_NS0_8identityIvEEEESJ_SM_SN_mSO_SQ_bEUlT_E_NS1_11comp_targetILNS1_3genE3ELNS1_11target_archE908ELNS1_3gpuE7ELNS1_3repE0EEENS1_30default_config_static_selectorELNS0_4arch9wavefront6targetE1EEEvT1_,comdat
.Lfunc_end788:
	.size	_ZN7rocprim17ROCPRIM_400000_NS6detail17trampoline_kernelINS0_14default_configENS1_25transform_config_selectorIdLb0EEEZNS1_14transform_implILb0ES3_S5_NS0_18transform_iteratorINS0_17counting_iteratorImlEEZNS1_24adjacent_difference_implIS3_Lb1ELb0EPdN6thrust23THRUST_200600_302600_NS16discard_iteratorINSD_11use_defaultEEENSD_5minusIdEEEE10hipError_tPvRmT2_T3_mT4_P12ihipStream_tbEUlmE_dEESB_NS0_8identityIvEEEESJ_SM_SN_mSO_SQ_bEUlT_E_NS1_11comp_targetILNS1_3genE3ELNS1_11target_archE908ELNS1_3gpuE7ELNS1_3repE0EEENS1_30default_config_static_selectorELNS0_4arch9wavefront6targetE1EEEvT1_, .Lfunc_end788-_ZN7rocprim17ROCPRIM_400000_NS6detail17trampoline_kernelINS0_14default_configENS1_25transform_config_selectorIdLb0EEEZNS1_14transform_implILb0ES3_S5_NS0_18transform_iteratorINS0_17counting_iteratorImlEEZNS1_24adjacent_difference_implIS3_Lb1ELb0EPdN6thrust23THRUST_200600_302600_NS16discard_iteratorINSD_11use_defaultEEENSD_5minusIdEEEE10hipError_tPvRmT2_T3_mT4_P12ihipStream_tbEUlmE_dEESB_NS0_8identityIvEEEESJ_SM_SN_mSO_SQ_bEUlT_E_NS1_11comp_targetILNS1_3genE3ELNS1_11target_archE908ELNS1_3gpuE7ELNS1_3repE0EEENS1_30default_config_static_selectorELNS0_4arch9wavefront6targetE1EEEvT1_
                                        ; -- End function
	.section	.AMDGPU.csdata,"",@progbits
; Kernel info:
; codeLenInByte = 0
; NumSgprs: 4
; NumVgprs: 0
; NumAgprs: 0
; TotalNumVgprs: 0
; ScratchSize: 0
; MemoryBound: 0
; FloatMode: 240
; IeeeMode: 1
; LDSByteSize: 0 bytes/workgroup (compile time only)
; SGPRBlocks: 0
; VGPRBlocks: 0
; NumSGPRsForWavesPerEU: 4
; NumVGPRsForWavesPerEU: 1
; AccumOffset: 4
; Occupancy: 8
; WaveLimiterHint : 0
; COMPUTE_PGM_RSRC2:SCRATCH_EN: 0
; COMPUTE_PGM_RSRC2:USER_SGPR: 6
; COMPUTE_PGM_RSRC2:TRAP_HANDLER: 0
; COMPUTE_PGM_RSRC2:TGID_X_EN: 1
; COMPUTE_PGM_RSRC2:TGID_Y_EN: 0
; COMPUTE_PGM_RSRC2:TGID_Z_EN: 0
; COMPUTE_PGM_RSRC2:TIDIG_COMP_CNT: 0
; COMPUTE_PGM_RSRC3_GFX90A:ACCUM_OFFSET: 0
; COMPUTE_PGM_RSRC3_GFX90A:TG_SPLIT: 0
	.section	.text._ZN7rocprim17ROCPRIM_400000_NS6detail17trampoline_kernelINS0_14default_configENS1_25transform_config_selectorIdLb0EEEZNS1_14transform_implILb0ES3_S5_NS0_18transform_iteratorINS0_17counting_iteratorImlEEZNS1_24adjacent_difference_implIS3_Lb1ELb0EPdN6thrust23THRUST_200600_302600_NS16discard_iteratorINSD_11use_defaultEEENSD_5minusIdEEEE10hipError_tPvRmT2_T3_mT4_P12ihipStream_tbEUlmE_dEESB_NS0_8identityIvEEEESJ_SM_SN_mSO_SQ_bEUlT_E_NS1_11comp_targetILNS1_3genE2ELNS1_11target_archE906ELNS1_3gpuE6ELNS1_3repE0EEENS1_30default_config_static_selectorELNS0_4arch9wavefront6targetE1EEEvT1_,"axG",@progbits,_ZN7rocprim17ROCPRIM_400000_NS6detail17trampoline_kernelINS0_14default_configENS1_25transform_config_selectorIdLb0EEEZNS1_14transform_implILb0ES3_S5_NS0_18transform_iteratorINS0_17counting_iteratorImlEEZNS1_24adjacent_difference_implIS3_Lb1ELb0EPdN6thrust23THRUST_200600_302600_NS16discard_iteratorINSD_11use_defaultEEENSD_5minusIdEEEE10hipError_tPvRmT2_T3_mT4_P12ihipStream_tbEUlmE_dEESB_NS0_8identityIvEEEESJ_SM_SN_mSO_SQ_bEUlT_E_NS1_11comp_targetILNS1_3genE2ELNS1_11target_archE906ELNS1_3gpuE6ELNS1_3repE0EEENS1_30default_config_static_selectorELNS0_4arch9wavefront6targetE1EEEvT1_,comdat
	.protected	_ZN7rocprim17ROCPRIM_400000_NS6detail17trampoline_kernelINS0_14default_configENS1_25transform_config_selectorIdLb0EEEZNS1_14transform_implILb0ES3_S5_NS0_18transform_iteratorINS0_17counting_iteratorImlEEZNS1_24adjacent_difference_implIS3_Lb1ELb0EPdN6thrust23THRUST_200600_302600_NS16discard_iteratorINSD_11use_defaultEEENSD_5minusIdEEEE10hipError_tPvRmT2_T3_mT4_P12ihipStream_tbEUlmE_dEESB_NS0_8identityIvEEEESJ_SM_SN_mSO_SQ_bEUlT_E_NS1_11comp_targetILNS1_3genE2ELNS1_11target_archE906ELNS1_3gpuE6ELNS1_3repE0EEENS1_30default_config_static_selectorELNS0_4arch9wavefront6targetE1EEEvT1_ ; -- Begin function _ZN7rocprim17ROCPRIM_400000_NS6detail17trampoline_kernelINS0_14default_configENS1_25transform_config_selectorIdLb0EEEZNS1_14transform_implILb0ES3_S5_NS0_18transform_iteratorINS0_17counting_iteratorImlEEZNS1_24adjacent_difference_implIS3_Lb1ELb0EPdN6thrust23THRUST_200600_302600_NS16discard_iteratorINSD_11use_defaultEEENSD_5minusIdEEEE10hipError_tPvRmT2_T3_mT4_P12ihipStream_tbEUlmE_dEESB_NS0_8identityIvEEEESJ_SM_SN_mSO_SQ_bEUlT_E_NS1_11comp_targetILNS1_3genE2ELNS1_11target_archE906ELNS1_3gpuE6ELNS1_3repE0EEENS1_30default_config_static_selectorELNS0_4arch9wavefront6targetE1EEEvT1_
	.globl	_ZN7rocprim17ROCPRIM_400000_NS6detail17trampoline_kernelINS0_14default_configENS1_25transform_config_selectorIdLb0EEEZNS1_14transform_implILb0ES3_S5_NS0_18transform_iteratorINS0_17counting_iteratorImlEEZNS1_24adjacent_difference_implIS3_Lb1ELb0EPdN6thrust23THRUST_200600_302600_NS16discard_iteratorINSD_11use_defaultEEENSD_5minusIdEEEE10hipError_tPvRmT2_T3_mT4_P12ihipStream_tbEUlmE_dEESB_NS0_8identityIvEEEESJ_SM_SN_mSO_SQ_bEUlT_E_NS1_11comp_targetILNS1_3genE2ELNS1_11target_archE906ELNS1_3gpuE6ELNS1_3repE0EEENS1_30default_config_static_selectorELNS0_4arch9wavefront6targetE1EEEvT1_
	.p2align	8
	.type	_ZN7rocprim17ROCPRIM_400000_NS6detail17trampoline_kernelINS0_14default_configENS1_25transform_config_selectorIdLb0EEEZNS1_14transform_implILb0ES3_S5_NS0_18transform_iteratorINS0_17counting_iteratorImlEEZNS1_24adjacent_difference_implIS3_Lb1ELb0EPdN6thrust23THRUST_200600_302600_NS16discard_iteratorINSD_11use_defaultEEENSD_5minusIdEEEE10hipError_tPvRmT2_T3_mT4_P12ihipStream_tbEUlmE_dEESB_NS0_8identityIvEEEESJ_SM_SN_mSO_SQ_bEUlT_E_NS1_11comp_targetILNS1_3genE2ELNS1_11target_archE906ELNS1_3gpuE6ELNS1_3repE0EEENS1_30default_config_static_selectorELNS0_4arch9wavefront6targetE1EEEvT1_,@function
_ZN7rocprim17ROCPRIM_400000_NS6detail17trampoline_kernelINS0_14default_configENS1_25transform_config_selectorIdLb0EEEZNS1_14transform_implILb0ES3_S5_NS0_18transform_iteratorINS0_17counting_iteratorImlEEZNS1_24adjacent_difference_implIS3_Lb1ELb0EPdN6thrust23THRUST_200600_302600_NS16discard_iteratorINSD_11use_defaultEEENSD_5minusIdEEEE10hipError_tPvRmT2_T3_mT4_P12ihipStream_tbEUlmE_dEESB_NS0_8identityIvEEEESJ_SM_SN_mSO_SQ_bEUlT_E_NS1_11comp_targetILNS1_3genE2ELNS1_11target_archE906ELNS1_3gpuE6ELNS1_3repE0EEENS1_30default_config_static_selectorELNS0_4arch9wavefront6targetE1EEEvT1_: ; @_ZN7rocprim17ROCPRIM_400000_NS6detail17trampoline_kernelINS0_14default_configENS1_25transform_config_selectorIdLb0EEEZNS1_14transform_implILb0ES3_S5_NS0_18transform_iteratorINS0_17counting_iteratorImlEEZNS1_24adjacent_difference_implIS3_Lb1ELb0EPdN6thrust23THRUST_200600_302600_NS16discard_iteratorINSD_11use_defaultEEENSD_5minusIdEEEE10hipError_tPvRmT2_T3_mT4_P12ihipStream_tbEUlmE_dEESB_NS0_8identityIvEEEESJ_SM_SN_mSO_SQ_bEUlT_E_NS1_11comp_targetILNS1_3genE2ELNS1_11target_archE906ELNS1_3gpuE6ELNS1_3repE0EEENS1_30default_config_static_selectorELNS0_4arch9wavefront6targetE1EEEvT1_
; %bb.0:
	.section	.rodata,"a",@progbits
	.p2align	6, 0x0
	.amdhsa_kernel _ZN7rocprim17ROCPRIM_400000_NS6detail17trampoline_kernelINS0_14default_configENS1_25transform_config_selectorIdLb0EEEZNS1_14transform_implILb0ES3_S5_NS0_18transform_iteratorINS0_17counting_iteratorImlEEZNS1_24adjacent_difference_implIS3_Lb1ELb0EPdN6thrust23THRUST_200600_302600_NS16discard_iteratorINSD_11use_defaultEEENSD_5minusIdEEEE10hipError_tPvRmT2_T3_mT4_P12ihipStream_tbEUlmE_dEESB_NS0_8identityIvEEEESJ_SM_SN_mSO_SQ_bEUlT_E_NS1_11comp_targetILNS1_3genE2ELNS1_11target_archE906ELNS1_3gpuE6ELNS1_3repE0EEENS1_30default_config_static_selectorELNS0_4arch9wavefront6targetE1EEEvT1_
		.amdhsa_group_segment_fixed_size 0
		.amdhsa_private_segment_fixed_size 0
		.amdhsa_kernarg_size 56
		.amdhsa_user_sgpr_count 6
		.amdhsa_user_sgpr_private_segment_buffer 1
		.amdhsa_user_sgpr_dispatch_ptr 0
		.amdhsa_user_sgpr_queue_ptr 0
		.amdhsa_user_sgpr_kernarg_segment_ptr 1
		.amdhsa_user_sgpr_dispatch_id 0
		.amdhsa_user_sgpr_flat_scratch_init 0
		.amdhsa_user_sgpr_kernarg_preload_length 0
		.amdhsa_user_sgpr_kernarg_preload_offset 0
		.amdhsa_user_sgpr_private_segment_size 0
		.amdhsa_uses_dynamic_stack 0
		.amdhsa_system_sgpr_private_segment_wavefront_offset 0
		.amdhsa_system_sgpr_workgroup_id_x 1
		.amdhsa_system_sgpr_workgroup_id_y 0
		.amdhsa_system_sgpr_workgroup_id_z 0
		.amdhsa_system_sgpr_workgroup_info 0
		.amdhsa_system_vgpr_workitem_id 0
		.amdhsa_next_free_vgpr 1
		.amdhsa_next_free_sgpr 0
		.amdhsa_accum_offset 4
		.amdhsa_reserve_vcc 0
		.amdhsa_reserve_flat_scratch 0
		.amdhsa_float_round_mode_32 0
		.amdhsa_float_round_mode_16_64 0
		.amdhsa_float_denorm_mode_32 3
		.amdhsa_float_denorm_mode_16_64 3
		.amdhsa_dx10_clamp 1
		.amdhsa_ieee_mode 1
		.amdhsa_fp16_overflow 0
		.amdhsa_tg_split 0
		.amdhsa_exception_fp_ieee_invalid_op 0
		.amdhsa_exception_fp_denorm_src 0
		.amdhsa_exception_fp_ieee_div_zero 0
		.amdhsa_exception_fp_ieee_overflow 0
		.amdhsa_exception_fp_ieee_underflow 0
		.amdhsa_exception_fp_ieee_inexact 0
		.amdhsa_exception_int_div_zero 0
	.end_amdhsa_kernel
	.section	.text._ZN7rocprim17ROCPRIM_400000_NS6detail17trampoline_kernelINS0_14default_configENS1_25transform_config_selectorIdLb0EEEZNS1_14transform_implILb0ES3_S5_NS0_18transform_iteratorINS0_17counting_iteratorImlEEZNS1_24adjacent_difference_implIS3_Lb1ELb0EPdN6thrust23THRUST_200600_302600_NS16discard_iteratorINSD_11use_defaultEEENSD_5minusIdEEEE10hipError_tPvRmT2_T3_mT4_P12ihipStream_tbEUlmE_dEESB_NS0_8identityIvEEEESJ_SM_SN_mSO_SQ_bEUlT_E_NS1_11comp_targetILNS1_3genE2ELNS1_11target_archE906ELNS1_3gpuE6ELNS1_3repE0EEENS1_30default_config_static_selectorELNS0_4arch9wavefront6targetE1EEEvT1_,"axG",@progbits,_ZN7rocprim17ROCPRIM_400000_NS6detail17trampoline_kernelINS0_14default_configENS1_25transform_config_selectorIdLb0EEEZNS1_14transform_implILb0ES3_S5_NS0_18transform_iteratorINS0_17counting_iteratorImlEEZNS1_24adjacent_difference_implIS3_Lb1ELb0EPdN6thrust23THRUST_200600_302600_NS16discard_iteratorINSD_11use_defaultEEENSD_5minusIdEEEE10hipError_tPvRmT2_T3_mT4_P12ihipStream_tbEUlmE_dEESB_NS0_8identityIvEEEESJ_SM_SN_mSO_SQ_bEUlT_E_NS1_11comp_targetILNS1_3genE2ELNS1_11target_archE906ELNS1_3gpuE6ELNS1_3repE0EEENS1_30default_config_static_selectorELNS0_4arch9wavefront6targetE1EEEvT1_,comdat
.Lfunc_end789:
	.size	_ZN7rocprim17ROCPRIM_400000_NS6detail17trampoline_kernelINS0_14default_configENS1_25transform_config_selectorIdLb0EEEZNS1_14transform_implILb0ES3_S5_NS0_18transform_iteratorINS0_17counting_iteratorImlEEZNS1_24adjacent_difference_implIS3_Lb1ELb0EPdN6thrust23THRUST_200600_302600_NS16discard_iteratorINSD_11use_defaultEEENSD_5minusIdEEEE10hipError_tPvRmT2_T3_mT4_P12ihipStream_tbEUlmE_dEESB_NS0_8identityIvEEEESJ_SM_SN_mSO_SQ_bEUlT_E_NS1_11comp_targetILNS1_3genE2ELNS1_11target_archE906ELNS1_3gpuE6ELNS1_3repE0EEENS1_30default_config_static_selectorELNS0_4arch9wavefront6targetE1EEEvT1_, .Lfunc_end789-_ZN7rocprim17ROCPRIM_400000_NS6detail17trampoline_kernelINS0_14default_configENS1_25transform_config_selectorIdLb0EEEZNS1_14transform_implILb0ES3_S5_NS0_18transform_iteratorINS0_17counting_iteratorImlEEZNS1_24adjacent_difference_implIS3_Lb1ELb0EPdN6thrust23THRUST_200600_302600_NS16discard_iteratorINSD_11use_defaultEEENSD_5minusIdEEEE10hipError_tPvRmT2_T3_mT4_P12ihipStream_tbEUlmE_dEESB_NS0_8identityIvEEEESJ_SM_SN_mSO_SQ_bEUlT_E_NS1_11comp_targetILNS1_3genE2ELNS1_11target_archE906ELNS1_3gpuE6ELNS1_3repE0EEENS1_30default_config_static_selectorELNS0_4arch9wavefront6targetE1EEEvT1_
                                        ; -- End function
	.section	.AMDGPU.csdata,"",@progbits
; Kernel info:
; codeLenInByte = 0
; NumSgprs: 4
; NumVgprs: 0
; NumAgprs: 0
; TotalNumVgprs: 0
; ScratchSize: 0
; MemoryBound: 0
; FloatMode: 240
; IeeeMode: 1
; LDSByteSize: 0 bytes/workgroup (compile time only)
; SGPRBlocks: 0
; VGPRBlocks: 0
; NumSGPRsForWavesPerEU: 4
; NumVGPRsForWavesPerEU: 1
; AccumOffset: 4
; Occupancy: 8
; WaveLimiterHint : 0
; COMPUTE_PGM_RSRC2:SCRATCH_EN: 0
; COMPUTE_PGM_RSRC2:USER_SGPR: 6
; COMPUTE_PGM_RSRC2:TRAP_HANDLER: 0
; COMPUTE_PGM_RSRC2:TGID_X_EN: 1
; COMPUTE_PGM_RSRC2:TGID_Y_EN: 0
; COMPUTE_PGM_RSRC2:TGID_Z_EN: 0
; COMPUTE_PGM_RSRC2:TIDIG_COMP_CNT: 0
; COMPUTE_PGM_RSRC3_GFX90A:ACCUM_OFFSET: 0
; COMPUTE_PGM_RSRC3_GFX90A:TG_SPLIT: 0
	.section	.text._ZN7rocprim17ROCPRIM_400000_NS6detail17trampoline_kernelINS0_14default_configENS1_25transform_config_selectorIdLb0EEEZNS1_14transform_implILb0ES3_S5_NS0_18transform_iteratorINS0_17counting_iteratorImlEEZNS1_24adjacent_difference_implIS3_Lb1ELb0EPdN6thrust23THRUST_200600_302600_NS16discard_iteratorINSD_11use_defaultEEENSD_5minusIdEEEE10hipError_tPvRmT2_T3_mT4_P12ihipStream_tbEUlmE_dEESB_NS0_8identityIvEEEESJ_SM_SN_mSO_SQ_bEUlT_E_NS1_11comp_targetILNS1_3genE10ELNS1_11target_archE1201ELNS1_3gpuE5ELNS1_3repE0EEENS1_30default_config_static_selectorELNS0_4arch9wavefront6targetE1EEEvT1_,"axG",@progbits,_ZN7rocprim17ROCPRIM_400000_NS6detail17trampoline_kernelINS0_14default_configENS1_25transform_config_selectorIdLb0EEEZNS1_14transform_implILb0ES3_S5_NS0_18transform_iteratorINS0_17counting_iteratorImlEEZNS1_24adjacent_difference_implIS3_Lb1ELb0EPdN6thrust23THRUST_200600_302600_NS16discard_iteratorINSD_11use_defaultEEENSD_5minusIdEEEE10hipError_tPvRmT2_T3_mT4_P12ihipStream_tbEUlmE_dEESB_NS0_8identityIvEEEESJ_SM_SN_mSO_SQ_bEUlT_E_NS1_11comp_targetILNS1_3genE10ELNS1_11target_archE1201ELNS1_3gpuE5ELNS1_3repE0EEENS1_30default_config_static_selectorELNS0_4arch9wavefront6targetE1EEEvT1_,comdat
	.protected	_ZN7rocprim17ROCPRIM_400000_NS6detail17trampoline_kernelINS0_14default_configENS1_25transform_config_selectorIdLb0EEEZNS1_14transform_implILb0ES3_S5_NS0_18transform_iteratorINS0_17counting_iteratorImlEEZNS1_24adjacent_difference_implIS3_Lb1ELb0EPdN6thrust23THRUST_200600_302600_NS16discard_iteratorINSD_11use_defaultEEENSD_5minusIdEEEE10hipError_tPvRmT2_T3_mT4_P12ihipStream_tbEUlmE_dEESB_NS0_8identityIvEEEESJ_SM_SN_mSO_SQ_bEUlT_E_NS1_11comp_targetILNS1_3genE10ELNS1_11target_archE1201ELNS1_3gpuE5ELNS1_3repE0EEENS1_30default_config_static_selectorELNS0_4arch9wavefront6targetE1EEEvT1_ ; -- Begin function _ZN7rocprim17ROCPRIM_400000_NS6detail17trampoline_kernelINS0_14default_configENS1_25transform_config_selectorIdLb0EEEZNS1_14transform_implILb0ES3_S5_NS0_18transform_iteratorINS0_17counting_iteratorImlEEZNS1_24adjacent_difference_implIS3_Lb1ELb0EPdN6thrust23THRUST_200600_302600_NS16discard_iteratorINSD_11use_defaultEEENSD_5minusIdEEEE10hipError_tPvRmT2_T3_mT4_P12ihipStream_tbEUlmE_dEESB_NS0_8identityIvEEEESJ_SM_SN_mSO_SQ_bEUlT_E_NS1_11comp_targetILNS1_3genE10ELNS1_11target_archE1201ELNS1_3gpuE5ELNS1_3repE0EEENS1_30default_config_static_selectorELNS0_4arch9wavefront6targetE1EEEvT1_
	.globl	_ZN7rocprim17ROCPRIM_400000_NS6detail17trampoline_kernelINS0_14default_configENS1_25transform_config_selectorIdLb0EEEZNS1_14transform_implILb0ES3_S5_NS0_18transform_iteratorINS0_17counting_iteratorImlEEZNS1_24adjacent_difference_implIS3_Lb1ELb0EPdN6thrust23THRUST_200600_302600_NS16discard_iteratorINSD_11use_defaultEEENSD_5minusIdEEEE10hipError_tPvRmT2_T3_mT4_P12ihipStream_tbEUlmE_dEESB_NS0_8identityIvEEEESJ_SM_SN_mSO_SQ_bEUlT_E_NS1_11comp_targetILNS1_3genE10ELNS1_11target_archE1201ELNS1_3gpuE5ELNS1_3repE0EEENS1_30default_config_static_selectorELNS0_4arch9wavefront6targetE1EEEvT1_
	.p2align	8
	.type	_ZN7rocprim17ROCPRIM_400000_NS6detail17trampoline_kernelINS0_14default_configENS1_25transform_config_selectorIdLb0EEEZNS1_14transform_implILb0ES3_S5_NS0_18transform_iteratorINS0_17counting_iteratorImlEEZNS1_24adjacent_difference_implIS3_Lb1ELb0EPdN6thrust23THRUST_200600_302600_NS16discard_iteratorINSD_11use_defaultEEENSD_5minusIdEEEE10hipError_tPvRmT2_T3_mT4_P12ihipStream_tbEUlmE_dEESB_NS0_8identityIvEEEESJ_SM_SN_mSO_SQ_bEUlT_E_NS1_11comp_targetILNS1_3genE10ELNS1_11target_archE1201ELNS1_3gpuE5ELNS1_3repE0EEENS1_30default_config_static_selectorELNS0_4arch9wavefront6targetE1EEEvT1_,@function
_ZN7rocprim17ROCPRIM_400000_NS6detail17trampoline_kernelINS0_14default_configENS1_25transform_config_selectorIdLb0EEEZNS1_14transform_implILb0ES3_S5_NS0_18transform_iteratorINS0_17counting_iteratorImlEEZNS1_24adjacent_difference_implIS3_Lb1ELb0EPdN6thrust23THRUST_200600_302600_NS16discard_iteratorINSD_11use_defaultEEENSD_5minusIdEEEE10hipError_tPvRmT2_T3_mT4_P12ihipStream_tbEUlmE_dEESB_NS0_8identityIvEEEESJ_SM_SN_mSO_SQ_bEUlT_E_NS1_11comp_targetILNS1_3genE10ELNS1_11target_archE1201ELNS1_3gpuE5ELNS1_3repE0EEENS1_30default_config_static_selectorELNS0_4arch9wavefront6targetE1EEEvT1_: ; @_ZN7rocprim17ROCPRIM_400000_NS6detail17trampoline_kernelINS0_14default_configENS1_25transform_config_selectorIdLb0EEEZNS1_14transform_implILb0ES3_S5_NS0_18transform_iteratorINS0_17counting_iteratorImlEEZNS1_24adjacent_difference_implIS3_Lb1ELb0EPdN6thrust23THRUST_200600_302600_NS16discard_iteratorINSD_11use_defaultEEENSD_5minusIdEEEE10hipError_tPvRmT2_T3_mT4_P12ihipStream_tbEUlmE_dEESB_NS0_8identityIvEEEESJ_SM_SN_mSO_SQ_bEUlT_E_NS1_11comp_targetILNS1_3genE10ELNS1_11target_archE1201ELNS1_3gpuE5ELNS1_3repE0EEENS1_30default_config_static_selectorELNS0_4arch9wavefront6targetE1EEEvT1_
; %bb.0:
	.section	.rodata,"a",@progbits
	.p2align	6, 0x0
	.amdhsa_kernel _ZN7rocprim17ROCPRIM_400000_NS6detail17trampoline_kernelINS0_14default_configENS1_25transform_config_selectorIdLb0EEEZNS1_14transform_implILb0ES3_S5_NS0_18transform_iteratorINS0_17counting_iteratorImlEEZNS1_24adjacent_difference_implIS3_Lb1ELb0EPdN6thrust23THRUST_200600_302600_NS16discard_iteratorINSD_11use_defaultEEENSD_5minusIdEEEE10hipError_tPvRmT2_T3_mT4_P12ihipStream_tbEUlmE_dEESB_NS0_8identityIvEEEESJ_SM_SN_mSO_SQ_bEUlT_E_NS1_11comp_targetILNS1_3genE10ELNS1_11target_archE1201ELNS1_3gpuE5ELNS1_3repE0EEENS1_30default_config_static_selectorELNS0_4arch9wavefront6targetE1EEEvT1_
		.amdhsa_group_segment_fixed_size 0
		.amdhsa_private_segment_fixed_size 0
		.amdhsa_kernarg_size 56
		.amdhsa_user_sgpr_count 6
		.amdhsa_user_sgpr_private_segment_buffer 1
		.amdhsa_user_sgpr_dispatch_ptr 0
		.amdhsa_user_sgpr_queue_ptr 0
		.amdhsa_user_sgpr_kernarg_segment_ptr 1
		.amdhsa_user_sgpr_dispatch_id 0
		.amdhsa_user_sgpr_flat_scratch_init 0
		.amdhsa_user_sgpr_kernarg_preload_length 0
		.amdhsa_user_sgpr_kernarg_preload_offset 0
		.amdhsa_user_sgpr_private_segment_size 0
		.amdhsa_uses_dynamic_stack 0
		.amdhsa_system_sgpr_private_segment_wavefront_offset 0
		.amdhsa_system_sgpr_workgroup_id_x 1
		.amdhsa_system_sgpr_workgroup_id_y 0
		.amdhsa_system_sgpr_workgroup_id_z 0
		.amdhsa_system_sgpr_workgroup_info 0
		.amdhsa_system_vgpr_workitem_id 0
		.amdhsa_next_free_vgpr 1
		.amdhsa_next_free_sgpr 0
		.amdhsa_accum_offset 4
		.amdhsa_reserve_vcc 0
		.amdhsa_reserve_flat_scratch 0
		.amdhsa_float_round_mode_32 0
		.amdhsa_float_round_mode_16_64 0
		.amdhsa_float_denorm_mode_32 3
		.amdhsa_float_denorm_mode_16_64 3
		.amdhsa_dx10_clamp 1
		.amdhsa_ieee_mode 1
		.amdhsa_fp16_overflow 0
		.amdhsa_tg_split 0
		.amdhsa_exception_fp_ieee_invalid_op 0
		.amdhsa_exception_fp_denorm_src 0
		.amdhsa_exception_fp_ieee_div_zero 0
		.amdhsa_exception_fp_ieee_overflow 0
		.amdhsa_exception_fp_ieee_underflow 0
		.amdhsa_exception_fp_ieee_inexact 0
		.amdhsa_exception_int_div_zero 0
	.end_amdhsa_kernel
	.section	.text._ZN7rocprim17ROCPRIM_400000_NS6detail17trampoline_kernelINS0_14default_configENS1_25transform_config_selectorIdLb0EEEZNS1_14transform_implILb0ES3_S5_NS0_18transform_iteratorINS0_17counting_iteratorImlEEZNS1_24adjacent_difference_implIS3_Lb1ELb0EPdN6thrust23THRUST_200600_302600_NS16discard_iteratorINSD_11use_defaultEEENSD_5minusIdEEEE10hipError_tPvRmT2_T3_mT4_P12ihipStream_tbEUlmE_dEESB_NS0_8identityIvEEEESJ_SM_SN_mSO_SQ_bEUlT_E_NS1_11comp_targetILNS1_3genE10ELNS1_11target_archE1201ELNS1_3gpuE5ELNS1_3repE0EEENS1_30default_config_static_selectorELNS0_4arch9wavefront6targetE1EEEvT1_,"axG",@progbits,_ZN7rocprim17ROCPRIM_400000_NS6detail17trampoline_kernelINS0_14default_configENS1_25transform_config_selectorIdLb0EEEZNS1_14transform_implILb0ES3_S5_NS0_18transform_iteratorINS0_17counting_iteratorImlEEZNS1_24adjacent_difference_implIS3_Lb1ELb0EPdN6thrust23THRUST_200600_302600_NS16discard_iteratorINSD_11use_defaultEEENSD_5minusIdEEEE10hipError_tPvRmT2_T3_mT4_P12ihipStream_tbEUlmE_dEESB_NS0_8identityIvEEEESJ_SM_SN_mSO_SQ_bEUlT_E_NS1_11comp_targetILNS1_3genE10ELNS1_11target_archE1201ELNS1_3gpuE5ELNS1_3repE0EEENS1_30default_config_static_selectorELNS0_4arch9wavefront6targetE1EEEvT1_,comdat
.Lfunc_end790:
	.size	_ZN7rocprim17ROCPRIM_400000_NS6detail17trampoline_kernelINS0_14default_configENS1_25transform_config_selectorIdLb0EEEZNS1_14transform_implILb0ES3_S5_NS0_18transform_iteratorINS0_17counting_iteratorImlEEZNS1_24adjacent_difference_implIS3_Lb1ELb0EPdN6thrust23THRUST_200600_302600_NS16discard_iteratorINSD_11use_defaultEEENSD_5minusIdEEEE10hipError_tPvRmT2_T3_mT4_P12ihipStream_tbEUlmE_dEESB_NS0_8identityIvEEEESJ_SM_SN_mSO_SQ_bEUlT_E_NS1_11comp_targetILNS1_3genE10ELNS1_11target_archE1201ELNS1_3gpuE5ELNS1_3repE0EEENS1_30default_config_static_selectorELNS0_4arch9wavefront6targetE1EEEvT1_, .Lfunc_end790-_ZN7rocprim17ROCPRIM_400000_NS6detail17trampoline_kernelINS0_14default_configENS1_25transform_config_selectorIdLb0EEEZNS1_14transform_implILb0ES3_S5_NS0_18transform_iteratorINS0_17counting_iteratorImlEEZNS1_24adjacent_difference_implIS3_Lb1ELb0EPdN6thrust23THRUST_200600_302600_NS16discard_iteratorINSD_11use_defaultEEENSD_5minusIdEEEE10hipError_tPvRmT2_T3_mT4_P12ihipStream_tbEUlmE_dEESB_NS0_8identityIvEEEESJ_SM_SN_mSO_SQ_bEUlT_E_NS1_11comp_targetILNS1_3genE10ELNS1_11target_archE1201ELNS1_3gpuE5ELNS1_3repE0EEENS1_30default_config_static_selectorELNS0_4arch9wavefront6targetE1EEEvT1_
                                        ; -- End function
	.section	.AMDGPU.csdata,"",@progbits
; Kernel info:
; codeLenInByte = 0
; NumSgprs: 4
; NumVgprs: 0
; NumAgprs: 0
; TotalNumVgprs: 0
; ScratchSize: 0
; MemoryBound: 0
; FloatMode: 240
; IeeeMode: 1
; LDSByteSize: 0 bytes/workgroup (compile time only)
; SGPRBlocks: 0
; VGPRBlocks: 0
; NumSGPRsForWavesPerEU: 4
; NumVGPRsForWavesPerEU: 1
; AccumOffset: 4
; Occupancy: 8
; WaveLimiterHint : 0
; COMPUTE_PGM_RSRC2:SCRATCH_EN: 0
; COMPUTE_PGM_RSRC2:USER_SGPR: 6
; COMPUTE_PGM_RSRC2:TRAP_HANDLER: 0
; COMPUTE_PGM_RSRC2:TGID_X_EN: 1
; COMPUTE_PGM_RSRC2:TGID_Y_EN: 0
; COMPUTE_PGM_RSRC2:TGID_Z_EN: 0
; COMPUTE_PGM_RSRC2:TIDIG_COMP_CNT: 0
; COMPUTE_PGM_RSRC3_GFX90A:ACCUM_OFFSET: 0
; COMPUTE_PGM_RSRC3_GFX90A:TG_SPLIT: 0
	.section	.text._ZN7rocprim17ROCPRIM_400000_NS6detail17trampoline_kernelINS0_14default_configENS1_25transform_config_selectorIdLb0EEEZNS1_14transform_implILb0ES3_S5_NS0_18transform_iteratorINS0_17counting_iteratorImlEEZNS1_24adjacent_difference_implIS3_Lb1ELb0EPdN6thrust23THRUST_200600_302600_NS16discard_iteratorINSD_11use_defaultEEENSD_5minusIdEEEE10hipError_tPvRmT2_T3_mT4_P12ihipStream_tbEUlmE_dEESB_NS0_8identityIvEEEESJ_SM_SN_mSO_SQ_bEUlT_E_NS1_11comp_targetILNS1_3genE10ELNS1_11target_archE1200ELNS1_3gpuE4ELNS1_3repE0EEENS1_30default_config_static_selectorELNS0_4arch9wavefront6targetE1EEEvT1_,"axG",@progbits,_ZN7rocprim17ROCPRIM_400000_NS6detail17trampoline_kernelINS0_14default_configENS1_25transform_config_selectorIdLb0EEEZNS1_14transform_implILb0ES3_S5_NS0_18transform_iteratorINS0_17counting_iteratorImlEEZNS1_24adjacent_difference_implIS3_Lb1ELb0EPdN6thrust23THRUST_200600_302600_NS16discard_iteratorINSD_11use_defaultEEENSD_5minusIdEEEE10hipError_tPvRmT2_T3_mT4_P12ihipStream_tbEUlmE_dEESB_NS0_8identityIvEEEESJ_SM_SN_mSO_SQ_bEUlT_E_NS1_11comp_targetILNS1_3genE10ELNS1_11target_archE1200ELNS1_3gpuE4ELNS1_3repE0EEENS1_30default_config_static_selectorELNS0_4arch9wavefront6targetE1EEEvT1_,comdat
	.protected	_ZN7rocprim17ROCPRIM_400000_NS6detail17trampoline_kernelINS0_14default_configENS1_25transform_config_selectorIdLb0EEEZNS1_14transform_implILb0ES3_S5_NS0_18transform_iteratorINS0_17counting_iteratorImlEEZNS1_24adjacent_difference_implIS3_Lb1ELb0EPdN6thrust23THRUST_200600_302600_NS16discard_iteratorINSD_11use_defaultEEENSD_5minusIdEEEE10hipError_tPvRmT2_T3_mT4_P12ihipStream_tbEUlmE_dEESB_NS0_8identityIvEEEESJ_SM_SN_mSO_SQ_bEUlT_E_NS1_11comp_targetILNS1_3genE10ELNS1_11target_archE1200ELNS1_3gpuE4ELNS1_3repE0EEENS1_30default_config_static_selectorELNS0_4arch9wavefront6targetE1EEEvT1_ ; -- Begin function _ZN7rocprim17ROCPRIM_400000_NS6detail17trampoline_kernelINS0_14default_configENS1_25transform_config_selectorIdLb0EEEZNS1_14transform_implILb0ES3_S5_NS0_18transform_iteratorINS0_17counting_iteratorImlEEZNS1_24adjacent_difference_implIS3_Lb1ELb0EPdN6thrust23THRUST_200600_302600_NS16discard_iteratorINSD_11use_defaultEEENSD_5minusIdEEEE10hipError_tPvRmT2_T3_mT4_P12ihipStream_tbEUlmE_dEESB_NS0_8identityIvEEEESJ_SM_SN_mSO_SQ_bEUlT_E_NS1_11comp_targetILNS1_3genE10ELNS1_11target_archE1200ELNS1_3gpuE4ELNS1_3repE0EEENS1_30default_config_static_selectorELNS0_4arch9wavefront6targetE1EEEvT1_
	.globl	_ZN7rocprim17ROCPRIM_400000_NS6detail17trampoline_kernelINS0_14default_configENS1_25transform_config_selectorIdLb0EEEZNS1_14transform_implILb0ES3_S5_NS0_18transform_iteratorINS0_17counting_iteratorImlEEZNS1_24adjacent_difference_implIS3_Lb1ELb0EPdN6thrust23THRUST_200600_302600_NS16discard_iteratorINSD_11use_defaultEEENSD_5minusIdEEEE10hipError_tPvRmT2_T3_mT4_P12ihipStream_tbEUlmE_dEESB_NS0_8identityIvEEEESJ_SM_SN_mSO_SQ_bEUlT_E_NS1_11comp_targetILNS1_3genE10ELNS1_11target_archE1200ELNS1_3gpuE4ELNS1_3repE0EEENS1_30default_config_static_selectorELNS0_4arch9wavefront6targetE1EEEvT1_
	.p2align	8
	.type	_ZN7rocprim17ROCPRIM_400000_NS6detail17trampoline_kernelINS0_14default_configENS1_25transform_config_selectorIdLb0EEEZNS1_14transform_implILb0ES3_S5_NS0_18transform_iteratorINS0_17counting_iteratorImlEEZNS1_24adjacent_difference_implIS3_Lb1ELb0EPdN6thrust23THRUST_200600_302600_NS16discard_iteratorINSD_11use_defaultEEENSD_5minusIdEEEE10hipError_tPvRmT2_T3_mT4_P12ihipStream_tbEUlmE_dEESB_NS0_8identityIvEEEESJ_SM_SN_mSO_SQ_bEUlT_E_NS1_11comp_targetILNS1_3genE10ELNS1_11target_archE1200ELNS1_3gpuE4ELNS1_3repE0EEENS1_30default_config_static_selectorELNS0_4arch9wavefront6targetE1EEEvT1_,@function
_ZN7rocprim17ROCPRIM_400000_NS6detail17trampoline_kernelINS0_14default_configENS1_25transform_config_selectorIdLb0EEEZNS1_14transform_implILb0ES3_S5_NS0_18transform_iteratorINS0_17counting_iteratorImlEEZNS1_24adjacent_difference_implIS3_Lb1ELb0EPdN6thrust23THRUST_200600_302600_NS16discard_iteratorINSD_11use_defaultEEENSD_5minusIdEEEE10hipError_tPvRmT2_T3_mT4_P12ihipStream_tbEUlmE_dEESB_NS0_8identityIvEEEESJ_SM_SN_mSO_SQ_bEUlT_E_NS1_11comp_targetILNS1_3genE10ELNS1_11target_archE1200ELNS1_3gpuE4ELNS1_3repE0EEENS1_30default_config_static_selectorELNS0_4arch9wavefront6targetE1EEEvT1_: ; @_ZN7rocprim17ROCPRIM_400000_NS6detail17trampoline_kernelINS0_14default_configENS1_25transform_config_selectorIdLb0EEEZNS1_14transform_implILb0ES3_S5_NS0_18transform_iteratorINS0_17counting_iteratorImlEEZNS1_24adjacent_difference_implIS3_Lb1ELb0EPdN6thrust23THRUST_200600_302600_NS16discard_iteratorINSD_11use_defaultEEENSD_5minusIdEEEE10hipError_tPvRmT2_T3_mT4_P12ihipStream_tbEUlmE_dEESB_NS0_8identityIvEEEESJ_SM_SN_mSO_SQ_bEUlT_E_NS1_11comp_targetILNS1_3genE10ELNS1_11target_archE1200ELNS1_3gpuE4ELNS1_3repE0EEENS1_30default_config_static_selectorELNS0_4arch9wavefront6targetE1EEEvT1_
; %bb.0:
	.section	.rodata,"a",@progbits
	.p2align	6, 0x0
	.amdhsa_kernel _ZN7rocprim17ROCPRIM_400000_NS6detail17trampoline_kernelINS0_14default_configENS1_25transform_config_selectorIdLb0EEEZNS1_14transform_implILb0ES3_S5_NS0_18transform_iteratorINS0_17counting_iteratorImlEEZNS1_24adjacent_difference_implIS3_Lb1ELb0EPdN6thrust23THRUST_200600_302600_NS16discard_iteratorINSD_11use_defaultEEENSD_5minusIdEEEE10hipError_tPvRmT2_T3_mT4_P12ihipStream_tbEUlmE_dEESB_NS0_8identityIvEEEESJ_SM_SN_mSO_SQ_bEUlT_E_NS1_11comp_targetILNS1_3genE10ELNS1_11target_archE1200ELNS1_3gpuE4ELNS1_3repE0EEENS1_30default_config_static_selectorELNS0_4arch9wavefront6targetE1EEEvT1_
		.amdhsa_group_segment_fixed_size 0
		.amdhsa_private_segment_fixed_size 0
		.amdhsa_kernarg_size 56
		.amdhsa_user_sgpr_count 6
		.amdhsa_user_sgpr_private_segment_buffer 1
		.amdhsa_user_sgpr_dispatch_ptr 0
		.amdhsa_user_sgpr_queue_ptr 0
		.amdhsa_user_sgpr_kernarg_segment_ptr 1
		.amdhsa_user_sgpr_dispatch_id 0
		.amdhsa_user_sgpr_flat_scratch_init 0
		.amdhsa_user_sgpr_kernarg_preload_length 0
		.amdhsa_user_sgpr_kernarg_preload_offset 0
		.amdhsa_user_sgpr_private_segment_size 0
		.amdhsa_uses_dynamic_stack 0
		.amdhsa_system_sgpr_private_segment_wavefront_offset 0
		.amdhsa_system_sgpr_workgroup_id_x 1
		.amdhsa_system_sgpr_workgroup_id_y 0
		.amdhsa_system_sgpr_workgroup_id_z 0
		.amdhsa_system_sgpr_workgroup_info 0
		.amdhsa_system_vgpr_workitem_id 0
		.amdhsa_next_free_vgpr 1
		.amdhsa_next_free_sgpr 0
		.amdhsa_accum_offset 4
		.amdhsa_reserve_vcc 0
		.amdhsa_reserve_flat_scratch 0
		.amdhsa_float_round_mode_32 0
		.amdhsa_float_round_mode_16_64 0
		.amdhsa_float_denorm_mode_32 3
		.amdhsa_float_denorm_mode_16_64 3
		.amdhsa_dx10_clamp 1
		.amdhsa_ieee_mode 1
		.amdhsa_fp16_overflow 0
		.amdhsa_tg_split 0
		.amdhsa_exception_fp_ieee_invalid_op 0
		.amdhsa_exception_fp_denorm_src 0
		.amdhsa_exception_fp_ieee_div_zero 0
		.amdhsa_exception_fp_ieee_overflow 0
		.amdhsa_exception_fp_ieee_underflow 0
		.amdhsa_exception_fp_ieee_inexact 0
		.amdhsa_exception_int_div_zero 0
	.end_amdhsa_kernel
	.section	.text._ZN7rocprim17ROCPRIM_400000_NS6detail17trampoline_kernelINS0_14default_configENS1_25transform_config_selectorIdLb0EEEZNS1_14transform_implILb0ES3_S5_NS0_18transform_iteratorINS0_17counting_iteratorImlEEZNS1_24adjacent_difference_implIS3_Lb1ELb0EPdN6thrust23THRUST_200600_302600_NS16discard_iteratorINSD_11use_defaultEEENSD_5minusIdEEEE10hipError_tPvRmT2_T3_mT4_P12ihipStream_tbEUlmE_dEESB_NS0_8identityIvEEEESJ_SM_SN_mSO_SQ_bEUlT_E_NS1_11comp_targetILNS1_3genE10ELNS1_11target_archE1200ELNS1_3gpuE4ELNS1_3repE0EEENS1_30default_config_static_selectorELNS0_4arch9wavefront6targetE1EEEvT1_,"axG",@progbits,_ZN7rocprim17ROCPRIM_400000_NS6detail17trampoline_kernelINS0_14default_configENS1_25transform_config_selectorIdLb0EEEZNS1_14transform_implILb0ES3_S5_NS0_18transform_iteratorINS0_17counting_iteratorImlEEZNS1_24adjacent_difference_implIS3_Lb1ELb0EPdN6thrust23THRUST_200600_302600_NS16discard_iteratorINSD_11use_defaultEEENSD_5minusIdEEEE10hipError_tPvRmT2_T3_mT4_P12ihipStream_tbEUlmE_dEESB_NS0_8identityIvEEEESJ_SM_SN_mSO_SQ_bEUlT_E_NS1_11comp_targetILNS1_3genE10ELNS1_11target_archE1200ELNS1_3gpuE4ELNS1_3repE0EEENS1_30default_config_static_selectorELNS0_4arch9wavefront6targetE1EEEvT1_,comdat
.Lfunc_end791:
	.size	_ZN7rocprim17ROCPRIM_400000_NS6detail17trampoline_kernelINS0_14default_configENS1_25transform_config_selectorIdLb0EEEZNS1_14transform_implILb0ES3_S5_NS0_18transform_iteratorINS0_17counting_iteratorImlEEZNS1_24adjacent_difference_implIS3_Lb1ELb0EPdN6thrust23THRUST_200600_302600_NS16discard_iteratorINSD_11use_defaultEEENSD_5minusIdEEEE10hipError_tPvRmT2_T3_mT4_P12ihipStream_tbEUlmE_dEESB_NS0_8identityIvEEEESJ_SM_SN_mSO_SQ_bEUlT_E_NS1_11comp_targetILNS1_3genE10ELNS1_11target_archE1200ELNS1_3gpuE4ELNS1_3repE0EEENS1_30default_config_static_selectorELNS0_4arch9wavefront6targetE1EEEvT1_, .Lfunc_end791-_ZN7rocprim17ROCPRIM_400000_NS6detail17trampoline_kernelINS0_14default_configENS1_25transform_config_selectorIdLb0EEEZNS1_14transform_implILb0ES3_S5_NS0_18transform_iteratorINS0_17counting_iteratorImlEEZNS1_24adjacent_difference_implIS3_Lb1ELb0EPdN6thrust23THRUST_200600_302600_NS16discard_iteratorINSD_11use_defaultEEENSD_5minusIdEEEE10hipError_tPvRmT2_T3_mT4_P12ihipStream_tbEUlmE_dEESB_NS0_8identityIvEEEESJ_SM_SN_mSO_SQ_bEUlT_E_NS1_11comp_targetILNS1_3genE10ELNS1_11target_archE1200ELNS1_3gpuE4ELNS1_3repE0EEENS1_30default_config_static_selectorELNS0_4arch9wavefront6targetE1EEEvT1_
                                        ; -- End function
	.section	.AMDGPU.csdata,"",@progbits
; Kernel info:
; codeLenInByte = 0
; NumSgprs: 4
; NumVgprs: 0
; NumAgprs: 0
; TotalNumVgprs: 0
; ScratchSize: 0
; MemoryBound: 0
; FloatMode: 240
; IeeeMode: 1
; LDSByteSize: 0 bytes/workgroup (compile time only)
; SGPRBlocks: 0
; VGPRBlocks: 0
; NumSGPRsForWavesPerEU: 4
; NumVGPRsForWavesPerEU: 1
; AccumOffset: 4
; Occupancy: 8
; WaveLimiterHint : 0
; COMPUTE_PGM_RSRC2:SCRATCH_EN: 0
; COMPUTE_PGM_RSRC2:USER_SGPR: 6
; COMPUTE_PGM_RSRC2:TRAP_HANDLER: 0
; COMPUTE_PGM_RSRC2:TGID_X_EN: 1
; COMPUTE_PGM_RSRC2:TGID_Y_EN: 0
; COMPUTE_PGM_RSRC2:TGID_Z_EN: 0
; COMPUTE_PGM_RSRC2:TIDIG_COMP_CNT: 0
; COMPUTE_PGM_RSRC3_GFX90A:ACCUM_OFFSET: 0
; COMPUTE_PGM_RSRC3_GFX90A:TG_SPLIT: 0
	.section	.text._ZN7rocprim17ROCPRIM_400000_NS6detail17trampoline_kernelINS0_14default_configENS1_25transform_config_selectorIdLb0EEEZNS1_14transform_implILb0ES3_S5_NS0_18transform_iteratorINS0_17counting_iteratorImlEEZNS1_24adjacent_difference_implIS3_Lb1ELb0EPdN6thrust23THRUST_200600_302600_NS16discard_iteratorINSD_11use_defaultEEENSD_5minusIdEEEE10hipError_tPvRmT2_T3_mT4_P12ihipStream_tbEUlmE_dEESB_NS0_8identityIvEEEESJ_SM_SN_mSO_SQ_bEUlT_E_NS1_11comp_targetILNS1_3genE9ELNS1_11target_archE1100ELNS1_3gpuE3ELNS1_3repE0EEENS1_30default_config_static_selectorELNS0_4arch9wavefront6targetE1EEEvT1_,"axG",@progbits,_ZN7rocprim17ROCPRIM_400000_NS6detail17trampoline_kernelINS0_14default_configENS1_25transform_config_selectorIdLb0EEEZNS1_14transform_implILb0ES3_S5_NS0_18transform_iteratorINS0_17counting_iteratorImlEEZNS1_24adjacent_difference_implIS3_Lb1ELb0EPdN6thrust23THRUST_200600_302600_NS16discard_iteratorINSD_11use_defaultEEENSD_5minusIdEEEE10hipError_tPvRmT2_T3_mT4_P12ihipStream_tbEUlmE_dEESB_NS0_8identityIvEEEESJ_SM_SN_mSO_SQ_bEUlT_E_NS1_11comp_targetILNS1_3genE9ELNS1_11target_archE1100ELNS1_3gpuE3ELNS1_3repE0EEENS1_30default_config_static_selectorELNS0_4arch9wavefront6targetE1EEEvT1_,comdat
	.protected	_ZN7rocprim17ROCPRIM_400000_NS6detail17trampoline_kernelINS0_14default_configENS1_25transform_config_selectorIdLb0EEEZNS1_14transform_implILb0ES3_S5_NS0_18transform_iteratorINS0_17counting_iteratorImlEEZNS1_24adjacent_difference_implIS3_Lb1ELb0EPdN6thrust23THRUST_200600_302600_NS16discard_iteratorINSD_11use_defaultEEENSD_5minusIdEEEE10hipError_tPvRmT2_T3_mT4_P12ihipStream_tbEUlmE_dEESB_NS0_8identityIvEEEESJ_SM_SN_mSO_SQ_bEUlT_E_NS1_11comp_targetILNS1_3genE9ELNS1_11target_archE1100ELNS1_3gpuE3ELNS1_3repE0EEENS1_30default_config_static_selectorELNS0_4arch9wavefront6targetE1EEEvT1_ ; -- Begin function _ZN7rocprim17ROCPRIM_400000_NS6detail17trampoline_kernelINS0_14default_configENS1_25transform_config_selectorIdLb0EEEZNS1_14transform_implILb0ES3_S5_NS0_18transform_iteratorINS0_17counting_iteratorImlEEZNS1_24adjacent_difference_implIS3_Lb1ELb0EPdN6thrust23THRUST_200600_302600_NS16discard_iteratorINSD_11use_defaultEEENSD_5minusIdEEEE10hipError_tPvRmT2_T3_mT4_P12ihipStream_tbEUlmE_dEESB_NS0_8identityIvEEEESJ_SM_SN_mSO_SQ_bEUlT_E_NS1_11comp_targetILNS1_3genE9ELNS1_11target_archE1100ELNS1_3gpuE3ELNS1_3repE0EEENS1_30default_config_static_selectorELNS0_4arch9wavefront6targetE1EEEvT1_
	.globl	_ZN7rocprim17ROCPRIM_400000_NS6detail17trampoline_kernelINS0_14default_configENS1_25transform_config_selectorIdLb0EEEZNS1_14transform_implILb0ES3_S5_NS0_18transform_iteratorINS0_17counting_iteratorImlEEZNS1_24adjacent_difference_implIS3_Lb1ELb0EPdN6thrust23THRUST_200600_302600_NS16discard_iteratorINSD_11use_defaultEEENSD_5minusIdEEEE10hipError_tPvRmT2_T3_mT4_P12ihipStream_tbEUlmE_dEESB_NS0_8identityIvEEEESJ_SM_SN_mSO_SQ_bEUlT_E_NS1_11comp_targetILNS1_3genE9ELNS1_11target_archE1100ELNS1_3gpuE3ELNS1_3repE0EEENS1_30default_config_static_selectorELNS0_4arch9wavefront6targetE1EEEvT1_
	.p2align	8
	.type	_ZN7rocprim17ROCPRIM_400000_NS6detail17trampoline_kernelINS0_14default_configENS1_25transform_config_selectorIdLb0EEEZNS1_14transform_implILb0ES3_S5_NS0_18transform_iteratorINS0_17counting_iteratorImlEEZNS1_24adjacent_difference_implIS3_Lb1ELb0EPdN6thrust23THRUST_200600_302600_NS16discard_iteratorINSD_11use_defaultEEENSD_5minusIdEEEE10hipError_tPvRmT2_T3_mT4_P12ihipStream_tbEUlmE_dEESB_NS0_8identityIvEEEESJ_SM_SN_mSO_SQ_bEUlT_E_NS1_11comp_targetILNS1_3genE9ELNS1_11target_archE1100ELNS1_3gpuE3ELNS1_3repE0EEENS1_30default_config_static_selectorELNS0_4arch9wavefront6targetE1EEEvT1_,@function
_ZN7rocprim17ROCPRIM_400000_NS6detail17trampoline_kernelINS0_14default_configENS1_25transform_config_selectorIdLb0EEEZNS1_14transform_implILb0ES3_S5_NS0_18transform_iteratorINS0_17counting_iteratorImlEEZNS1_24adjacent_difference_implIS3_Lb1ELb0EPdN6thrust23THRUST_200600_302600_NS16discard_iteratorINSD_11use_defaultEEENSD_5minusIdEEEE10hipError_tPvRmT2_T3_mT4_P12ihipStream_tbEUlmE_dEESB_NS0_8identityIvEEEESJ_SM_SN_mSO_SQ_bEUlT_E_NS1_11comp_targetILNS1_3genE9ELNS1_11target_archE1100ELNS1_3gpuE3ELNS1_3repE0EEENS1_30default_config_static_selectorELNS0_4arch9wavefront6targetE1EEEvT1_: ; @_ZN7rocprim17ROCPRIM_400000_NS6detail17trampoline_kernelINS0_14default_configENS1_25transform_config_selectorIdLb0EEEZNS1_14transform_implILb0ES3_S5_NS0_18transform_iteratorINS0_17counting_iteratorImlEEZNS1_24adjacent_difference_implIS3_Lb1ELb0EPdN6thrust23THRUST_200600_302600_NS16discard_iteratorINSD_11use_defaultEEENSD_5minusIdEEEE10hipError_tPvRmT2_T3_mT4_P12ihipStream_tbEUlmE_dEESB_NS0_8identityIvEEEESJ_SM_SN_mSO_SQ_bEUlT_E_NS1_11comp_targetILNS1_3genE9ELNS1_11target_archE1100ELNS1_3gpuE3ELNS1_3repE0EEENS1_30default_config_static_selectorELNS0_4arch9wavefront6targetE1EEEvT1_
; %bb.0:
	.section	.rodata,"a",@progbits
	.p2align	6, 0x0
	.amdhsa_kernel _ZN7rocprim17ROCPRIM_400000_NS6detail17trampoline_kernelINS0_14default_configENS1_25transform_config_selectorIdLb0EEEZNS1_14transform_implILb0ES3_S5_NS0_18transform_iteratorINS0_17counting_iteratorImlEEZNS1_24adjacent_difference_implIS3_Lb1ELb0EPdN6thrust23THRUST_200600_302600_NS16discard_iteratorINSD_11use_defaultEEENSD_5minusIdEEEE10hipError_tPvRmT2_T3_mT4_P12ihipStream_tbEUlmE_dEESB_NS0_8identityIvEEEESJ_SM_SN_mSO_SQ_bEUlT_E_NS1_11comp_targetILNS1_3genE9ELNS1_11target_archE1100ELNS1_3gpuE3ELNS1_3repE0EEENS1_30default_config_static_selectorELNS0_4arch9wavefront6targetE1EEEvT1_
		.amdhsa_group_segment_fixed_size 0
		.amdhsa_private_segment_fixed_size 0
		.amdhsa_kernarg_size 56
		.amdhsa_user_sgpr_count 6
		.amdhsa_user_sgpr_private_segment_buffer 1
		.amdhsa_user_sgpr_dispatch_ptr 0
		.amdhsa_user_sgpr_queue_ptr 0
		.amdhsa_user_sgpr_kernarg_segment_ptr 1
		.amdhsa_user_sgpr_dispatch_id 0
		.amdhsa_user_sgpr_flat_scratch_init 0
		.amdhsa_user_sgpr_kernarg_preload_length 0
		.amdhsa_user_sgpr_kernarg_preload_offset 0
		.amdhsa_user_sgpr_private_segment_size 0
		.amdhsa_uses_dynamic_stack 0
		.amdhsa_system_sgpr_private_segment_wavefront_offset 0
		.amdhsa_system_sgpr_workgroup_id_x 1
		.amdhsa_system_sgpr_workgroup_id_y 0
		.amdhsa_system_sgpr_workgroup_id_z 0
		.amdhsa_system_sgpr_workgroup_info 0
		.amdhsa_system_vgpr_workitem_id 0
		.amdhsa_next_free_vgpr 1
		.amdhsa_next_free_sgpr 0
		.amdhsa_accum_offset 4
		.amdhsa_reserve_vcc 0
		.amdhsa_reserve_flat_scratch 0
		.amdhsa_float_round_mode_32 0
		.amdhsa_float_round_mode_16_64 0
		.amdhsa_float_denorm_mode_32 3
		.amdhsa_float_denorm_mode_16_64 3
		.amdhsa_dx10_clamp 1
		.amdhsa_ieee_mode 1
		.amdhsa_fp16_overflow 0
		.amdhsa_tg_split 0
		.amdhsa_exception_fp_ieee_invalid_op 0
		.amdhsa_exception_fp_denorm_src 0
		.amdhsa_exception_fp_ieee_div_zero 0
		.amdhsa_exception_fp_ieee_overflow 0
		.amdhsa_exception_fp_ieee_underflow 0
		.amdhsa_exception_fp_ieee_inexact 0
		.amdhsa_exception_int_div_zero 0
	.end_amdhsa_kernel
	.section	.text._ZN7rocprim17ROCPRIM_400000_NS6detail17trampoline_kernelINS0_14default_configENS1_25transform_config_selectorIdLb0EEEZNS1_14transform_implILb0ES3_S5_NS0_18transform_iteratorINS0_17counting_iteratorImlEEZNS1_24adjacent_difference_implIS3_Lb1ELb0EPdN6thrust23THRUST_200600_302600_NS16discard_iteratorINSD_11use_defaultEEENSD_5minusIdEEEE10hipError_tPvRmT2_T3_mT4_P12ihipStream_tbEUlmE_dEESB_NS0_8identityIvEEEESJ_SM_SN_mSO_SQ_bEUlT_E_NS1_11comp_targetILNS1_3genE9ELNS1_11target_archE1100ELNS1_3gpuE3ELNS1_3repE0EEENS1_30default_config_static_selectorELNS0_4arch9wavefront6targetE1EEEvT1_,"axG",@progbits,_ZN7rocprim17ROCPRIM_400000_NS6detail17trampoline_kernelINS0_14default_configENS1_25transform_config_selectorIdLb0EEEZNS1_14transform_implILb0ES3_S5_NS0_18transform_iteratorINS0_17counting_iteratorImlEEZNS1_24adjacent_difference_implIS3_Lb1ELb0EPdN6thrust23THRUST_200600_302600_NS16discard_iteratorINSD_11use_defaultEEENSD_5minusIdEEEE10hipError_tPvRmT2_T3_mT4_P12ihipStream_tbEUlmE_dEESB_NS0_8identityIvEEEESJ_SM_SN_mSO_SQ_bEUlT_E_NS1_11comp_targetILNS1_3genE9ELNS1_11target_archE1100ELNS1_3gpuE3ELNS1_3repE0EEENS1_30default_config_static_selectorELNS0_4arch9wavefront6targetE1EEEvT1_,comdat
.Lfunc_end792:
	.size	_ZN7rocprim17ROCPRIM_400000_NS6detail17trampoline_kernelINS0_14default_configENS1_25transform_config_selectorIdLb0EEEZNS1_14transform_implILb0ES3_S5_NS0_18transform_iteratorINS0_17counting_iteratorImlEEZNS1_24adjacent_difference_implIS3_Lb1ELb0EPdN6thrust23THRUST_200600_302600_NS16discard_iteratorINSD_11use_defaultEEENSD_5minusIdEEEE10hipError_tPvRmT2_T3_mT4_P12ihipStream_tbEUlmE_dEESB_NS0_8identityIvEEEESJ_SM_SN_mSO_SQ_bEUlT_E_NS1_11comp_targetILNS1_3genE9ELNS1_11target_archE1100ELNS1_3gpuE3ELNS1_3repE0EEENS1_30default_config_static_selectorELNS0_4arch9wavefront6targetE1EEEvT1_, .Lfunc_end792-_ZN7rocprim17ROCPRIM_400000_NS6detail17trampoline_kernelINS0_14default_configENS1_25transform_config_selectorIdLb0EEEZNS1_14transform_implILb0ES3_S5_NS0_18transform_iteratorINS0_17counting_iteratorImlEEZNS1_24adjacent_difference_implIS3_Lb1ELb0EPdN6thrust23THRUST_200600_302600_NS16discard_iteratorINSD_11use_defaultEEENSD_5minusIdEEEE10hipError_tPvRmT2_T3_mT4_P12ihipStream_tbEUlmE_dEESB_NS0_8identityIvEEEESJ_SM_SN_mSO_SQ_bEUlT_E_NS1_11comp_targetILNS1_3genE9ELNS1_11target_archE1100ELNS1_3gpuE3ELNS1_3repE0EEENS1_30default_config_static_selectorELNS0_4arch9wavefront6targetE1EEEvT1_
                                        ; -- End function
	.section	.AMDGPU.csdata,"",@progbits
; Kernel info:
; codeLenInByte = 0
; NumSgprs: 4
; NumVgprs: 0
; NumAgprs: 0
; TotalNumVgprs: 0
; ScratchSize: 0
; MemoryBound: 0
; FloatMode: 240
; IeeeMode: 1
; LDSByteSize: 0 bytes/workgroup (compile time only)
; SGPRBlocks: 0
; VGPRBlocks: 0
; NumSGPRsForWavesPerEU: 4
; NumVGPRsForWavesPerEU: 1
; AccumOffset: 4
; Occupancy: 8
; WaveLimiterHint : 0
; COMPUTE_PGM_RSRC2:SCRATCH_EN: 0
; COMPUTE_PGM_RSRC2:USER_SGPR: 6
; COMPUTE_PGM_RSRC2:TRAP_HANDLER: 0
; COMPUTE_PGM_RSRC2:TGID_X_EN: 1
; COMPUTE_PGM_RSRC2:TGID_Y_EN: 0
; COMPUTE_PGM_RSRC2:TGID_Z_EN: 0
; COMPUTE_PGM_RSRC2:TIDIG_COMP_CNT: 0
; COMPUTE_PGM_RSRC3_GFX90A:ACCUM_OFFSET: 0
; COMPUTE_PGM_RSRC3_GFX90A:TG_SPLIT: 0
	.section	.text._ZN7rocprim17ROCPRIM_400000_NS6detail17trampoline_kernelINS0_14default_configENS1_25transform_config_selectorIdLb0EEEZNS1_14transform_implILb0ES3_S5_NS0_18transform_iteratorINS0_17counting_iteratorImlEEZNS1_24adjacent_difference_implIS3_Lb1ELb0EPdN6thrust23THRUST_200600_302600_NS16discard_iteratorINSD_11use_defaultEEENSD_5minusIdEEEE10hipError_tPvRmT2_T3_mT4_P12ihipStream_tbEUlmE_dEESB_NS0_8identityIvEEEESJ_SM_SN_mSO_SQ_bEUlT_E_NS1_11comp_targetILNS1_3genE8ELNS1_11target_archE1030ELNS1_3gpuE2ELNS1_3repE0EEENS1_30default_config_static_selectorELNS0_4arch9wavefront6targetE1EEEvT1_,"axG",@progbits,_ZN7rocprim17ROCPRIM_400000_NS6detail17trampoline_kernelINS0_14default_configENS1_25transform_config_selectorIdLb0EEEZNS1_14transform_implILb0ES3_S5_NS0_18transform_iteratorINS0_17counting_iteratorImlEEZNS1_24adjacent_difference_implIS3_Lb1ELb0EPdN6thrust23THRUST_200600_302600_NS16discard_iteratorINSD_11use_defaultEEENSD_5minusIdEEEE10hipError_tPvRmT2_T3_mT4_P12ihipStream_tbEUlmE_dEESB_NS0_8identityIvEEEESJ_SM_SN_mSO_SQ_bEUlT_E_NS1_11comp_targetILNS1_3genE8ELNS1_11target_archE1030ELNS1_3gpuE2ELNS1_3repE0EEENS1_30default_config_static_selectorELNS0_4arch9wavefront6targetE1EEEvT1_,comdat
	.protected	_ZN7rocprim17ROCPRIM_400000_NS6detail17trampoline_kernelINS0_14default_configENS1_25transform_config_selectorIdLb0EEEZNS1_14transform_implILb0ES3_S5_NS0_18transform_iteratorINS0_17counting_iteratorImlEEZNS1_24adjacent_difference_implIS3_Lb1ELb0EPdN6thrust23THRUST_200600_302600_NS16discard_iteratorINSD_11use_defaultEEENSD_5minusIdEEEE10hipError_tPvRmT2_T3_mT4_P12ihipStream_tbEUlmE_dEESB_NS0_8identityIvEEEESJ_SM_SN_mSO_SQ_bEUlT_E_NS1_11comp_targetILNS1_3genE8ELNS1_11target_archE1030ELNS1_3gpuE2ELNS1_3repE0EEENS1_30default_config_static_selectorELNS0_4arch9wavefront6targetE1EEEvT1_ ; -- Begin function _ZN7rocprim17ROCPRIM_400000_NS6detail17trampoline_kernelINS0_14default_configENS1_25transform_config_selectorIdLb0EEEZNS1_14transform_implILb0ES3_S5_NS0_18transform_iteratorINS0_17counting_iteratorImlEEZNS1_24adjacent_difference_implIS3_Lb1ELb0EPdN6thrust23THRUST_200600_302600_NS16discard_iteratorINSD_11use_defaultEEENSD_5minusIdEEEE10hipError_tPvRmT2_T3_mT4_P12ihipStream_tbEUlmE_dEESB_NS0_8identityIvEEEESJ_SM_SN_mSO_SQ_bEUlT_E_NS1_11comp_targetILNS1_3genE8ELNS1_11target_archE1030ELNS1_3gpuE2ELNS1_3repE0EEENS1_30default_config_static_selectorELNS0_4arch9wavefront6targetE1EEEvT1_
	.globl	_ZN7rocprim17ROCPRIM_400000_NS6detail17trampoline_kernelINS0_14default_configENS1_25transform_config_selectorIdLb0EEEZNS1_14transform_implILb0ES3_S5_NS0_18transform_iteratorINS0_17counting_iteratorImlEEZNS1_24adjacent_difference_implIS3_Lb1ELb0EPdN6thrust23THRUST_200600_302600_NS16discard_iteratorINSD_11use_defaultEEENSD_5minusIdEEEE10hipError_tPvRmT2_T3_mT4_P12ihipStream_tbEUlmE_dEESB_NS0_8identityIvEEEESJ_SM_SN_mSO_SQ_bEUlT_E_NS1_11comp_targetILNS1_3genE8ELNS1_11target_archE1030ELNS1_3gpuE2ELNS1_3repE0EEENS1_30default_config_static_selectorELNS0_4arch9wavefront6targetE1EEEvT1_
	.p2align	8
	.type	_ZN7rocprim17ROCPRIM_400000_NS6detail17trampoline_kernelINS0_14default_configENS1_25transform_config_selectorIdLb0EEEZNS1_14transform_implILb0ES3_S5_NS0_18transform_iteratorINS0_17counting_iteratorImlEEZNS1_24adjacent_difference_implIS3_Lb1ELb0EPdN6thrust23THRUST_200600_302600_NS16discard_iteratorINSD_11use_defaultEEENSD_5minusIdEEEE10hipError_tPvRmT2_T3_mT4_P12ihipStream_tbEUlmE_dEESB_NS0_8identityIvEEEESJ_SM_SN_mSO_SQ_bEUlT_E_NS1_11comp_targetILNS1_3genE8ELNS1_11target_archE1030ELNS1_3gpuE2ELNS1_3repE0EEENS1_30default_config_static_selectorELNS0_4arch9wavefront6targetE1EEEvT1_,@function
_ZN7rocprim17ROCPRIM_400000_NS6detail17trampoline_kernelINS0_14default_configENS1_25transform_config_selectorIdLb0EEEZNS1_14transform_implILb0ES3_S5_NS0_18transform_iteratorINS0_17counting_iteratorImlEEZNS1_24adjacent_difference_implIS3_Lb1ELb0EPdN6thrust23THRUST_200600_302600_NS16discard_iteratorINSD_11use_defaultEEENSD_5minusIdEEEE10hipError_tPvRmT2_T3_mT4_P12ihipStream_tbEUlmE_dEESB_NS0_8identityIvEEEESJ_SM_SN_mSO_SQ_bEUlT_E_NS1_11comp_targetILNS1_3genE8ELNS1_11target_archE1030ELNS1_3gpuE2ELNS1_3repE0EEENS1_30default_config_static_selectorELNS0_4arch9wavefront6targetE1EEEvT1_: ; @_ZN7rocprim17ROCPRIM_400000_NS6detail17trampoline_kernelINS0_14default_configENS1_25transform_config_selectorIdLb0EEEZNS1_14transform_implILb0ES3_S5_NS0_18transform_iteratorINS0_17counting_iteratorImlEEZNS1_24adjacent_difference_implIS3_Lb1ELb0EPdN6thrust23THRUST_200600_302600_NS16discard_iteratorINSD_11use_defaultEEENSD_5minusIdEEEE10hipError_tPvRmT2_T3_mT4_P12ihipStream_tbEUlmE_dEESB_NS0_8identityIvEEEESJ_SM_SN_mSO_SQ_bEUlT_E_NS1_11comp_targetILNS1_3genE8ELNS1_11target_archE1030ELNS1_3gpuE2ELNS1_3repE0EEENS1_30default_config_static_selectorELNS0_4arch9wavefront6targetE1EEEvT1_
; %bb.0:
	.section	.rodata,"a",@progbits
	.p2align	6, 0x0
	.amdhsa_kernel _ZN7rocprim17ROCPRIM_400000_NS6detail17trampoline_kernelINS0_14default_configENS1_25transform_config_selectorIdLb0EEEZNS1_14transform_implILb0ES3_S5_NS0_18transform_iteratorINS0_17counting_iteratorImlEEZNS1_24adjacent_difference_implIS3_Lb1ELb0EPdN6thrust23THRUST_200600_302600_NS16discard_iteratorINSD_11use_defaultEEENSD_5minusIdEEEE10hipError_tPvRmT2_T3_mT4_P12ihipStream_tbEUlmE_dEESB_NS0_8identityIvEEEESJ_SM_SN_mSO_SQ_bEUlT_E_NS1_11comp_targetILNS1_3genE8ELNS1_11target_archE1030ELNS1_3gpuE2ELNS1_3repE0EEENS1_30default_config_static_selectorELNS0_4arch9wavefront6targetE1EEEvT1_
		.amdhsa_group_segment_fixed_size 0
		.amdhsa_private_segment_fixed_size 0
		.amdhsa_kernarg_size 56
		.amdhsa_user_sgpr_count 6
		.amdhsa_user_sgpr_private_segment_buffer 1
		.amdhsa_user_sgpr_dispatch_ptr 0
		.amdhsa_user_sgpr_queue_ptr 0
		.amdhsa_user_sgpr_kernarg_segment_ptr 1
		.amdhsa_user_sgpr_dispatch_id 0
		.amdhsa_user_sgpr_flat_scratch_init 0
		.amdhsa_user_sgpr_kernarg_preload_length 0
		.amdhsa_user_sgpr_kernarg_preload_offset 0
		.amdhsa_user_sgpr_private_segment_size 0
		.amdhsa_uses_dynamic_stack 0
		.amdhsa_system_sgpr_private_segment_wavefront_offset 0
		.amdhsa_system_sgpr_workgroup_id_x 1
		.amdhsa_system_sgpr_workgroup_id_y 0
		.amdhsa_system_sgpr_workgroup_id_z 0
		.amdhsa_system_sgpr_workgroup_info 0
		.amdhsa_system_vgpr_workitem_id 0
		.amdhsa_next_free_vgpr 1
		.amdhsa_next_free_sgpr 0
		.amdhsa_accum_offset 4
		.amdhsa_reserve_vcc 0
		.amdhsa_reserve_flat_scratch 0
		.amdhsa_float_round_mode_32 0
		.amdhsa_float_round_mode_16_64 0
		.amdhsa_float_denorm_mode_32 3
		.amdhsa_float_denorm_mode_16_64 3
		.amdhsa_dx10_clamp 1
		.amdhsa_ieee_mode 1
		.amdhsa_fp16_overflow 0
		.amdhsa_tg_split 0
		.amdhsa_exception_fp_ieee_invalid_op 0
		.amdhsa_exception_fp_denorm_src 0
		.amdhsa_exception_fp_ieee_div_zero 0
		.amdhsa_exception_fp_ieee_overflow 0
		.amdhsa_exception_fp_ieee_underflow 0
		.amdhsa_exception_fp_ieee_inexact 0
		.amdhsa_exception_int_div_zero 0
	.end_amdhsa_kernel
	.section	.text._ZN7rocprim17ROCPRIM_400000_NS6detail17trampoline_kernelINS0_14default_configENS1_25transform_config_selectorIdLb0EEEZNS1_14transform_implILb0ES3_S5_NS0_18transform_iteratorINS0_17counting_iteratorImlEEZNS1_24adjacent_difference_implIS3_Lb1ELb0EPdN6thrust23THRUST_200600_302600_NS16discard_iteratorINSD_11use_defaultEEENSD_5minusIdEEEE10hipError_tPvRmT2_T3_mT4_P12ihipStream_tbEUlmE_dEESB_NS0_8identityIvEEEESJ_SM_SN_mSO_SQ_bEUlT_E_NS1_11comp_targetILNS1_3genE8ELNS1_11target_archE1030ELNS1_3gpuE2ELNS1_3repE0EEENS1_30default_config_static_selectorELNS0_4arch9wavefront6targetE1EEEvT1_,"axG",@progbits,_ZN7rocprim17ROCPRIM_400000_NS6detail17trampoline_kernelINS0_14default_configENS1_25transform_config_selectorIdLb0EEEZNS1_14transform_implILb0ES3_S5_NS0_18transform_iteratorINS0_17counting_iteratorImlEEZNS1_24adjacent_difference_implIS3_Lb1ELb0EPdN6thrust23THRUST_200600_302600_NS16discard_iteratorINSD_11use_defaultEEENSD_5minusIdEEEE10hipError_tPvRmT2_T3_mT4_P12ihipStream_tbEUlmE_dEESB_NS0_8identityIvEEEESJ_SM_SN_mSO_SQ_bEUlT_E_NS1_11comp_targetILNS1_3genE8ELNS1_11target_archE1030ELNS1_3gpuE2ELNS1_3repE0EEENS1_30default_config_static_selectorELNS0_4arch9wavefront6targetE1EEEvT1_,comdat
.Lfunc_end793:
	.size	_ZN7rocprim17ROCPRIM_400000_NS6detail17trampoline_kernelINS0_14default_configENS1_25transform_config_selectorIdLb0EEEZNS1_14transform_implILb0ES3_S5_NS0_18transform_iteratorINS0_17counting_iteratorImlEEZNS1_24adjacent_difference_implIS3_Lb1ELb0EPdN6thrust23THRUST_200600_302600_NS16discard_iteratorINSD_11use_defaultEEENSD_5minusIdEEEE10hipError_tPvRmT2_T3_mT4_P12ihipStream_tbEUlmE_dEESB_NS0_8identityIvEEEESJ_SM_SN_mSO_SQ_bEUlT_E_NS1_11comp_targetILNS1_3genE8ELNS1_11target_archE1030ELNS1_3gpuE2ELNS1_3repE0EEENS1_30default_config_static_selectorELNS0_4arch9wavefront6targetE1EEEvT1_, .Lfunc_end793-_ZN7rocprim17ROCPRIM_400000_NS6detail17trampoline_kernelINS0_14default_configENS1_25transform_config_selectorIdLb0EEEZNS1_14transform_implILb0ES3_S5_NS0_18transform_iteratorINS0_17counting_iteratorImlEEZNS1_24adjacent_difference_implIS3_Lb1ELb0EPdN6thrust23THRUST_200600_302600_NS16discard_iteratorINSD_11use_defaultEEENSD_5minusIdEEEE10hipError_tPvRmT2_T3_mT4_P12ihipStream_tbEUlmE_dEESB_NS0_8identityIvEEEESJ_SM_SN_mSO_SQ_bEUlT_E_NS1_11comp_targetILNS1_3genE8ELNS1_11target_archE1030ELNS1_3gpuE2ELNS1_3repE0EEENS1_30default_config_static_selectorELNS0_4arch9wavefront6targetE1EEEvT1_
                                        ; -- End function
	.section	.AMDGPU.csdata,"",@progbits
; Kernel info:
; codeLenInByte = 0
; NumSgprs: 4
; NumVgprs: 0
; NumAgprs: 0
; TotalNumVgprs: 0
; ScratchSize: 0
; MemoryBound: 0
; FloatMode: 240
; IeeeMode: 1
; LDSByteSize: 0 bytes/workgroup (compile time only)
; SGPRBlocks: 0
; VGPRBlocks: 0
; NumSGPRsForWavesPerEU: 4
; NumVGPRsForWavesPerEU: 1
; AccumOffset: 4
; Occupancy: 8
; WaveLimiterHint : 0
; COMPUTE_PGM_RSRC2:SCRATCH_EN: 0
; COMPUTE_PGM_RSRC2:USER_SGPR: 6
; COMPUTE_PGM_RSRC2:TRAP_HANDLER: 0
; COMPUTE_PGM_RSRC2:TGID_X_EN: 1
; COMPUTE_PGM_RSRC2:TGID_Y_EN: 0
; COMPUTE_PGM_RSRC2:TGID_Z_EN: 0
; COMPUTE_PGM_RSRC2:TIDIG_COMP_CNT: 0
; COMPUTE_PGM_RSRC3_GFX90A:ACCUM_OFFSET: 0
; COMPUTE_PGM_RSRC3_GFX90A:TG_SPLIT: 0
	.section	.text._ZN7rocprim17ROCPRIM_400000_NS6detail17trampoline_kernelINS0_14default_configENS1_35adjacent_difference_config_selectorILb1EdEEZNS1_24adjacent_difference_implIS3_Lb1ELb0EPdN6thrust23THRUST_200600_302600_NS16discard_iteratorINS9_11use_defaultEEENS9_5minusIdEEEE10hipError_tPvRmT2_T3_mT4_P12ihipStream_tbEUlT_E_NS1_11comp_targetILNS1_3genE0ELNS1_11target_archE4294967295ELNS1_3gpuE0ELNS1_3repE0EEENS1_30default_config_static_selectorELNS0_4arch9wavefront6targetE1EEEvT1_,"axG",@progbits,_ZN7rocprim17ROCPRIM_400000_NS6detail17trampoline_kernelINS0_14default_configENS1_35adjacent_difference_config_selectorILb1EdEEZNS1_24adjacent_difference_implIS3_Lb1ELb0EPdN6thrust23THRUST_200600_302600_NS16discard_iteratorINS9_11use_defaultEEENS9_5minusIdEEEE10hipError_tPvRmT2_T3_mT4_P12ihipStream_tbEUlT_E_NS1_11comp_targetILNS1_3genE0ELNS1_11target_archE4294967295ELNS1_3gpuE0ELNS1_3repE0EEENS1_30default_config_static_selectorELNS0_4arch9wavefront6targetE1EEEvT1_,comdat
	.protected	_ZN7rocprim17ROCPRIM_400000_NS6detail17trampoline_kernelINS0_14default_configENS1_35adjacent_difference_config_selectorILb1EdEEZNS1_24adjacent_difference_implIS3_Lb1ELb0EPdN6thrust23THRUST_200600_302600_NS16discard_iteratorINS9_11use_defaultEEENS9_5minusIdEEEE10hipError_tPvRmT2_T3_mT4_P12ihipStream_tbEUlT_E_NS1_11comp_targetILNS1_3genE0ELNS1_11target_archE4294967295ELNS1_3gpuE0ELNS1_3repE0EEENS1_30default_config_static_selectorELNS0_4arch9wavefront6targetE1EEEvT1_ ; -- Begin function _ZN7rocprim17ROCPRIM_400000_NS6detail17trampoline_kernelINS0_14default_configENS1_35adjacent_difference_config_selectorILb1EdEEZNS1_24adjacent_difference_implIS3_Lb1ELb0EPdN6thrust23THRUST_200600_302600_NS16discard_iteratorINS9_11use_defaultEEENS9_5minusIdEEEE10hipError_tPvRmT2_T3_mT4_P12ihipStream_tbEUlT_E_NS1_11comp_targetILNS1_3genE0ELNS1_11target_archE4294967295ELNS1_3gpuE0ELNS1_3repE0EEENS1_30default_config_static_selectorELNS0_4arch9wavefront6targetE1EEEvT1_
	.globl	_ZN7rocprim17ROCPRIM_400000_NS6detail17trampoline_kernelINS0_14default_configENS1_35adjacent_difference_config_selectorILb1EdEEZNS1_24adjacent_difference_implIS3_Lb1ELb0EPdN6thrust23THRUST_200600_302600_NS16discard_iteratorINS9_11use_defaultEEENS9_5minusIdEEEE10hipError_tPvRmT2_T3_mT4_P12ihipStream_tbEUlT_E_NS1_11comp_targetILNS1_3genE0ELNS1_11target_archE4294967295ELNS1_3gpuE0ELNS1_3repE0EEENS1_30default_config_static_selectorELNS0_4arch9wavefront6targetE1EEEvT1_
	.p2align	8
	.type	_ZN7rocprim17ROCPRIM_400000_NS6detail17trampoline_kernelINS0_14default_configENS1_35adjacent_difference_config_selectorILb1EdEEZNS1_24adjacent_difference_implIS3_Lb1ELb0EPdN6thrust23THRUST_200600_302600_NS16discard_iteratorINS9_11use_defaultEEENS9_5minusIdEEEE10hipError_tPvRmT2_T3_mT4_P12ihipStream_tbEUlT_E_NS1_11comp_targetILNS1_3genE0ELNS1_11target_archE4294967295ELNS1_3gpuE0ELNS1_3repE0EEENS1_30default_config_static_selectorELNS0_4arch9wavefront6targetE1EEEvT1_,@function
_ZN7rocprim17ROCPRIM_400000_NS6detail17trampoline_kernelINS0_14default_configENS1_35adjacent_difference_config_selectorILb1EdEEZNS1_24adjacent_difference_implIS3_Lb1ELb0EPdN6thrust23THRUST_200600_302600_NS16discard_iteratorINS9_11use_defaultEEENS9_5minusIdEEEE10hipError_tPvRmT2_T3_mT4_P12ihipStream_tbEUlT_E_NS1_11comp_targetILNS1_3genE0ELNS1_11target_archE4294967295ELNS1_3gpuE0ELNS1_3repE0EEENS1_30default_config_static_selectorELNS0_4arch9wavefront6targetE1EEEvT1_: ; @_ZN7rocprim17ROCPRIM_400000_NS6detail17trampoline_kernelINS0_14default_configENS1_35adjacent_difference_config_selectorILb1EdEEZNS1_24adjacent_difference_implIS3_Lb1ELb0EPdN6thrust23THRUST_200600_302600_NS16discard_iteratorINS9_11use_defaultEEENS9_5minusIdEEEE10hipError_tPvRmT2_T3_mT4_P12ihipStream_tbEUlT_E_NS1_11comp_targetILNS1_3genE0ELNS1_11target_archE4294967295ELNS1_3gpuE0ELNS1_3repE0EEENS1_30default_config_static_selectorELNS0_4arch9wavefront6targetE1EEEvT1_
; %bb.0:
	.section	.rodata,"a",@progbits
	.p2align	6, 0x0
	.amdhsa_kernel _ZN7rocprim17ROCPRIM_400000_NS6detail17trampoline_kernelINS0_14default_configENS1_35adjacent_difference_config_selectorILb1EdEEZNS1_24adjacent_difference_implIS3_Lb1ELb0EPdN6thrust23THRUST_200600_302600_NS16discard_iteratorINS9_11use_defaultEEENS9_5minusIdEEEE10hipError_tPvRmT2_T3_mT4_P12ihipStream_tbEUlT_E_NS1_11comp_targetILNS1_3genE0ELNS1_11target_archE4294967295ELNS1_3gpuE0ELNS1_3repE0EEENS1_30default_config_static_selectorELNS0_4arch9wavefront6targetE1EEEvT1_
		.amdhsa_group_segment_fixed_size 0
		.amdhsa_private_segment_fixed_size 0
		.amdhsa_kernarg_size 64
		.amdhsa_user_sgpr_count 6
		.amdhsa_user_sgpr_private_segment_buffer 1
		.amdhsa_user_sgpr_dispatch_ptr 0
		.amdhsa_user_sgpr_queue_ptr 0
		.amdhsa_user_sgpr_kernarg_segment_ptr 1
		.amdhsa_user_sgpr_dispatch_id 0
		.amdhsa_user_sgpr_flat_scratch_init 0
		.amdhsa_user_sgpr_kernarg_preload_length 0
		.amdhsa_user_sgpr_kernarg_preload_offset 0
		.amdhsa_user_sgpr_private_segment_size 0
		.amdhsa_uses_dynamic_stack 0
		.amdhsa_system_sgpr_private_segment_wavefront_offset 0
		.amdhsa_system_sgpr_workgroup_id_x 1
		.amdhsa_system_sgpr_workgroup_id_y 0
		.amdhsa_system_sgpr_workgroup_id_z 0
		.amdhsa_system_sgpr_workgroup_info 0
		.amdhsa_system_vgpr_workitem_id 0
		.amdhsa_next_free_vgpr 1
		.amdhsa_next_free_sgpr 0
		.amdhsa_accum_offset 4
		.amdhsa_reserve_vcc 0
		.amdhsa_reserve_flat_scratch 0
		.amdhsa_float_round_mode_32 0
		.amdhsa_float_round_mode_16_64 0
		.amdhsa_float_denorm_mode_32 3
		.amdhsa_float_denorm_mode_16_64 3
		.amdhsa_dx10_clamp 1
		.amdhsa_ieee_mode 1
		.amdhsa_fp16_overflow 0
		.amdhsa_tg_split 0
		.amdhsa_exception_fp_ieee_invalid_op 0
		.amdhsa_exception_fp_denorm_src 0
		.amdhsa_exception_fp_ieee_div_zero 0
		.amdhsa_exception_fp_ieee_overflow 0
		.amdhsa_exception_fp_ieee_underflow 0
		.amdhsa_exception_fp_ieee_inexact 0
		.amdhsa_exception_int_div_zero 0
	.end_amdhsa_kernel
	.section	.text._ZN7rocprim17ROCPRIM_400000_NS6detail17trampoline_kernelINS0_14default_configENS1_35adjacent_difference_config_selectorILb1EdEEZNS1_24adjacent_difference_implIS3_Lb1ELb0EPdN6thrust23THRUST_200600_302600_NS16discard_iteratorINS9_11use_defaultEEENS9_5minusIdEEEE10hipError_tPvRmT2_T3_mT4_P12ihipStream_tbEUlT_E_NS1_11comp_targetILNS1_3genE0ELNS1_11target_archE4294967295ELNS1_3gpuE0ELNS1_3repE0EEENS1_30default_config_static_selectorELNS0_4arch9wavefront6targetE1EEEvT1_,"axG",@progbits,_ZN7rocprim17ROCPRIM_400000_NS6detail17trampoline_kernelINS0_14default_configENS1_35adjacent_difference_config_selectorILb1EdEEZNS1_24adjacent_difference_implIS3_Lb1ELb0EPdN6thrust23THRUST_200600_302600_NS16discard_iteratorINS9_11use_defaultEEENS9_5minusIdEEEE10hipError_tPvRmT2_T3_mT4_P12ihipStream_tbEUlT_E_NS1_11comp_targetILNS1_3genE0ELNS1_11target_archE4294967295ELNS1_3gpuE0ELNS1_3repE0EEENS1_30default_config_static_selectorELNS0_4arch9wavefront6targetE1EEEvT1_,comdat
.Lfunc_end794:
	.size	_ZN7rocprim17ROCPRIM_400000_NS6detail17trampoline_kernelINS0_14default_configENS1_35adjacent_difference_config_selectorILb1EdEEZNS1_24adjacent_difference_implIS3_Lb1ELb0EPdN6thrust23THRUST_200600_302600_NS16discard_iteratorINS9_11use_defaultEEENS9_5minusIdEEEE10hipError_tPvRmT2_T3_mT4_P12ihipStream_tbEUlT_E_NS1_11comp_targetILNS1_3genE0ELNS1_11target_archE4294967295ELNS1_3gpuE0ELNS1_3repE0EEENS1_30default_config_static_selectorELNS0_4arch9wavefront6targetE1EEEvT1_, .Lfunc_end794-_ZN7rocprim17ROCPRIM_400000_NS6detail17trampoline_kernelINS0_14default_configENS1_35adjacent_difference_config_selectorILb1EdEEZNS1_24adjacent_difference_implIS3_Lb1ELb0EPdN6thrust23THRUST_200600_302600_NS16discard_iteratorINS9_11use_defaultEEENS9_5minusIdEEEE10hipError_tPvRmT2_T3_mT4_P12ihipStream_tbEUlT_E_NS1_11comp_targetILNS1_3genE0ELNS1_11target_archE4294967295ELNS1_3gpuE0ELNS1_3repE0EEENS1_30default_config_static_selectorELNS0_4arch9wavefront6targetE1EEEvT1_
                                        ; -- End function
	.section	.AMDGPU.csdata,"",@progbits
; Kernel info:
; codeLenInByte = 0
; NumSgprs: 4
; NumVgprs: 0
; NumAgprs: 0
; TotalNumVgprs: 0
; ScratchSize: 0
; MemoryBound: 0
; FloatMode: 240
; IeeeMode: 1
; LDSByteSize: 0 bytes/workgroup (compile time only)
; SGPRBlocks: 0
; VGPRBlocks: 0
; NumSGPRsForWavesPerEU: 4
; NumVGPRsForWavesPerEU: 1
; AccumOffset: 4
; Occupancy: 8
; WaveLimiterHint : 0
; COMPUTE_PGM_RSRC2:SCRATCH_EN: 0
; COMPUTE_PGM_RSRC2:USER_SGPR: 6
; COMPUTE_PGM_RSRC2:TRAP_HANDLER: 0
; COMPUTE_PGM_RSRC2:TGID_X_EN: 1
; COMPUTE_PGM_RSRC2:TGID_Y_EN: 0
; COMPUTE_PGM_RSRC2:TGID_Z_EN: 0
; COMPUTE_PGM_RSRC2:TIDIG_COMP_CNT: 0
; COMPUTE_PGM_RSRC3_GFX90A:ACCUM_OFFSET: 0
; COMPUTE_PGM_RSRC3_GFX90A:TG_SPLIT: 0
	.section	.text._ZN7rocprim17ROCPRIM_400000_NS6detail17trampoline_kernelINS0_14default_configENS1_35adjacent_difference_config_selectorILb1EdEEZNS1_24adjacent_difference_implIS3_Lb1ELb0EPdN6thrust23THRUST_200600_302600_NS16discard_iteratorINS9_11use_defaultEEENS9_5minusIdEEEE10hipError_tPvRmT2_T3_mT4_P12ihipStream_tbEUlT_E_NS1_11comp_targetILNS1_3genE10ELNS1_11target_archE1201ELNS1_3gpuE5ELNS1_3repE0EEENS1_30default_config_static_selectorELNS0_4arch9wavefront6targetE1EEEvT1_,"axG",@progbits,_ZN7rocprim17ROCPRIM_400000_NS6detail17trampoline_kernelINS0_14default_configENS1_35adjacent_difference_config_selectorILb1EdEEZNS1_24adjacent_difference_implIS3_Lb1ELb0EPdN6thrust23THRUST_200600_302600_NS16discard_iteratorINS9_11use_defaultEEENS9_5minusIdEEEE10hipError_tPvRmT2_T3_mT4_P12ihipStream_tbEUlT_E_NS1_11comp_targetILNS1_3genE10ELNS1_11target_archE1201ELNS1_3gpuE5ELNS1_3repE0EEENS1_30default_config_static_selectorELNS0_4arch9wavefront6targetE1EEEvT1_,comdat
	.protected	_ZN7rocprim17ROCPRIM_400000_NS6detail17trampoline_kernelINS0_14default_configENS1_35adjacent_difference_config_selectorILb1EdEEZNS1_24adjacent_difference_implIS3_Lb1ELb0EPdN6thrust23THRUST_200600_302600_NS16discard_iteratorINS9_11use_defaultEEENS9_5minusIdEEEE10hipError_tPvRmT2_T3_mT4_P12ihipStream_tbEUlT_E_NS1_11comp_targetILNS1_3genE10ELNS1_11target_archE1201ELNS1_3gpuE5ELNS1_3repE0EEENS1_30default_config_static_selectorELNS0_4arch9wavefront6targetE1EEEvT1_ ; -- Begin function _ZN7rocprim17ROCPRIM_400000_NS6detail17trampoline_kernelINS0_14default_configENS1_35adjacent_difference_config_selectorILb1EdEEZNS1_24adjacent_difference_implIS3_Lb1ELb0EPdN6thrust23THRUST_200600_302600_NS16discard_iteratorINS9_11use_defaultEEENS9_5minusIdEEEE10hipError_tPvRmT2_T3_mT4_P12ihipStream_tbEUlT_E_NS1_11comp_targetILNS1_3genE10ELNS1_11target_archE1201ELNS1_3gpuE5ELNS1_3repE0EEENS1_30default_config_static_selectorELNS0_4arch9wavefront6targetE1EEEvT1_
	.globl	_ZN7rocprim17ROCPRIM_400000_NS6detail17trampoline_kernelINS0_14default_configENS1_35adjacent_difference_config_selectorILb1EdEEZNS1_24adjacent_difference_implIS3_Lb1ELb0EPdN6thrust23THRUST_200600_302600_NS16discard_iteratorINS9_11use_defaultEEENS9_5minusIdEEEE10hipError_tPvRmT2_T3_mT4_P12ihipStream_tbEUlT_E_NS1_11comp_targetILNS1_3genE10ELNS1_11target_archE1201ELNS1_3gpuE5ELNS1_3repE0EEENS1_30default_config_static_selectorELNS0_4arch9wavefront6targetE1EEEvT1_
	.p2align	8
	.type	_ZN7rocprim17ROCPRIM_400000_NS6detail17trampoline_kernelINS0_14default_configENS1_35adjacent_difference_config_selectorILb1EdEEZNS1_24adjacent_difference_implIS3_Lb1ELb0EPdN6thrust23THRUST_200600_302600_NS16discard_iteratorINS9_11use_defaultEEENS9_5minusIdEEEE10hipError_tPvRmT2_T3_mT4_P12ihipStream_tbEUlT_E_NS1_11comp_targetILNS1_3genE10ELNS1_11target_archE1201ELNS1_3gpuE5ELNS1_3repE0EEENS1_30default_config_static_selectorELNS0_4arch9wavefront6targetE1EEEvT1_,@function
_ZN7rocprim17ROCPRIM_400000_NS6detail17trampoline_kernelINS0_14default_configENS1_35adjacent_difference_config_selectorILb1EdEEZNS1_24adjacent_difference_implIS3_Lb1ELb0EPdN6thrust23THRUST_200600_302600_NS16discard_iteratorINS9_11use_defaultEEENS9_5minusIdEEEE10hipError_tPvRmT2_T3_mT4_P12ihipStream_tbEUlT_E_NS1_11comp_targetILNS1_3genE10ELNS1_11target_archE1201ELNS1_3gpuE5ELNS1_3repE0EEENS1_30default_config_static_selectorELNS0_4arch9wavefront6targetE1EEEvT1_: ; @_ZN7rocprim17ROCPRIM_400000_NS6detail17trampoline_kernelINS0_14default_configENS1_35adjacent_difference_config_selectorILb1EdEEZNS1_24adjacent_difference_implIS3_Lb1ELb0EPdN6thrust23THRUST_200600_302600_NS16discard_iteratorINS9_11use_defaultEEENS9_5minusIdEEEE10hipError_tPvRmT2_T3_mT4_P12ihipStream_tbEUlT_E_NS1_11comp_targetILNS1_3genE10ELNS1_11target_archE1201ELNS1_3gpuE5ELNS1_3repE0EEENS1_30default_config_static_selectorELNS0_4arch9wavefront6targetE1EEEvT1_
; %bb.0:
	.section	.rodata,"a",@progbits
	.p2align	6, 0x0
	.amdhsa_kernel _ZN7rocprim17ROCPRIM_400000_NS6detail17trampoline_kernelINS0_14default_configENS1_35adjacent_difference_config_selectorILb1EdEEZNS1_24adjacent_difference_implIS3_Lb1ELb0EPdN6thrust23THRUST_200600_302600_NS16discard_iteratorINS9_11use_defaultEEENS9_5minusIdEEEE10hipError_tPvRmT2_T3_mT4_P12ihipStream_tbEUlT_E_NS1_11comp_targetILNS1_3genE10ELNS1_11target_archE1201ELNS1_3gpuE5ELNS1_3repE0EEENS1_30default_config_static_selectorELNS0_4arch9wavefront6targetE1EEEvT1_
		.amdhsa_group_segment_fixed_size 0
		.amdhsa_private_segment_fixed_size 0
		.amdhsa_kernarg_size 64
		.amdhsa_user_sgpr_count 6
		.amdhsa_user_sgpr_private_segment_buffer 1
		.amdhsa_user_sgpr_dispatch_ptr 0
		.amdhsa_user_sgpr_queue_ptr 0
		.amdhsa_user_sgpr_kernarg_segment_ptr 1
		.amdhsa_user_sgpr_dispatch_id 0
		.amdhsa_user_sgpr_flat_scratch_init 0
		.amdhsa_user_sgpr_kernarg_preload_length 0
		.amdhsa_user_sgpr_kernarg_preload_offset 0
		.amdhsa_user_sgpr_private_segment_size 0
		.amdhsa_uses_dynamic_stack 0
		.amdhsa_system_sgpr_private_segment_wavefront_offset 0
		.amdhsa_system_sgpr_workgroup_id_x 1
		.amdhsa_system_sgpr_workgroup_id_y 0
		.amdhsa_system_sgpr_workgroup_id_z 0
		.amdhsa_system_sgpr_workgroup_info 0
		.amdhsa_system_vgpr_workitem_id 0
		.amdhsa_next_free_vgpr 1
		.amdhsa_next_free_sgpr 0
		.amdhsa_accum_offset 4
		.amdhsa_reserve_vcc 0
		.amdhsa_reserve_flat_scratch 0
		.amdhsa_float_round_mode_32 0
		.amdhsa_float_round_mode_16_64 0
		.amdhsa_float_denorm_mode_32 3
		.amdhsa_float_denorm_mode_16_64 3
		.amdhsa_dx10_clamp 1
		.amdhsa_ieee_mode 1
		.amdhsa_fp16_overflow 0
		.amdhsa_tg_split 0
		.amdhsa_exception_fp_ieee_invalid_op 0
		.amdhsa_exception_fp_denorm_src 0
		.amdhsa_exception_fp_ieee_div_zero 0
		.amdhsa_exception_fp_ieee_overflow 0
		.amdhsa_exception_fp_ieee_underflow 0
		.amdhsa_exception_fp_ieee_inexact 0
		.amdhsa_exception_int_div_zero 0
	.end_amdhsa_kernel
	.section	.text._ZN7rocprim17ROCPRIM_400000_NS6detail17trampoline_kernelINS0_14default_configENS1_35adjacent_difference_config_selectorILb1EdEEZNS1_24adjacent_difference_implIS3_Lb1ELb0EPdN6thrust23THRUST_200600_302600_NS16discard_iteratorINS9_11use_defaultEEENS9_5minusIdEEEE10hipError_tPvRmT2_T3_mT4_P12ihipStream_tbEUlT_E_NS1_11comp_targetILNS1_3genE10ELNS1_11target_archE1201ELNS1_3gpuE5ELNS1_3repE0EEENS1_30default_config_static_selectorELNS0_4arch9wavefront6targetE1EEEvT1_,"axG",@progbits,_ZN7rocprim17ROCPRIM_400000_NS6detail17trampoline_kernelINS0_14default_configENS1_35adjacent_difference_config_selectorILb1EdEEZNS1_24adjacent_difference_implIS3_Lb1ELb0EPdN6thrust23THRUST_200600_302600_NS16discard_iteratorINS9_11use_defaultEEENS9_5minusIdEEEE10hipError_tPvRmT2_T3_mT4_P12ihipStream_tbEUlT_E_NS1_11comp_targetILNS1_3genE10ELNS1_11target_archE1201ELNS1_3gpuE5ELNS1_3repE0EEENS1_30default_config_static_selectorELNS0_4arch9wavefront6targetE1EEEvT1_,comdat
.Lfunc_end795:
	.size	_ZN7rocprim17ROCPRIM_400000_NS6detail17trampoline_kernelINS0_14default_configENS1_35adjacent_difference_config_selectorILb1EdEEZNS1_24adjacent_difference_implIS3_Lb1ELb0EPdN6thrust23THRUST_200600_302600_NS16discard_iteratorINS9_11use_defaultEEENS9_5minusIdEEEE10hipError_tPvRmT2_T3_mT4_P12ihipStream_tbEUlT_E_NS1_11comp_targetILNS1_3genE10ELNS1_11target_archE1201ELNS1_3gpuE5ELNS1_3repE0EEENS1_30default_config_static_selectorELNS0_4arch9wavefront6targetE1EEEvT1_, .Lfunc_end795-_ZN7rocprim17ROCPRIM_400000_NS6detail17trampoline_kernelINS0_14default_configENS1_35adjacent_difference_config_selectorILb1EdEEZNS1_24adjacent_difference_implIS3_Lb1ELb0EPdN6thrust23THRUST_200600_302600_NS16discard_iteratorINS9_11use_defaultEEENS9_5minusIdEEEE10hipError_tPvRmT2_T3_mT4_P12ihipStream_tbEUlT_E_NS1_11comp_targetILNS1_3genE10ELNS1_11target_archE1201ELNS1_3gpuE5ELNS1_3repE0EEENS1_30default_config_static_selectorELNS0_4arch9wavefront6targetE1EEEvT1_
                                        ; -- End function
	.section	.AMDGPU.csdata,"",@progbits
; Kernel info:
; codeLenInByte = 0
; NumSgprs: 4
; NumVgprs: 0
; NumAgprs: 0
; TotalNumVgprs: 0
; ScratchSize: 0
; MemoryBound: 0
; FloatMode: 240
; IeeeMode: 1
; LDSByteSize: 0 bytes/workgroup (compile time only)
; SGPRBlocks: 0
; VGPRBlocks: 0
; NumSGPRsForWavesPerEU: 4
; NumVGPRsForWavesPerEU: 1
; AccumOffset: 4
; Occupancy: 8
; WaveLimiterHint : 0
; COMPUTE_PGM_RSRC2:SCRATCH_EN: 0
; COMPUTE_PGM_RSRC2:USER_SGPR: 6
; COMPUTE_PGM_RSRC2:TRAP_HANDLER: 0
; COMPUTE_PGM_RSRC2:TGID_X_EN: 1
; COMPUTE_PGM_RSRC2:TGID_Y_EN: 0
; COMPUTE_PGM_RSRC2:TGID_Z_EN: 0
; COMPUTE_PGM_RSRC2:TIDIG_COMP_CNT: 0
; COMPUTE_PGM_RSRC3_GFX90A:ACCUM_OFFSET: 0
; COMPUTE_PGM_RSRC3_GFX90A:TG_SPLIT: 0
	.section	.text._ZN7rocprim17ROCPRIM_400000_NS6detail17trampoline_kernelINS0_14default_configENS1_35adjacent_difference_config_selectorILb1EdEEZNS1_24adjacent_difference_implIS3_Lb1ELb0EPdN6thrust23THRUST_200600_302600_NS16discard_iteratorINS9_11use_defaultEEENS9_5minusIdEEEE10hipError_tPvRmT2_T3_mT4_P12ihipStream_tbEUlT_E_NS1_11comp_targetILNS1_3genE5ELNS1_11target_archE942ELNS1_3gpuE9ELNS1_3repE0EEENS1_30default_config_static_selectorELNS0_4arch9wavefront6targetE1EEEvT1_,"axG",@progbits,_ZN7rocprim17ROCPRIM_400000_NS6detail17trampoline_kernelINS0_14default_configENS1_35adjacent_difference_config_selectorILb1EdEEZNS1_24adjacent_difference_implIS3_Lb1ELb0EPdN6thrust23THRUST_200600_302600_NS16discard_iteratorINS9_11use_defaultEEENS9_5minusIdEEEE10hipError_tPvRmT2_T3_mT4_P12ihipStream_tbEUlT_E_NS1_11comp_targetILNS1_3genE5ELNS1_11target_archE942ELNS1_3gpuE9ELNS1_3repE0EEENS1_30default_config_static_selectorELNS0_4arch9wavefront6targetE1EEEvT1_,comdat
	.protected	_ZN7rocprim17ROCPRIM_400000_NS6detail17trampoline_kernelINS0_14default_configENS1_35adjacent_difference_config_selectorILb1EdEEZNS1_24adjacent_difference_implIS3_Lb1ELb0EPdN6thrust23THRUST_200600_302600_NS16discard_iteratorINS9_11use_defaultEEENS9_5minusIdEEEE10hipError_tPvRmT2_T3_mT4_P12ihipStream_tbEUlT_E_NS1_11comp_targetILNS1_3genE5ELNS1_11target_archE942ELNS1_3gpuE9ELNS1_3repE0EEENS1_30default_config_static_selectorELNS0_4arch9wavefront6targetE1EEEvT1_ ; -- Begin function _ZN7rocprim17ROCPRIM_400000_NS6detail17trampoline_kernelINS0_14default_configENS1_35adjacent_difference_config_selectorILb1EdEEZNS1_24adjacent_difference_implIS3_Lb1ELb0EPdN6thrust23THRUST_200600_302600_NS16discard_iteratorINS9_11use_defaultEEENS9_5minusIdEEEE10hipError_tPvRmT2_T3_mT4_P12ihipStream_tbEUlT_E_NS1_11comp_targetILNS1_3genE5ELNS1_11target_archE942ELNS1_3gpuE9ELNS1_3repE0EEENS1_30default_config_static_selectorELNS0_4arch9wavefront6targetE1EEEvT1_
	.globl	_ZN7rocprim17ROCPRIM_400000_NS6detail17trampoline_kernelINS0_14default_configENS1_35adjacent_difference_config_selectorILb1EdEEZNS1_24adjacent_difference_implIS3_Lb1ELb0EPdN6thrust23THRUST_200600_302600_NS16discard_iteratorINS9_11use_defaultEEENS9_5minusIdEEEE10hipError_tPvRmT2_T3_mT4_P12ihipStream_tbEUlT_E_NS1_11comp_targetILNS1_3genE5ELNS1_11target_archE942ELNS1_3gpuE9ELNS1_3repE0EEENS1_30default_config_static_selectorELNS0_4arch9wavefront6targetE1EEEvT1_
	.p2align	8
	.type	_ZN7rocprim17ROCPRIM_400000_NS6detail17trampoline_kernelINS0_14default_configENS1_35adjacent_difference_config_selectorILb1EdEEZNS1_24adjacent_difference_implIS3_Lb1ELb0EPdN6thrust23THRUST_200600_302600_NS16discard_iteratorINS9_11use_defaultEEENS9_5minusIdEEEE10hipError_tPvRmT2_T3_mT4_P12ihipStream_tbEUlT_E_NS1_11comp_targetILNS1_3genE5ELNS1_11target_archE942ELNS1_3gpuE9ELNS1_3repE0EEENS1_30default_config_static_selectorELNS0_4arch9wavefront6targetE1EEEvT1_,@function
_ZN7rocprim17ROCPRIM_400000_NS6detail17trampoline_kernelINS0_14default_configENS1_35adjacent_difference_config_selectorILb1EdEEZNS1_24adjacent_difference_implIS3_Lb1ELb0EPdN6thrust23THRUST_200600_302600_NS16discard_iteratorINS9_11use_defaultEEENS9_5minusIdEEEE10hipError_tPvRmT2_T3_mT4_P12ihipStream_tbEUlT_E_NS1_11comp_targetILNS1_3genE5ELNS1_11target_archE942ELNS1_3gpuE9ELNS1_3repE0EEENS1_30default_config_static_selectorELNS0_4arch9wavefront6targetE1EEEvT1_: ; @_ZN7rocprim17ROCPRIM_400000_NS6detail17trampoline_kernelINS0_14default_configENS1_35adjacent_difference_config_selectorILb1EdEEZNS1_24adjacent_difference_implIS3_Lb1ELb0EPdN6thrust23THRUST_200600_302600_NS16discard_iteratorINS9_11use_defaultEEENS9_5minusIdEEEE10hipError_tPvRmT2_T3_mT4_P12ihipStream_tbEUlT_E_NS1_11comp_targetILNS1_3genE5ELNS1_11target_archE942ELNS1_3gpuE9ELNS1_3repE0EEENS1_30default_config_static_selectorELNS0_4arch9wavefront6targetE1EEEvT1_
; %bb.0:
	.section	.rodata,"a",@progbits
	.p2align	6, 0x0
	.amdhsa_kernel _ZN7rocprim17ROCPRIM_400000_NS6detail17trampoline_kernelINS0_14default_configENS1_35adjacent_difference_config_selectorILb1EdEEZNS1_24adjacent_difference_implIS3_Lb1ELb0EPdN6thrust23THRUST_200600_302600_NS16discard_iteratorINS9_11use_defaultEEENS9_5minusIdEEEE10hipError_tPvRmT2_T3_mT4_P12ihipStream_tbEUlT_E_NS1_11comp_targetILNS1_3genE5ELNS1_11target_archE942ELNS1_3gpuE9ELNS1_3repE0EEENS1_30default_config_static_selectorELNS0_4arch9wavefront6targetE1EEEvT1_
		.amdhsa_group_segment_fixed_size 0
		.amdhsa_private_segment_fixed_size 0
		.amdhsa_kernarg_size 64
		.amdhsa_user_sgpr_count 6
		.amdhsa_user_sgpr_private_segment_buffer 1
		.amdhsa_user_sgpr_dispatch_ptr 0
		.amdhsa_user_sgpr_queue_ptr 0
		.amdhsa_user_sgpr_kernarg_segment_ptr 1
		.amdhsa_user_sgpr_dispatch_id 0
		.amdhsa_user_sgpr_flat_scratch_init 0
		.amdhsa_user_sgpr_kernarg_preload_length 0
		.amdhsa_user_sgpr_kernarg_preload_offset 0
		.amdhsa_user_sgpr_private_segment_size 0
		.amdhsa_uses_dynamic_stack 0
		.amdhsa_system_sgpr_private_segment_wavefront_offset 0
		.amdhsa_system_sgpr_workgroup_id_x 1
		.amdhsa_system_sgpr_workgroup_id_y 0
		.amdhsa_system_sgpr_workgroup_id_z 0
		.amdhsa_system_sgpr_workgroup_info 0
		.amdhsa_system_vgpr_workitem_id 0
		.amdhsa_next_free_vgpr 1
		.amdhsa_next_free_sgpr 0
		.amdhsa_accum_offset 4
		.amdhsa_reserve_vcc 0
		.amdhsa_reserve_flat_scratch 0
		.amdhsa_float_round_mode_32 0
		.amdhsa_float_round_mode_16_64 0
		.amdhsa_float_denorm_mode_32 3
		.amdhsa_float_denorm_mode_16_64 3
		.amdhsa_dx10_clamp 1
		.amdhsa_ieee_mode 1
		.amdhsa_fp16_overflow 0
		.amdhsa_tg_split 0
		.amdhsa_exception_fp_ieee_invalid_op 0
		.amdhsa_exception_fp_denorm_src 0
		.amdhsa_exception_fp_ieee_div_zero 0
		.amdhsa_exception_fp_ieee_overflow 0
		.amdhsa_exception_fp_ieee_underflow 0
		.amdhsa_exception_fp_ieee_inexact 0
		.amdhsa_exception_int_div_zero 0
	.end_amdhsa_kernel
	.section	.text._ZN7rocprim17ROCPRIM_400000_NS6detail17trampoline_kernelINS0_14default_configENS1_35adjacent_difference_config_selectorILb1EdEEZNS1_24adjacent_difference_implIS3_Lb1ELb0EPdN6thrust23THRUST_200600_302600_NS16discard_iteratorINS9_11use_defaultEEENS9_5minusIdEEEE10hipError_tPvRmT2_T3_mT4_P12ihipStream_tbEUlT_E_NS1_11comp_targetILNS1_3genE5ELNS1_11target_archE942ELNS1_3gpuE9ELNS1_3repE0EEENS1_30default_config_static_selectorELNS0_4arch9wavefront6targetE1EEEvT1_,"axG",@progbits,_ZN7rocprim17ROCPRIM_400000_NS6detail17trampoline_kernelINS0_14default_configENS1_35adjacent_difference_config_selectorILb1EdEEZNS1_24adjacent_difference_implIS3_Lb1ELb0EPdN6thrust23THRUST_200600_302600_NS16discard_iteratorINS9_11use_defaultEEENS9_5minusIdEEEE10hipError_tPvRmT2_T3_mT4_P12ihipStream_tbEUlT_E_NS1_11comp_targetILNS1_3genE5ELNS1_11target_archE942ELNS1_3gpuE9ELNS1_3repE0EEENS1_30default_config_static_selectorELNS0_4arch9wavefront6targetE1EEEvT1_,comdat
.Lfunc_end796:
	.size	_ZN7rocprim17ROCPRIM_400000_NS6detail17trampoline_kernelINS0_14default_configENS1_35adjacent_difference_config_selectorILb1EdEEZNS1_24adjacent_difference_implIS3_Lb1ELb0EPdN6thrust23THRUST_200600_302600_NS16discard_iteratorINS9_11use_defaultEEENS9_5minusIdEEEE10hipError_tPvRmT2_T3_mT4_P12ihipStream_tbEUlT_E_NS1_11comp_targetILNS1_3genE5ELNS1_11target_archE942ELNS1_3gpuE9ELNS1_3repE0EEENS1_30default_config_static_selectorELNS0_4arch9wavefront6targetE1EEEvT1_, .Lfunc_end796-_ZN7rocprim17ROCPRIM_400000_NS6detail17trampoline_kernelINS0_14default_configENS1_35adjacent_difference_config_selectorILb1EdEEZNS1_24adjacent_difference_implIS3_Lb1ELb0EPdN6thrust23THRUST_200600_302600_NS16discard_iteratorINS9_11use_defaultEEENS9_5minusIdEEEE10hipError_tPvRmT2_T3_mT4_P12ihipStream_tbEUlT_E_NS1_11comp_targetILNS1_3genE5ELNS1_11target_archE942ELNS1_3gpuE9ELNS1_3repE0EEENS1_30default_config_static_selectorELNS0_4arch9wavefront6targetE1EEEvT1_
                                        ; -- End function
	.section	.AMDGPU.csdata,"",@progbits
; Kernel info:
; codeLenInByte = 0
; NumSgprs: 4
; NumVgprs: 0
; NumAgprs: 0
; TotalNumVgprs: 0
; ScratchSize: 0
; MemoryBound: 0
; FloatMode: 240
; IeeeMode: 1
; LDSByteSize: 0 bytes/workgroup (compile time only)
; SGPRBlocks: 0
; VGPRBlocks: 0
; NumSGPRsForWavesPerEU: 4
; NumVGPRsForWavesPerEU: 1
; AccumOffset: 4
; Occupancy: 8
; WaveLimiterHint : 0
; COMPUTE_PGM_RSRC2:SCRATCH_EN: 0
; COMPUTE_PGM_RSRC2:USER_SGPR: 6
; COMPUTE_PGM_RSRC2:TRAP_HANDLER: 0
; COMPUTE_PGM_RSRC2:TGID_X_EN: 1
; COMPUTE_PGM_RSRC2:TGID_Y_EN: 0
; COMPUTE_PGM_RSRC2:TGID_Z_EN: 0
; COMPUTE_PGM_RSRC2:TIDIG_COMP_CNT: 0
; COMPUTE_PGM_RSRC3_GFX90A:ACCUM_OFFSET: 0
; COMPUTE_PGM_RSRC3_GFX90A:TG_SPLIT: 0
	.section	.text._ZN7rocprim17ROCPRIM_400000_NS6detail17trampoline_kernelINS0_14default_configENS1_35adjacent_difference_config_selectorILb1EdEEZNS1_24adjacent_difference_implIS3_Lb1ELb0EPdN6thrust23THRUST_200600_302600_NS16discard_iteratorINS9_11use_defaultEEENS9_5minusIdEEEE10hipError_tPvRmT2_T3_mT4_P12ihipStream_tbEUlT_E_NS1_11comp_targetILNS1_3genE4ELNS1_11target_archE910ELNS1_3gpuE8ELNS1_3repE0EEENS1_30default_config_static_selectorELNS0_4arch9wavefront6targetE1EEEvT1_,"axG",@progbits,_ZN7rocprim17ROCPRIM_400000_NS6detail17trampoline_kernelINS0_14default_configENS1_35adjacent_difference_config_selectorILb1EdEEZNS1_24adjacent_difference_implIS3_Lb1ELb0EPdN6thrust23THRUST_200600_302600_NS16discard_iteratorINS9_11use_defaultEEENS9_5minusIdEEEE10hipError_tPvRmT2_T3_mT4_P12ihipStream_tbEUlT_E_NS1_11comp_targetILNS1_3genE4ELNS1_11target_archE910ELNS1_3gpuE8ELNS1_3repE0EEENS1_30default_config_static_selectorELNS0_4arch9wavefront6targetE1EEEvT1_,comdat
	.protected	_ZN7rocprim17ROCPRIM_400000_NS6detail17trampoline_kernelINS0_14default_configENS1_35adjacent_difference_config_selectorILb1EdEEZNS1_24adjacent_difference_implIS3_Lb1ELb0EPdN6thrust23THRUST_200600_302600_NS16discard_iteratorINS9_11use_defaultEEENS9_5minusIdEEEE10hipError_tPvRmT2_T3_mT4_P12ihipStream_tbEUlT_E_NS1_11comp_targetILNS1_3genE4ELNS1_11target_archE910ELNS1_3gpuE8ELNS1_3repE0EEENS1_30default_config_static_selectorELNS0_4arch9wavefront6targetE1EEEvT1_ ; -- Begin function _ZN7rocprim17ROCPRIM_400000_NS6detail17trampoline_kernelINS0_14default_configENS1_35adjacent_difference_config_selectorILb1EdEEZNS1_24adjacent_difference_implIS3_Lb1ELb0EPdN6thrust23THRUST_200600_302600_NS16discard_iteratorINS9_11use_defaultEEENS9_5minusIdEEEE10hipError_tPvRmT2_T3_mT4_P12ihipStream_tbEUlT_E_NS1_11comp_targetILNS1_3genE4ELNS1_11target_archE910ELNS1_3gpuE8ELNS1_3repE0EEENS1_30default_config_static_selectorELNS0_4arch9wavefront6targetE1EEEvT1_
	.globl	_ZN7rocprim17ROCPRIM_400000_NS6detail17trampoline_kernelINS0_14default_configENS1_35adjacent_difference_config_selectorILb1EdEEZNS1_24adjacent_difference_implIS3_Lb1ELb0EPdN6thrust23THRUST_200600_302600_NS16discard_iteratorINS9_11use_defaultEEENS9_5minusIdEEEE10hipError_tPvRmT2_T3_mT4_P12ihipStream_tbEUlT_E_NS1_11comp_targetILNS1_3genE4ELNS1_11target_archE910ELNS1_3gpuE8ELNS1_3repE0EEENS1_30default_config_static_selectorELNS0_4arch9wavefront6targetE1EEEvT1_
	.p2align	8
	.type	_ZN7rocprim17ROCPRIM_400000_NS6detail17trampoline_kernelINS0_14default_configENS1_35adjacent_difference_config_selectorILb1EdEEZNS1_24adjacent_difference_implIS3_Lb1ELb0EPdN6thrust23THRUST_200600_302600_NS16discard_iteratorINS9_11use_defaultEEENS9_5minusIdEEEE10hipError_tPvRmT2_T3_mT4_P12ihipStream_tbEUlT_E_NS1_11comp_targetILNS1_3genE4ELNS1_11target_archE910ELNS1_3gpuE8ELNS1_3repE0EEENS1_30default_config_static_selectorELNS0_4arch9wavefront6targetE1EEEvT1_,@function
_ZN7rocprim17ROCPRIM_400000_NS6detail17trampoline_kernelINS0_14default_configENS1_35adjacent_difference_config_selectorILb1EdEEZNS1_24adjacent_difference_implIS3_Lb1ELb0EPdN6thrust23THRUST_200600_302600_NS16discard_iteratorINS9_11use_defaultEEENS9_5minusIdEEEE10hipError_tPvRmT2_T3_mT4_P12ihipStream_tbEUlT_E_NS1_11comp_targetILNS1_3genE4ELNS1_11target_archE910ELNS1_3gpuE8ELNS1_3repE0EEENS1_30default_config_static_selectorELNS0_4arch9wavefront6targetE1EEEvT1_: ; @_ZN7rocprim17ROCPRIM_400000_NS6detail17trampoline_kernelINS0_14default_configENS1_35adjacent_difference_config_selectorILb1EdEEZNS1_24adjacent_difference_implIS3_Lb1ELb0EPdN6thrust23THRUST_200600_302600_NS16discard_iteratorINS9_11use_defaultEEENS9_5minusIdEEEE10hipError_tPvRmT2_T3_mT4_P12ihipStream_tbEUlT_E_NS1_11comp_targetILNS1_3genE4ELNS1_11target_archE910ELNS1_3gpuE8ELNS1_3repE0EEENS1_30default_config_static_selectorELNS0_4arch9wavefront6targetE1EEEvT1_
; %bb.0:
	s_load_dwordx4 s[12:15], s[4:5], 0x0
	s_load_dwordx2 s[2:3], s[4:5], 0x20
	s_load_dwordx4 s[8:11], s[4:5], 0x30
	s_mov_b64 s[18:19], -1
	s_waitcnt lgkmcnt(0)
	s_lshl_b64 s[0:1], s[14:15], 3
	s_add_u32 s22, s12, s0
	s_addc_u32 s23, s13, s1
	s_lshl_b32 s16, s6, 10
	s_lshr_b64 s[0:1], s[2:3], 10
	s_and_b32 s12, s2, 0x3ff
	s_mov_b32 s13, 0
	s_cmp_lg_u64 s[12:13], 0
	s_cselect_b64 s[4:5], -1, 0
	v_cndmask_b32_e64 v1, 0, 1, s[4:5]
	v_readfirstlane_b32 s3, v1
	s_add_u32 s4, s0, s3
	s_addc_u32 s5, s1, 0
	s_mov_b32 s12, s6
	s_add_u32 s6, s10, s6
	s_addc_u32 s7, s11, 0
	s_add_u32 s14, s4, -1
	s_addc_u32 s15, s5, -1
	v_pk_mov_b32 v[2:3], s[14:15], s[14:15] op_sel:[0,1]
	v_cmp_ge_u64_e64 s[0:1], s[6:7], v[2:3]
	s_and_b64 vcc, exec, s[0:1]
	s_cbranch_vccz .LBB797_6
; %bb.1:
	s_lshl_b32 s3, s14, 10
	s_mov_b32 s17, s13
	s_sub_i32 s3, s2, s3
	s_lshl_b64 s[18:19], s[16:17], 3
	s_add_u32 s18, s22, s18
	s_addc_u32 s19, s23, s19
	v_cmp_gt_u32_e32 vcc, s3, v0
                                        ; implicit-def: $vgpr2_vgpr3_vgpr4_vgpr5
	s_and_saveexec_b64 s[20:21], vcc
	s_cbranch_execz .LBB797_3
; %bb.2:
	v_lshlrev_b32_e32 v1, 3, v0
	global_load_dwordx2 v[2:3], v1, s[18:19]
.LBB797_3:
	s_or_b64 exec, exec, s[20:21]
	v_or_b32_e32 v1, 0x200, v0
	v_cmp_gt_u32_e32 vcc, s3, v1
	s_and_saveexec_b64 s[20:21], vcc
	s_cbranch_execz .LBB797_5
; %bb.4:
	v_lshlrev_b32_e32 v4, 3, v1
	global_load_dwordx2 v[4:5], v4, s[18:19]
.LBB797_5:
	s_or_b64 exec, exec, s[20:21]
	v_lshrrev_b32_e32 v6, 2, v0
	v_lshrrev_b32_e32 v1, 2, v1
	v_and_b32_e32 v6, 0x78, v6
	v_lshlrev_b32_e32 v7, 3, v0
	v_and_b32_e32 v1, 0xf8, v1
	v_add_u32_e32 v6, v6, v7
	v_add_u32_e32 v1, v1, v7
	s_mov_b64 s[18:19], 0
	s_waitcnt vmcnt(0)
	ds_write_b64 v6, v[2:3]
	ds_write_b64 v1, v[4:5] offset:4096
	s_waitcnt lgkmcnt(0)
	s_barrier
.LBB797_6:
	s_and_b64 vcc, exec, s[18:19]
	v_lshlrev_b32_e32 v1, 3, v0
	s_cbranch_vccz .LBB797_8
; %bb.7:
	s_mov_b32 s17, 0
	s_lshl_b64 s[16:17], s[16:17], 3
	s_add_u32 s16, s22, s16
	s_addc_u32 s17, s23, s17
	v_mov_b32_e32 v2, s17
	v_add_co_u32_e32 v3, vcc, s16, v1
	v_addc_co_u32_e32 v4, vcc, 0, v2, vcc
	v_add_co_u32_e32 v2, vcc, 0x1000, v3
	v_addc_co_u32_e32 v3, vcc, 0, v4, vcc
	global_load_dwordx2 v[4:5], v1, s[16:17]
	global_load_dwordx2 v[6:7], v[2:3], off
	v_lshrrev_b32_e32 v2, 2, v0
	v_or_b32_e32 v3, 0x200, v0
	v_and_b32_e32 v2, 0x78, v2
	v_lshrrev_b32_e32 v3, 2, v3
	v_add_u32_e32 v2, v2, v1
	v_and_b32_e32 v3, 0xf8, v3
	v_add_u32_e32 v3, v3, v1
	s_waitcnt vmcnt(1)
	ds_write_b64 v2, v[4:5]
	s_waitcnt vmcnt(0)
	ds_write_b64 v3, v[6:7] offset:4096
	s_waitcnt lgkmcnt(0)
	s_barrier
.LBB797_8:
	v_lshlrev_b32_e32 v2, 1, v0
	v_lshrrev_b32_e32 v3, 4, v0
	v_add_lshl_u32 v2, v3, v2, 3
	ds_read2_b64 v[2:5], v2 offset1:1
	s_cmp_eq_u64 s[6:7], 0
	s_waitcnt lgkmcnt(0)
	s_barrier
	s_cbranch_scc1 .LBB797_13
; %bb.9:
	s_lshl_b64 s[10:11], s[10:11], 3
	s_add_u32 s3, s8, s10
	s_addc_u32 s10, s9, s11
	s_lshl_b64 s[8:9], s[12:13], 3
	s_add_u32 s3, s3, s8
	s_addc_u32 s9, s10, s9
	s_add_u32 s8, s3, -8
	s_addc_u32 s9, s9, -1
	s_load_dwordx2 s[8:9], s[8:9], 0x0
	s_cmp_eq_u64 s[6:7], s[14:15]
	s_cbranch_scc1 .LBB797_14
; %bb.10:
	v_cmp_ne_u32_e32 vcc, 0, v0
	s_waitcnt lgkmcnt(0)
	v_pk_mov_b32 v[6:7], s[8:9], s[8:9] op_sel:[0,1]
	ds_write_b64 v1, v[4:5]
	s_waitcnt lgkmcnt(0)
	s_barrier
	s_and_saveexec_b64 s[10:11], vcc
	s_cbranch_execz .LBB797_12
; %bb.11:
	v_add_u32_e32 v6, -8, v1
	ds_read_b64 v[6:7], v6
.LBB797_12:
	s_or_b64 exec, exec, s[10:11]
	v_add_f64 v[10:11], v[4:5], -v[2:3]
	s_waitcnt lgkmcnt(0)
	v_add_f64 v[6:7], v[2:3], -v[6:7]
	s_branch .LBB797_18
.LBB797_13:
                                        ; implicit-def: $vgpr10_vgpr11
                                        ; implicit-def: $vgpr6_vgpr7_vgpr8_vgpr9
	s_branch .LBB797_19
.LBB797_14:
                                        ; implicit-def: $vgpr10_vgpr11
                                        ; implicit-def: $vgpr6_vgpr7_vgpr8_vgpr9
	s_cbranch_execz .LBB797_18
; %bb.15:
	v_cmp_ne_u32_e32 vcc, 0, v0
	s_waitcnt lgkmcnt(0)
	v_pk_mov_b32 v[6:7], s[8:9], s[8:9] op_sel:[0,1]
	ds_write_b64 v1, v[4:5]
	s_waitcnt lgkmcnt(0)
	s_barrier
	s_and_saveexec_b64 s[8:9], vcc
	s_cbranch_execz .LBB797_17
; %bb.16:
	v_add_u32_e32 v6, -8, v1
	ds_read_b64 v[6:7], v6
.LBB797_17:
	s_or_b64 exec, exec, s[8:9]
	s_lshl_b32 s3, s6, 10
	v_lshlrev_b32_e32 v12, 1, v0
	s_sub_i32 s3, s2, s3
	v_or_b32_e32 v10, 1, v12
	v_add_f64 v[8:9], v[4:5], -v[2:3]
	v_cmp_gt_u32_e32 vcc, s3, v10
	v_cndmask_b32_e32 v11, v5, v9, vcc
	v_cndmask_b32_e32 v10, v4, v8, vcc
	s_waitcnt lgkmcnt(0)
	v_add_f64 v[6:7], v[2:3], -v[6:7]
	v_cmp_gt_u32_e32 vcc, s3, v12
	v_cndmask_b32_e32 v7, v3, v7, vcc
	v_cndmask_b32_e32 v6, v2, v6, vcc
.LBB797_18:
	s_cbranch_execnz .LBB797_28
.LBB797_19:
	s_cmp_eq_u64 s[4:5], 1
	v_add_f64 v[10:11], v[4:5], -v[2:3]
	v_cmp_ne_u32_e32 vcc, 0, v0
	s_cbranch_scc1 .LBB797_23
; %bb.20:
	v_mov_b32_e32 v12, 0
	v_pk_mov_b32 v[6:7], v[2:3], v[2:3] op_sel:[0,1]
	ds_write_b64 v1, v[4:5]
	s_waitcnt lgkmcnt(0)
	s_barrier
	s_and_saveexec_b64 s[4:5], vcc
	s_cbranch_execz .LBB797_22
; %bb.21:
	v_add_u32_e32 v6, -8, v1
	ds_read_b64 v[6:7], v6
	v_mov_b32_e32 v12, v0
	s_waitcnt lgkmcnt(0)
	v_add_f64 v[6:7], v[2:3], -v[6:7]
.LBB797_22:
	s_or_b64 exec, exec, s[4:5]
	s_cbranch_execz .LBB797_24
	s_branch .LBB797_27
.LBB797_23:
                                        ; implicit-def: $vgpr12
                                        ; implicit-def: $vgpr6_vgpr7_vgpr8_vgpr9
.LBB797_24:
	v_lshlrev_b32_e32 v6, 1, v0
	v_or_b32_e32 v7, 1, v6
	v_cmp_gt_u32_e32 vcc, s2, v7
	v_cndmask_b32_e32 v11, v5, v11, vcc
	v_cndmask_b32_e32 v10, v4, v10, vcc
	v_cmp_ne_u32_e32 vcc, 0, v0
	v_cmp_gt_u32_e64 s[2:3], s2, v6
	s_and_b64 s[4:5], vcc, s[2:3]
	ds_write_b64 v1, v[4:5]
	s_waitcnt lgkmcnt(0)
	s_barrier
	s_and_saveexec_b64 s[2:3], s[4:5]
	s_cbranch_execz .LBB797_26
; %bb.25:
	v_add_u32_e32 v1, -8, v1
	ds_read_b64 v[4:5], v1
	s_waitcnt lgkmcnt(0)
	v_add_f64 v[2:3], v[2:3], -v[4:5]
.LBB797_26:
	s_or_b64 exec, exec, s[2:3]
	v_pk_mov_b32 v[6:7], v[2:3], v[2:3] op_sel:[0,1]
	v_mov_b32_e32 v12, v0
.LBB797_27:
	v_mov_b32_e32 v0, v12
.LBB797_28:
	v_lshrrev_b32_e32 v1, 1, v0
	v_and_b32_e32 v1, 0x7ffffff8, v1
	v_lshl_add_u32 v0, v0, 4, v1
	s_mov_b64 s[2:3], -1
	s_and_b64 vcc, exec, s[0:1]
	s_waitcnt lgkmcnt(0)
	s_barrier
	ds_write2_b64 v0, v[6:7], v[10:11] offset1:1
	s_waitcnt lgkmcnt(0)
	s_cbranch_vccnz .LBB797_31
; %bb.29:
	s_andn2_b64 vcc, exec, s[2:3]
	s_cbranch_vccz .LBB797_32
.LBB797_30:
	s_endpgm
.LBB797_31:
	s_barrier
	s_cbranch_execnz .LBB797_30
.LBB797_32:
	s_barrier
	s_endpgm
	.section	.rodata,"a",@progbits
	.p2align	6, 0x0
	.amdhsa_kernel _ZN7rocprim17ROCPRIM_400000_NS6detail17trampoline_kernelINS0_14default_configENS1_35adjacent_difference_config_selectorILb1EdEEZNS1_24adjacent_difference_implIS3_Lb1ELb0EPdN6thrust23THRUST_200600_302600_NS16discard_iteratorINS9_11use_defaultEEENS9_5minusIdEEEE10hipError_tPvRmT2_T3_mT4_P12ihipStream_tbEUlT_E_NS1_11comp_targetILNS1_3genE4ELNS1_11target_archE910ELNS1_3gpuE8ELNS1_3repE0EEENS1_30default_config_static_selectorELNS0_4arch9wavefront6targetE1EEEvT1_
		.amdhsa_group_segment_fixed_size 8448
		.amdhsa_private_segment_fixed_size 0
		.amdhsa_kernarg_size 64
		.amdhsa_user_sgpr_count 6
		.amdhsa_user_sgpr_private_segment_buffer 1
		.amdhsa_user_sgpr_dispatch_ptr 0
		.amdhsa_user_sgpr_queue_ptr 0
		.amdhsa_user_sgpr_kernarg_segment_ptr 1
		.amdhsa_user_sgpr_dispatch_id 0
		.amdhsa_user_sgpr_flat_scratch_init 0
		.amdhsa_user_sgpr_kernarg_preload_length 0
		.amdhsa_user_sgpr_kernarg_preload_offset 0
		.amdhsa_user_sgpr_private_segment_size 0
		.amdhsa_uses_dynamic_stack 0
		.amdhsa_system_sgpr_private_segment_wavefront_offset 0
		.amdhsa_system_sgpr_workgroup_id_x 1
		.amdhsa_system_sgpr_workgroup_id_y 0
		.amdhsa_system_sgpr_workgroup_id_z 0
		.amdhsa_system_sgpr_workgroup_info 0
		.amdhsa_system_vgpr_workitem_id 0
		.amdhsa_next_free_vgpr 13
		.amdhsa_next_free_sgpr 24
		.amdhsa_accum_offset 16
		.amdhsa_reserve_vcc 1
		.amdhsa_reserve_flat_scratch 0
		.amdhsa_float_round_mode_32 0
		.amdhsa_float_round_mode_16_64 0
		.amdhsa_float_denorm_mode_32 3
		.amdhsa_float_denorm_mode_16_64 3
		.amdhsa_dx10_clamp 1
		.amdhsa_ieee_mode 1
		.amdhsa_fp16_overflow 0
		.amdhsa_tg_split 0
		.amdhsa_exception_fp_ieee_invalid_op 0
		.amdhsa_exception_fp_denorm_src 0
		.amdhsa_exception_fp_ieee_div_zero 0
		.amdhsa_exception_fp_ieee_overflow 0
		.amdhsa_exception_fp_ieee_underflow 0
		.amdhsa_exception_fp_ieee_inexact 0
		.amdhsa_exception_int_div_zero 0
	.end_amdhsa_kernel
	.section	.text._ZN7rocprim17ROCPRIM_400000_NS6detail17trampoline_kernelINS0_14default_configENS1_35adjacent_difference_config_selectorILb1EdEEZNS1_24adjacent_difference_implIS3_Lb1ELb0EPdN6thrust23THRUST_200600_302600_NS16discard_iteratorINS9_11use_defaultEEENS9_5minusIdEEEE10hipError_tPvRmT2_T3_mT4_P12ihipStream_tbEUlT_E_NS1_11comp_targetILNS1_3genE4ELNS1_11target_archE910ELNS1_3gpuE8ELNS1_3repE0EEENS1_30default_config_static_selectorELNS0_4arch9wavefront6targetE1EEEvT1_,"axG",@progbits,_ZN7rocprim17ROCPRIM_400000_NS6detail17trampoline_kernelINS0_14default_configENS1_35adjacent_difference_config_selectorILb1EdEEZNS1_24adjacent_difference_implIS3_Lb1ELb0EPdN6thrust23THRUST_200600_302600_NS16discard_iteratorINS9_11use_defaultEEENS9_5minusIdEEEE10hipError_tPvRmT2_T3_mT4_P12ihipStream_tbEUlT_E_NS1_11comp_targetILNS1_3genE4ELNS1_11target_archE910ELNS1_3gpuE8ELNS1_3repE0EEENS1_30default_config_static_selectorELNS0_4arch9wavefront6targetE1EEEvT1_,comdat
.Lfunc_end797:
	.size	_ZN7rocprim17ROCPRIM_400000_NS6detail17trampoline_kernelINS0_14default_configENS1_35adjacent_difference_config_selectorILb1EdEEZNS1_24adjacent_difference_implIS3_Lb1ELb0EPdN6thrust23THRUST_200600_302600_NS16discard_iteratorINS9_11use_defaultEEENS9_5minusIdEEEE10hipError_tPvRmT2_T3_mT4_P12ihipStream_tbEUlT_E_NS1_11comp_targetILNS1_3genE4ELNS1_11target_archE910ELNS1_3gpuE8ELNS1_3repE0EEENS1_30default_config_static_selectorELNS0_4arch9wavefront6targetE1EEEvT1_, .Lfunc_end797-_ZN7rocprim17ROCPRIM_400000_NS6detail17trampoline_kernelINS0_14default_configENS1_35adjacent_difference_config_selectorILb1EdEEZNS1_24adjacent_difference_implIS3_Lb1ELb0EPdN6thrust23THRUST_200600_302600_NS16discard_iteratorINS9_11use_defaultEEENS9_5minusIdEEEE10hipError_tPvRmT2_T3_mT4_P12ihipStream_tbEUlT_E_NS1_11comp_targetILNS1_3genE4ELNS1_11target_archE910ELNS1_3gpuE8ELNS1_3repE0EEENS1_30default_config_static_selectorELNS0_4arch9wavefront6targetE1EEEvT1_
                                        ; -- End function
	.section	.AMDGPU.csdata,"",@progbits
; Kernel info:
; codeLenInByte = 1008
; NumSgprs: 28
; NumVgprs: 13
; NumAgprs: 0
; TotalNumVgprs: 13
; ScratchSize: 0
; MemoryBound: 0
; FloatMode: 240
; IeeeMode: 1
; LDSByteSize: 8448 bytes/workgroup (compile time only)
; SGPRBlocks: 3
; VGPRBlocks: 1
; NumSGPRsForWavesPerEU: 28
; NumVGPRsForWavesPerEU: 13
; AccumOffset: 16
; Occupancy: 8
; WaveLimiterHint : 1
; COMPUTE_PGM_RSRC2:SCRATCH_EN: 0
; COMPUTE_PGM_RSRC2:USER_SGPR: 6
; COMPUTE_PGM_RSRC2:TRAP_HANDLER: 0
; COMPUTE_PGM_RSRC2:TGID_X_EN: 1
; COMPUTE_PGM_RSRC2:TGID_Y_EN: 0
; COMPUTE_PGM_RSRC2:TGID_Z_EN: 0
; COMPUTE_PGM_RSRC2:TIDIG_COMP_CNT: 0
; COMPUTE_PGM_RSRC3_GFX90A:ACCUM_OFFSET: 3
; COMPUTE_PGM_RSRC3_GFX90A:TG_SPLIT: 0
	.section	.text._ZN7rocprim17ROCPRIM_400000_NS6detail17trampoline_kernelINS0_14default_configENS1_35adjacent_difference_config_selectorILb1EdEEZNS1_24adjacent_difference_implIS3_Lb1ELb0EPdN6thrust23THRUST_200600_302600_NS16discard_iteratorINS9_11use_defaultEEENS9_5minusIdEEEE10hipError_tPvRmT2_T3_mT4_P12ihipStream_tbEUlT_E_NS1_11comp_targetILNS1_3genE3ELNS1_11target_archE908ELNS1_3gpuE7ELNS1_3repE0EEENS1_30default_config_static_selectorELNS0_4arch9wavefront6targetE1EEEvT1_,"axG",@progbits,_ZN7rocprim17ROCPRIM_400000_NS6detail17trampoline_kernelINS0_14default_configENS1_35adjacent_difference_config_selectorILb1EdEEZNS1_24adjacent_difference_implIS3_Lb1ELb0EPdN6thrust23THRUST_200600_302600_NS16discard_iteratorINS9_11use_defaultEEENS9_5minusIdEEEE10hipError_tPvRmT2_T3_mT4_P12ihipStream_tbEUlT_E_NS1_11comp_targetILNS1_3genE3ELNS1_11target_archE908ELNS1_3gpuE7ELNS1_3repE0EEENS1_30default_config_static_selectorELNS0_4arch9wavefront6targetE1EEEvT1_,comdat
	.protected	_ZN7rocprim17ROCPRIM_400000_NS6detail17trampoline_kernelINS0_14default_configENS1_35adjacent_difference_config_selectorILb1EdEEZNS1_24adjacent_difference_implIS3_Lb1ELb0EPdN6thrust23THRUST_200600_302600_NS16discard_iteratorINS9_11use_defaultEEENS9_5minusIdEEEE10hipError_tPvRmT2_T3_mT4_P12ihipStream_tbEUlT_E_NS1_11comp_targetILNS1_3genE3ELNS1_11target_archE908ELNS1_3gpuE7ELNS1_3repE0EEENS1_30default_config_static_selectorELNS0_4arch9wavefront6targetE1EEEvT1_ ; -- Begin function _ZN7rocprim17ROCPRIM_400000_NS6detail17trampoline_kernelINS0_14default_configENS1_35adjacent_difference_config_selectorILb1EdEEZNS1_24adjacent_difference_implIS3_Lb1ELb0EPdN6thrust23THRUST_200600_302600_NS16discard_iteratorINS9_11use_defaultEEENS9_5minusIdEEEE10hipError_tPvRmT2_T3_mT4_P12ihipStream_tbEUlT_E_NS1_11comp_targetILNS1_3genE3ELNS1_11target_archE908ELNS1_3gpuE7ELNS1_3repE0EEENS1_30default_config_static_selectorELNS0_4arch9wavefront6targetE1EEEvT1_
	.globl	_ZN7rocprim17ROCPRIM_400000_NS6detail17trampoline_kernelINS0_14default_configENS1_35adjacent_difference_config_selectorILb1EdEEZNS1_24adjacent_difference_implIS3_Lb1ELb0EPdN6thrust23THRUST_200600_302600_NS16discard_iteratorINS9_11use_defaultEEENS9_5minusIdEEEE10hipError_tPvRmT2_T3_mT4_P12ihipStream_tbEUlT_E_NS1_11comp_targetILNS1_3genE3ELNS1_11target_archE908ELNS1_3gpuE7ELNS1_3repE0EEENS1_30default_config_static_selectorELNS0_4arch9wavefront6targetE1EEEvT1_
	.p2align	8
	.type	_ZN7rocprim17ROCPRIM_400000_NS6detail17trampoline_kernelINS0_14default_configENS1_35adjacent_difference_config_selectorILb1EdEEZNS1_24adjacent_difference_implIS3_Lb1ELb0EPdN6thrust23THRUST_200600_302600_NS16discard_iteratorINS9_11use_defaultEEENS9_5minusIdEEEE10hipError_tPvRmT2_T3_mT4_P12ihipStream_tbEUlT_E_NS1_11comp_targetILNS1_3genE3ELNS1_11target_archE908ELNS1_3gpuE7ELNS1_3repE0EEENS1_30default_config_static_selectorELNS0_4arch9wavefront6targetE1EEEvT1_,@function
_ZN7rocprim17ROCPRIM_400000_NS6detail17trampoline_kernelINS0_14default_configENS1_35adjacent_difference_config_selectorILb1EdEEZNS1_24adjacent_difference_implIS3_Lb1ELb0EPdN6thrust23THRUST_200600_302600_NS16discard_iteratorINS9_11use_defaultEEENS9_5minusIdEEEE10hipError_tPvRmT2_T3_mT4_P12ihipStream_tbEUlT_E_NS1_11comp_targetILNS1_3genE3ELNS1_11target_archE908ELNS1_3gpuE7ELNS1_3repE0EEENS1_30default_config_static_selectorELNS0_4arch9wavefront6targetE1EEEvT1_: ; @_ZN7rocprim17ROCPRIM_400000_NS6detail17trampoline_kernelINS0_14default_configENS1_35adjacent_difference_config_selectorILb1EdEEZNS1_24adjacent_difference_implIS3_Lb1ELb0EPdN6thrust23THRUST_200600_302600_NS16discard_iteratorINS9_11use_defaultEEENS9_5minusIdEEEE10hipError_tPvRmT2_T3_mT4_P12ihipStream_tbEUlT_E_NS1_11comp_targetILNS1_3genE3ELNS1_11target_archE908ELNS1_3gpuE7ELNS1_3repE0EEENS1_30default_config_static_selectorELNS0_4arch9wavefront6targetE1EEEvT1_
; %bb.0:
	.section	.rodata,"a",@progbits
	.p2align	6, 0x0
	.amdhsa_kernel _ZN7rocprim17ROCPRIM_400000_NS6detail17trampoline_kernelINS0_14default_configENS1_35adjacent_difference_config_selectorILb1EdEEZNS1_24adjacent_difference_implIS3_Lb1ELb0EPdN6thrust23THRUST_200600_302600_NS16discard_iteratorINS9_11use_defaultEEENS9_5minusIdEEEE10hipError_tPvRmT2_T3_mT4_P12ihipStream_tbEUlT_E_NS1_11comp_targetILNS1_3genE3ELNS1_11target_archE908ELNS1_3gpuE7ELNS1_3repE0EEENS1_30default_config_static_selectorELNS0_4arch9wavefront6targetE1EEEvT1_
		.amdhsa_group_segment_fixed_size 0
		.amdhsa_private_segment_fixed_size 0
		.amdhsa_kernarg_size 64
		.amdhsa_user_sgpr_count 6
		.amdhsa_user_sgpr_private_segment_buffer 1
		.amdhsa_user_sgpr_dispatch_ptr 0
		.amdhsa_user_sgpr_queue_ptr 0
		.amdhsa_user_sgpr_kernarg_segment_ptr 1
		.amdhsa_user_sgpr_dispatch_id 0
		.amdhsa_user_sgpr_flat_scratch_init 0
		.amdhsa_user_sgpr_kernarg_preload_length 0
		.amdhsa_user_sgpr_kernarg_preload_offset 0
		.amdhsa_user_sgpr_private_segment_size 0
		.amdhsa_uses_dynamic_stack 0
		.amdhsa_system_sgpr_private_segment_wavefront_offset 0
		.amdhsa_system_sgpr_workgroup_id_x 1
		.amdhsa_system_sgpr_workgroup_id_y 0
		.amdhsa_system_sgpr_workgroup_id_z 0
		.amdhsa_system_sgpr_workgroup_info 0
		.amdhsa_system_vgpr_workitem_id 0
		.amdhsa_next_free_vgpr 1
		.amdhsa_next_free_sgpr 0
		.amdhsa_accum_offset 4
		.amdhsa_reserve_vcc 0
		.amdhsa_reserve_flat_scratch 0
		.amdhsa_float_round_mode_32 0
		.amdhsa_float_round_mode_16_64 0
		.amdhsa_float_denorm_mode_32 3
		.amdhsa_float_denorm_mode_16_64 3
		.amdhsa_dx10_clamp 1
		.amdhsa_ieee_mode 1
		.amdhsa_fp16_overflow 0
		.amdhsa_tg_split 0
		.amdhsa_exception_fp_ieee_invalid_op 0
		.amdhsa_exception_fp_denorm_src 0
		.amdhsa_exception_fp_ieee_div_zero 0
		.amdhsa_exception_fp_ieee_overflow 0
		.amdhsa_exception_fp_ieee_underflow 0
		.amdhsa_exception_fp_ieee_inexact 0
		.amdhsa_exception_int_div_zero 0
	.end_amdhsa_kernel
	.section	.text._ZN7rocprim17ROCPRIM_400000_NS6detail17trampoline_kernelINS0_14default_configENS1_35adjacent_difference_config_selectorILb1EdEEZNS1_24adjacent_difference_implIS3_Lb1ELb0EPdN6thrust23THRUST_200600_302600_NS16discard_iteratorINS9_11use_defaultEEENS9_5minusIdEEEE10hipError_tPvRmT2_T3_mT4_P12ihipStream_tbEUlT_E_NS1_11comp_targetILNS1_3genE3ELNS1_11target_archE908ELNS1_3gpuE7ELNS1_3repE0EEENS1_30default_config_static_selectorELNS0_4arch9wavefront6targetE1EEEvT1_,"axG",@progbits,_ZN7rocprim17ROCPRIM_400000_NS6detail17trampoline_kernelINS0_14default_configENS1_35adjacent_difference_config_selectorILb1EdEEZNS1_24adjacent_difference_implIS3_Lb1ELb0EPdN6thrust23THRUST_200600_302600_NS16discard_iteratorINS9_11use_defaultEEENS9_5minusIdEEEE10hipError_tPvRmT2_T3_mT4_P12ihipStream_tbEUlT_E_NS1_11comp_targetILNS1_3genE3ELNS1_11target_archE908ELNS1_3gpuE7ELNS1_3repE0EEENS1_30default_config_static_selectorELNS0_4arch9wavefront6targetE1EEEvT1_,comdat
.Lfunc_end798:
	.size	_ZN7rocprim17ROCPRIM_400000_NS6detail17trampoline_kernelINS0_14default_configENS1_35adjacent_difference_config_selectorILb1EdEEZNS1_24adjacent_difference_implIS3_Lb1ELb0EPdN6thrust23THRUST_200600_302600_NS16discard_iteratorINS9_11use_defaultEEENS9_5minusIdEEEE10hipError_tPvRmT2_T3_mT4_P12ihipStream_tbEUlT_E_NS1_11comp_targetILNS1_3genE3ELNS1_11target_archE908ELNS1_3gpuE7ELNS1_3repE0EEENS1_30default_config_static_selectorELNS0_4arch9wavefront6targetE1EEEvT1_, .Lfunc_end798-_ZN7rocprim17ROCPRIM_400000_NS6detail17trampoline_kernelINS0_14default_configENS1_35adjacent_difference_config_selectorILb1EdEEZNS1_24adjacent_difference_implIS3_Lb1ELb0EPdN6thrust23THRUST_200600_302600_NS16discard_iteratorINS9_11use_defaultEEENS9_5minusIdEEEE10hipError_tPvRmT2_T3_mT4_P12ihipStream_tbEUlT_E_NS1_11comp_targetILNS1_3genE3ELNS1_11target_archE908ELNS1_3gpuE7ELNS1_3repE0EEENS1_30default_config_static_selectorELNS0_4arch9wavefront6targetE1EEEvT1_
                                        ; -- End function
	.section	.AMDGPU.csdata,"",@progbits
; Kernel info:
; codeLenInByte = 0
; NumSgprs: 4
; NumVgprs: 0
; NumAgprs: 0
; TotalNumVgprs: 0
; ScratchSize: 0
; MemoryBound: 0
; FloatMode: 240
; IeeeMode: 1
; LDSByteSize: 0 bytes/workgroup (compile time only)
; SGPRBlocks: 0
; VGPRBlocks: 0
; NumSGPRsForWavesPerEU: 4
; NumVGPRsForWavesPerEU: 1
; AccumOffset: 4
; Occupancy: 8
; WaveLimiterHint : 0
; COMPUTE_PGM_RSRC2:SCRATCH_EN: 0
; COMPUTE_PGM_RSRC2:USER_SGPR: 6
; COMPUTE_PGM_RSRC2:TRAP_HANDLER: 0
; COMPUTE_PGM_RSRC2:TGID_X_EN: 1
; COMPUTE_PGM_RSRC2:TGID_Y_EN: 0
; COMPUTE_PGM_RSRC2:TGID_Z_EN: 0
; COMPUTE_PGM_RSRC2:TIDIG_COMP_CNT: 0
; COMPUTE_PGM_RSRC3_GFX90A:ACCUM_OFFSET: 0
; COMPUTE_PGM_RSRC3_GFX90A:TG_SPLIT: 0
	.section	.text._ZN7rocprim17ROCPRIM_400000_NS6detail17trampoline_kernelINS0_14default_configENS1_35adjacent_difference_config_selectorILb1EdEEZNS1_24adjacent_difference_implIS3_Lb1ELb0EPdN6thrust23THRUST_200600_302600_NS16discard_iteratorINS9_11use_defaultEEENS9_5minusIdEEEE10hipError_tPvRmT2_T3_mT4_P12ihipStream_tbEUlT_E_NS1_11comp_targetILNS1_3genE2ELNS1_11target_archE906ELNS1_3gpuE6ELNS1_3repE0EEENS1_30default_config_static_selectorELNS0_4arch9wavefront6targetE1EEEvT1_,"axG",@progbits,_ZN7rocprim17ROCPRIM_400000_NS6detail17trampoline_kernelINS0_14default_configENS1_35adjacent_difference_config_selectorILb1EdEEZNS1_24adjacent_difference_implIS3_Lb1ELb0EPdN6thrust23THRUST_200600_302600_NS16discard_iteratorINS9_11use_defaultEEENS9_5minusIdEEEE10hipError_tPvRmT2_T3_mT4_P12ihipStream_tbEUlT_E_NS1_11comp_targetILNS1_3genE2ELNS1_11target_archE906ELNS1_3gpuE6ELNS1_3repE0EEENS1_30default_config_static_selectorELNS0_4arch9wavefront6targetE1EEEvT1_,comdat
	.protected	_ZN7rocprim17ROCPRIM_400000_NS6detail17trampoline_kernelINS0_14default_configENS1_35adjacent_difference_config_selectorILb1EdEEZNS1_24adjacent_difference_implIS3_Lb1ELb0EPdN6thrust23THRUST_200600_302600_NS16discard_iteratorINS9_11use_defaultEEENS9_5minusIdEEEE10hipError_tPvRmT2_T3_mT4_P12ihipStream_tbEUlT_E_NS1_11comp_targetILNS1_3genE2ELNS1_11target_archE906ELNS1_3gpuE6ELNS1_3repE0EEENS1_30default_config_static_selectorELNS0_4arch9wavefront6targetE1EEEvT1_ ; -- Begin function _ZN7rocprim17ROCPRIM_400000_NS6detail17trampoline_kernelINS0_14default_configENS1_35adjacent_difference_config_selectorILb1EdEEZNS1_24adjacent_difference_implIS3_Lb1ELb0EPdN6thrust23THRUST_200600_302600_NS16discard_iteratorINS9_11use_defaultEEENS9_5minusIdEEEE10hipError_tPvRmT2_T3_mT4_P12ihipStream_tbEUlT_E_NS1_11comp_targetILNS1_3genE2ELNS1_11target_archE906ELNS1_3gpuE6ELNS1_3repE0EEENS1_30default_config_static_selectorELNS0_4arch9wavefront6targetE1EEEvT1_
	.globl	_ZN7rocprim17ROCPRIM_400000_NS6detail17trampoline_kernelINS0_14default_configENS1_35adjacent_difference_config_selectorILb1EdEEZNS1_24adjacent_difference_implIS3_Lb1ELb0EPdN6thrust23THRUST_200600_302600_NS16discard_iteratorINS9_11use_defaultEEENS9_5minusIdEEEE10hipError_tPvRmT2_T3_mT4_P12ihipStream_tbEUlT_E_NS1_11comp_targetILNS1_3genE2ELNS1_11target_archE906ELNS1_3gpuE6ELNS1_3repE0EEENS1_30default_config_static_selectorELNS0_4arch9wavefront6targetE1EEEvT1_
	.p2align	8
	.type	_ZN7rocprim17ROCPRIM_400000_NS6detail17trampoline_kernelINS0_14default_configENS1_35adjacent_difference_config_selectorILb1EdEEZNS1_24adjacent_difference_implIS3_Lb1ELb0EPdN6thrust23THRUST_200600_302600_NS16discard_iteratorINS9_11use_defaultEEENS9_5minusIdEEEE10hipError_tPvRmT2_T3_mT4_P12ihipStream_tbEUlT_E_NS1_11comp_targetILNS1_3genE2ELNS1_11target_archE906ELNS1_3gpuE6ELNS1_3repE0EEENS1_30default_config_static_selectorELNS0_4arch9wavefront6targetE1EEEvT1_,@function
_ZN7rocprim17ROCPRIM_400000_NS6detail17trampoline_kernelINS0_14default_configENS1_35adjacent_difference_config_selectorILb1EdEEZNS1_24adjacent_difference_implIS3_Lb1ELb0EPdN6thrust23THRUST_200600_302600_NS16discard_iteratorINS9_11use_defaultEEENS9_5minusIdEEEE10hipError_tPvRmT2_T3_mT4_P12ihipStream_tbEUlT_E_NS1_11comp_targetILNS1_3genE2ELNS1_11target_archE906ELNS1_3gpuE6ELNS1_3repE0EEENS1_30default_config_static_selectorELNS0_4arch9wavefront6targetE1EEEvT1_: ; @_ZN7rocprim17ROCPRIM_400000_NS6detail17trampoline_kernelINS0_14default_configENS1_35adjacent_difference_config_selectorILb1EdEEZNS1_24adjacent_difference_implIS3_Lb1ELb0EPdN6thrust23THRUST_200600_302600_NS16discard_iteratorINS9_11use_defaultEEENS9_5minusIdEEEE10hipError_tPvRmT2_T3_mT4_P12ihipStream_tbEUlT_E_NS1_11comp_targetILNS1_3genE2ELNS1_11target_archE906ELNS1_3gpuE6ELNS1_3repE0EEENS1_30default_config_static_selectorELNS0_4arch9wavefront6targetE1EEEvT1_
; %bb.0:
	.section	.rodata,"a",@progbits
	.p2align	6, 0x0
	.amdhsa_kernel _ZN7rocprim17ROCPRIM_400000_NS6detail17trampoline_kernelINS0_14default_configENS1_35adjacent_difference_config_selectorILb1EdEEZNS1_24adjacent_difference_implIS3_Lb1ELb0EPdN6thrust23THRUST_200600_302600_NS16discard_iteratorINS9_11use_defaultEEENS9_5minusIdEEEE10hipError_tPvRmT2_T3_mT4_P12ihipStream_tbEUlT_E_NS1_11comp_targetILNS1_3genE2ELNS1_11target_archE906ELNS1_3gpuE6ELNS1_3repE0EEENS1_30default_config_static_selectorELNS0_4arch9wavefront6targetE1EEEvT1_
		.amdhsa_group_segment_fixed_size 0
		.amdhsa_private_segment_fixed_size 0
		.amdhsa_kernarg_size 64
		.amdhsa_user_sgpr_count 6
		.amdhsa_user_sgpr_private_segment_buffer 1
		.amdhsa_user_sgpr_dispatch_ptr 0
		.amdhsa_user_sgpr_queue_ptr 0
		.amdhsa_user_sgpr_kernarg_segment_ptr 1
		.amdhsa_user_sgpr_dispatch_id 0
		.amdhsa_user_sgpr_flat_scratch_init 0
		.amdhsa_user_sgpr_kernarg_preload_length 0
		.amdhsa_user_sgpr_kernarg_preload_offset 0
		.amdhsa_user_sgpr_private_segment_size 0
		.amdhsa_uses_dynamic_stack 0
		.amdhsa_system_sgpr_private_segment_wavefront_offset 0
		.amdhsa_system_sgpr_workgroup_id_x 1
		.amdhsa_system_sgpr_workgroup_id_y 0
		.amdhsa_system_sgpr_workgroup_id_z 0
		.amdhsa_system_sgpr_workgroup_info 0
		.amdhsa_system_vgpr_workitem_id 0
		.amdhsa_next_free_vgpr 1
		.amdhsa_next_free_sgpr 0
		.amdhsa_accum_offset 4
		.amdhsa_reserve_vcc 0
		.amdhsa_reserve_flat_scratch 0
		.amdhsa_float_round_mode_32 0
		.amdhsa_float_round_mode_16_64 0
		.amdhsa_float_denorm_mode_32 3
		.amdhsa_float_denorm_mode_16_64 3
		.amdhsa_dx10_clamp 1
		.amdhsa_ieee_mode 1
		.amdhsa_fp16_overflow 0
		.amdhsa_tg_split 0
		.amdhsa_exception_fp_ieee_invalid_op 0
		.amdhsa_exception_fp_denorm_src 0
		.amdhsa_exception_fp_ieee_div_zero 0
		.amdhsa_exception_fp_ieee_overflow 0
		.amdhsa_exception_fp_ieee_underflow 0
		.amdhsa_exception_fp_ieee_inexact 0
		.amdhsa_exception_int_div_zero 0
	.end_amdhsa_kernel
	.section	.text._ZN7rocprim17ROCPRIM_400000_NS6detail17trampoline_kernelINS0_14default_configENS1_35adjacent_difference_config_selectorILb1EdEEZNS1_24adjacent_difference_implIS3_Lb1ELb0EPdN6thrust23THRUST_200600_302600_NS16discard_iteratorINS9_11use_defaultEEENS9_5minusIdEEEE10hipError_tPvRmT2_T3_mT4_P12ihipStream_tbEUlT_E_NS1_11comp_targetILNS1_3genE2ELNS1_11target_archE906ELNS1_3gpuE6ELNS1_3repE0EEENS1_30default_config_static_selectorELNS0_4arch9wavefront6targetE1EEEvT1_,"axG",@progbits,_ZN7rocprim17ROCPRIM_400000_NS6detail17trampoline_kernelINS0_14default_configENS1_35adjacent_difference_config_selectorILb1EdEEZNS1_24adjacent_difference_implIS3_Lb1ELb0EPdN6thrust23THRUST_200600_302600_NS16discard_iteratorINS9_11use_defaultEEENS9_5minusIdEEEE10hipError_tPvRmT2_T3_mT4_P12ihipStream_tbEUlT_E_NS1_11comp_targetILNS1_3genE2ELNS1_11target_archE906ELNS1_3gpuE6ELNS1_3repE0EEENS1_30default_config_static_selectorELNS0_4arch9wavefront6targetE1EEEvT1_,comdat
.Lfunc_end799:
	.size	_ZN7rocprim17ROCPRIM_400000_NS6detail17trampoline_kernelINS0_14default_configENS1_35adjacent_difference_config_selectorILb1EdEEZNS1_24adjacent_difference_implIS3_Lb1ELb0EPdN6thrust23THRUST_200600_302600_NS16discard_iteratorINS9_11use_defaultEEENS9_5minusIdEEEE10hipError_tPvRmT2_T3_mT4_P12ihipStream_tbEUlT_E_NS1_11comp_targetILNS1_3genE2ELNS1_11target_archE906ELNS1_3gpuE6ELNS1_3repE0EEENS1_30default_config_static_selectorELNS0_4arch9wavefront6targetE1EEEvT1_, .Lfunc_end799-_ZN7rocprim17ROCPRIM_400000_NS6detail17trampoline_kernelINS0_14default_configENS1_35adjacent_difference_config_selectorILb1EdEEZNS1_24adjacent_difference_implIS3_Lb1ELb0EPdN6thrust23THRUST_200600_302600_NS16discard_iteratorINS9_11use_defaultEEENS9_5minusIdEEEE10hipError_tPvRmT2_T3_mT4_P12ihipStream_tbEUlT_E_NS1_11comp_targetILNS1_3genE2ELNS1_11target_archE906ELNS1_3gpuE6ELNS1_3repE0EEENS1_30default_config_static_selectorELNS0_4arch9wavefront6targetE1EEEvT1_
                                        ; -- End function
	.section	.AMDGPU.csdata,"",@progbits
; Kernel info:
; codeLenInByte = 0
; NumSgprs: 4
; NumVgprs: 0
; NumAgprs: 0
; TotalNumVgprs: 0
; ScratchSize: 0
; MemoryBound: 0
; FloatMode: 240
; IeeeMode: 1
; LDSByteSize: 0 bytes/workgroup (compile time only)
; SGPRBlocks: 0
; VGPRBlocks: 0
; NumSGPRsForWavesPerEU: 4
; NumVGPRsForWavesPerEU: 1
; AccumOffset: 4
; Occupancy: 8
; WaveLimiterHint : 0
; COMPUTE_PGM_RSRC2:SCRATCH_EN: 0
; COMPUTE_PGM_RSRC2:USER_SGPR: 6
; COMPUTE_PGM_RSRC2:TRAP_HANDLER: 0
; COMPUTE_PGM_RSRC2:TGID_X_EN: 1
; COMPUTE_PGM_RSRC2:TGID_Y_EN: 0
; COMPUTE_PGM_RSRC2:TGID_Z_EN: 0
; COMPUTE_PGM_RSRC2:TIDIG_COMP_CNT: 0
; COMPUTE_PGM_RSRC3_GFX90A:ACCUM_OFFSET: 0
; COMPUTE_PGM_RSRC3_GFX90A:TG_SPLIT: 0
	.section	.text._ZN7rocprim17ROCPRIM_400000_NS6detail17trampoline_kernelINS0_14default_configENS1_35adjacent_difference_config_selectorILb1EdEEZNS1_24adjacent_difference_implIS3_Lb1ELb0EPdN6thrust23THRUST_200600_302600_NS16discard_iteratorINS9_11use_defaultEEENS9_5minusIdEEEE10hipError_tPvRmT2_T3_mT4_P12ihipStream_tbEUlT_E_NS1_11comp_targetILNS1_3genE9ELNS1_11target_archE1100ELNS1_3gpuE3ELNS1_3repE0EEENS1_30default_config_static_selectorELNS0_4arch9wavefront6targetE1EEEvT1_,"axG",@progbits,_ZN7rocprim17ROCPRIM_400000_NS6detail17trampoline_kernelINS0_14default_configENS1_35adjacent_difference_config_selectorILb1EdEEZNS1_24adjacent_difference_implIS3_Lb1ELb0EPdN6thrust23THRUST_200600_302600_NS16discard_iteratorINS9_11use_defaultEEENS9_5minusIdEEEE10hipError_tPvRmT2_T3_mT4_P12ihipStream_tbEUlT_E_NS1_11comp_targetILNS1_3genE9ELNS1_11target_archE1100ELNS1_3gpuE3ELNS1_3repE0EEENS1_30default_config_static_selectorELNS0_4arch9wavefront6targetE1EEEvT1_,comdat
	.protected	_ZN7rocprim17ROCPRIM_400000_NS6detail17trampoline_kernelINS0_14default_configENS1_35adjacent_difference_config_selectorILb1EdEEZNS1_24adjacent_difference_implIS3_Lb1ELb0EPdN6thrust23THRUST_200600_302600_NS16discard_iteratorINS9_11use_defaultEEENS9_5minusIdEEEE10hipError_tPvRmT2_T3_mT4_P12ihipStream_tbEUlT_E_NS1_11comp_targetILNS1_3genE9ELNS1_11target_archE1100ELNS1_3gpuE3ELNS1_3repE0EEENS1_30default_config_static_selectorELNS0_4arch9wavefront6targetE1EEEvT1_ ; -- Begin function _ZN7rocprim17ROCPRIM_400000_NS6detail17trampoline_kernelINS0_14default_configENS1_35adjacent_difference_config_selectorILb1EdEEZNS1_24adjacent_difference_implIS3_Lb1ELb0EPdN6thrust23THRUST_200600_302600_NS16discard_iteratorINS9_11use_defaultEEENS9_5minusIdEEEE10hipError_tPvRmT2_T3_mT4_P12ihipStream_tbEUlT_E_NS1_11comp_targetILNS1_3genE9ELNS1_11target_archE1100ELNS1_3gpuE3ELNS1_3repE0EEENS1_30default_config_static_selectorELNS0_4arch9wavefront6targetE1EEEvT1_
	.globl	_ZN7rocprim17ROCPRIM_400000_NS6detail17trampoline_kernelINS0_14default_configENS1_35adjacent_difference_config_selectorILb1EdEEZNS1_24adjacent_difference_implIS3_Lb1ELb0EPdN6thrust23THRUST_200600_302600_NS16discard_iteratorINS9_11use_defaultEEENS9_5minusIdEEEE10hipError_tPvRmT2_T3_mT4_P12ihipStream_tbEUlT_E_NS1_11comp_targetILNS1_3genE9ELNS1_11target_archE1100ELNS1_3gpuE3ELNS1_3repE0EEENS1_30default_config_static_selectorELNS0_4arch9wavefront6targetE1EEEvT1_
	.p2align	8
	.type	_ZN7rocprim17ROCPRIM_400000_NS6detail17trampoline_kernelINS0_14default_configENS1_35adjacent_difference_config_selectorILb1EdEEZNS1_24adjacent_difference_implIS3_Lb1ELb0EPdN6thrust23THRUST_200600_302600_NS16discard_iteratorINS9_11use_defaultEEENS9_5minusIdEEEE10hipError_tPvRmT2_T3_mT4_P12ihipStream_tbEUlT_E_NS1_11comp_targetILNS1_3genE9ELNS1_11target_archE1100ELNS1_3gpuE3ELNS1_3repE0EEENS1_30default_config_static_selectorELNS0_4arch9wavefront6targetE1EEEvT1_,@function
_ZN7rocprim17ROCPRIM_400000_NS6detail17trampoline_kernelINS0_14default_configENS1_35adjacent_difference_config_selectorILb1EdEEZNS1_24adjacent_difference_implIS3_Lb1ELb0EPdN6thrust23THRUST_200600_302600_NS16discard_iteratorINS9_11use_defaultEEENS9_5minusIdEEEE10hipError_tPvRmT2_T3_mT4_P12ihipStream_tbEUlT_E_NS1_11comp_targetILNS1_3genE9ELNS1_11target_archE1100ELNS1_3gpuE3ELNS1_3repE0EEENS1_30default_config_static_selectorELNS0_4arch9wavefront6targetE1EEEvT1_: ; @_ZN7rocprim17ROCPRIM_400000_NS6detail17trampoline_kernelINS0_14default_configENS1_35adjacent_difference_config_selectorILb1EdEEZNS1_24adjacent_difference_implIS3_Lb1ELb0EPdN6thrust23THRUST_200600_302600_NS16discard_iteratorINS9_11use_defaultEEENS9_5minusIdEEEE10hipError_tPvRmT2_T3_mT4_P12ihipStream_tbEUlT_E_NS1_11comp_targetILNS1_3genE9ELNS1_11target_archE1100ELNS1_3gpuE3ELNS1_3repE0EEENS1_30default_config_static_selectorELNS0_4arch9wavefront6targetE1EEEvT1_
; %bb.0:
	.section	.rodata,"a",@progbits
	.p2align	6, 0x0
	.amdhsa_kernel _ZN7rocprim17ROCPRIM_400000_NS6detail17trampoline_kernelINS0_14default_configENS1_35adjacent_difference_config_selectorILb1EdEEZNS1_24adjacent_difference_implIS3_Lb1ELb0EPdN6thrust23THRUST_200600_302600_NS16discard_iteratorINS9_11use_defaultEEENS9_5minusIdEEEE10hipError_tPvRmT2_T3_mT4_P12ihipStream_tbEUlT_E_NS1_11comp_targetILNS1_3genE9ELNS1_11target_archE1100ELNS1_3gpuE3ELNS1_3repE0EEENS1_30default_config_static_selectorELNS0_4arch9wavefront6targetE1EEEvT1_
		.amdhsa_group_segment_fixed_size 0
		.amdhsa_private_segment_fixed_size 0
		.amdhsa_kernarg_size 64
		.amdhsa_user_sgpr_count 6
		.amdhsa_user_sgpr_private_segment_buffer 1
		.amdhsa_user_sgpr_dispatch_ptr 0
		.amdhsa_user_sgpr_queue_ptr 0
		.amdhsa_user_sgpr_kernarg_segment_ptr 1
		.amdhsa_user_sgpr_dispatch_id 0
		.amdhsa_user_sgpr_flat_scratch_init 0
		.amdhsa_user_sgpr_kernarg_preload_length 0
		.amdhsa_user_sgpr_kernarg_preload_offset 0
		.amdhsa_user_sgpr_private_segment_size 0
		.amdhsa_uses_dynamic_stack 0
		.amdhsa_system_sgpr_private_segment_wavefront_offset 0
		.amdhsa_system_sgpr_workgroup_id_x 1
		.amdhsa_system_sgpr_workgroup_id_y 0
		.amdhsa_system_sgpr_workgroup_id_z 0
		.amdhsa_system_sgpr_workgroup_info 0
		.amdhsa_system_vgpr_workitem_id 0
		.amdhsa_next_free_vgpr 1
		.amdhsa_next_free_sgpr 0
		.amdhsa_accum_offset 4
		.amdhsa_reserve_vcc 0
		.amdhsa_reserve_flat_scratch 0
		.amdhsa_float_round_mode_32 0
		.amdhsa_float_round_mode_16_64 0
		.amdhsa_float_denorm_mode_32 3
		.amdhsa_float_denorm_mode_16_64 3
		.amdhsa_dx10_clamp 1
		.amdhsa_ieee_mode 1
		.amdhsa_fp16_overflow 0
		.amdhsa_tg_split 0
		.amdhsa_exception_fp_ieee_invalid_op 0
		.amdhsa_exception_fp_denorm_src 0
		.amdhsa_exception_fp_ieee_div_zero 0
		.amdhsa_exception_fp_ieee_overflow 0
		.amdhsa_exception_fp_ieee_underflow 0
		.amdhsa_exception_fp_ieee_inexact 0
		.amdhsa_exception_int_div_zero 0
	.end_amdhsa_kernel
	.section	.text._ZN7rocprim17ROCPRIM_400000_NS6detail17trampoline_kernelINS0_14default_configENS1_35adjacent_difference_config_selectorILb1EdEEZNS1_24adjacent_difference_implIS3_Lb1ELb0EPdN6thrust23THRUST_200600_302600_NS16discard_iteratorINS9_11use_defaultEEENS9_5minusIdEEEE10hipError_tPvRmT2_T3_mT4_P12ihipStream_tbEUlT_E_NS1_11comp_targetILNS1_3genE9ELNS1_11target_archE1100ELNS1_3gpuE3ELNS1_3repE0EEENS1_30default_config_static_selectorELNS0_4arch9wavefront6targetE1EEEvT1_,"axG",@progbits,_ZN7rocprim17ROCPRIM_400000_NS6detail17trampoline_kernelINS0_14default_configENS1_35adjacent_difference_config_selectorILb1EdEEZNS1_24adjacent_difference_implIS3_Lb1ELb0EPdN6thrust23THRUST_200600_302600_NS16discard_iteratorINS9_11use_defaultEEENS9_5minusIdEEEE10hipError_tPvRmT2_T3_mT4_P12ihipStream_tbEUlT_E_NS1_11comp_targetILNS1_3genE9ELNS1_11target_archE1100ELNS1_3gpuE3ELNS1_3repE0EEENS1_30default_config_static_selectorELNS0_4arch9wavefront6targetE1EEEvT1_,comdat
.Lfunc_end800:
	.size	_ZN7rocprim17ROCPRIM_400000_NS6detail17trampoline_kernelINS0_14default_configENS1_35adjacent_difference_config_selectorILb1EdEEZNS1_24adjacent_difference_implIS3_Lb1ELb0EPdN6thrust23THRUST_200600_302600_NS16discard_iteratorINS9_11use_defaultEEENS9_5minusIdEEEE10hipError_tPvRmT2_T3_mT4_P12ihipStream_tbEUlT_E_NS1_11comp_targetILNS1_3genE9ELNS1_11target_archE1100ELNS1_3gpuE3ELNS1_3repE0EEENS1_30default_config_static_selectorELNS0_4arch9wavefront6targetE1EEEvT1_, .Lfunc_end800-_ZN7rocprim17ROCPRIM_400000_NS6detail17trampoline_kernelINS0_14default_configENS1_35adjacent_difference_config_selectorILb1EdEEZNS1_24adjacent_difference_implIS3_Lb1ELb0EPdN6thrust23THRUST_200600_302600_NS16discard_iteratorINS9_11use_defaultEEENS9_5minusIdEEEE10hipError_tPvRmT2_T3_mT4_P12ihipStream_tbEUlT_E_NS1_11comp_targetILNS1_3genE9ELNS1_11target_archE1100ELNS1_3gpuE3ELNS1_3repE0EEENS1_30default_config_static_selectorELNS0_4arch9wavefront6targetE1EEEvT1_
                                        ; -- End function
	.section	.AMDGPU.csdata,"",@progbits
; Kernel info:
; codeLenInByte = 0
; NumSgprs: 4
; NumVgprs: 0
; NumAgprs: 0
; TotalNumVgprs: 0
; ScratchSize: 0
; MemoryBound: 0
; FloatMode: 240
; IeeeMode: 1
; LDSByteSize: 0 bytes/workgroup (compile time only)
; SGPRBlocks: 0
; VGPRBlocks: 0
; NumSGPRsForWavesPerEU: 4
; NumVGPRsForWavesPerEU: 1
; AccumOffset: 4
; Occupancy: 8
; WaveLimiterHint : 0
; COMPUTE_PGM_RSRC2:SCRATCH_EN: 0
; COMPUTE_PGM_RSRC2:USER_SGPR: 6
; COMPUTE_PGM_RSRC2:TRAP_HANDLER: 0
; COMPUTE_PGM_RSRC2:TGID_X_EN: 1
; COMPUTE_PGM_RSRC2:TGID_Y_EN: 0
; COMPUTE_PGM_RSRC2:TGID_Z_EN: 0
; COMPUTE_PGM_RSRC2:TIDIG_COMP_CNT: 0
; COMPUTE_PGM_RSRC3_GFX90A:ACCUM_OFFSET: 0
; COMPUTE_PGM_RSRC3_GFX90A:TG_SPLIT: 0
	.section	.text._ZN7rocprim17ROCPRIM_400000_NS6detail17trampoline_kernelINS0_14default_configENS1_35adjacent_difference_config_selectorILb1EdEEZNS1_24adjacent_difference_implIS3_Lb1ELb0EPdN6thrust23THRUST_200600_302600_NS16discard_iteratorINS9_11use_defaultEEENS9_5minusIdEEEE10hipError_tPvRmT2_T3_mT4_P12ihipStream_tbEUlT_E_NS1_11comp_targetILNS1_3genE8ELNS1_11target_archE1030ELNS1_3gpuE2ELNS1_3repE0EEENS1_30default_config_static_selectorELNS0_4arch9wavefront6targetE1EEEvT1_,"axG",@progbits,_ZN7rocprim17ROCPRIM_400000_NS6detail17trampoline_kernelINS0_14default_configENS1_35adjacent_difference_config_selectorILb1EdEEZNS1_24adjacent_difference_implIS3_Lb1ELb0EPdN6thrust23THRUST_200600_302600_NS16discard_iteratorINS9_11use_defaultEEENS9_5minusIdEEEE10hipError_tPvRmT2_T3_mT4_P12ihipStream_tbEUlT_E_NS1_11comp_targetILNS1_3genE8ELNS1_11target_archE1030ELNS1_3gpuE2ELNS1_3repE0EEENS1_30default_config_static_selectorELNS0_4arch9wavefront6targetE1EEEvT1_,comdat
	.protected	_ZN7rocprim17ROCPRIM_400000_NS6detail17trampoline_kernelINS0_14default_configENS1_35adjacent_difference_config_selectorILb1EdEEZNS1_24adjacent_difference_implIS3_Lb1ELb0EPdN6thrust23THRUST_200600_302600_NS16discard_iteratorINS9_11use_defaultEEENS9_5minusIdEEEE10hipError_tPvRmT2_T3_mT4_P12ihipStream_tbEUlT_E_NS1_11comp_targetILNS1_3genE8ELNS1_11target_archE1030ELNS1_3gpuE2ELNS1_3repE0EEENS1_30default_config_static_selectorELNS0_4arch9wavefront6targetE1EEEvT1_ ; -- Begin function _ZN7rocprim17ROCPRIM_400000_NS6detail17trampoline_kernelINS0_14default_configENS1_35adjacent_difference_config_selectorILb1EdEEZNS1_24adjacent_difference_implIS3_Lb1ELb0EPdN6thrust23THRUST_200600_302600_NS16discard_iteratorINS9_11use_defaultEEENS9_5minusIdEEEE10hipError_tPvRmT2_T3_mT4_P12ihipStream_tbEUlT_E_NS1_11comp_targetILNS1_3genE8ELNS1_11target_archE1030ELNS1_3gpuE2ELNS1_3repE0EEENS1_30default_config_static_selectorELNS0_4arch9wavefront6targetE1EEEvT1_
	.globl	_ZN7rocprim17ROCPRIM_400000_NS6detail17trampoline_kernelINS0_14default_configENS1_35adjacent_difference_config_selectorILb1EdEEZNS1_24adjacent_difference_implIS3_Lb1ELb0EPdN6thrust23THRUST_200600_302600_NS16discard_iteratorINS9_11use_defaultEEENS9_5minusIdEEEE10hipError_tPvRmT2_T3_mT4_P12ihipStream_tbEUlT_E_NS1_11comp_targetILNS1_3genE8ELNS1_11target_archE1030ELNS1_3gpuE2ELNS1_3repE0EEENS1_30default_config_static_selectorELNS0_4arch9wavefront6targetE1EEEvT1_
	.p2align	8
	.type	_ZN7rocprim17ROCPRIM_400000_NS6detail17trampoline_kernelINS0_14default_configENS1_35adjacent_difference_config_selectorILb1EdEEZNS1_24adjacent_difference_implIS3_Lb1ELb0EPdN6thrust23THRUST_200600_302600_NS16discard_iteratorINS9_11use_defaultEEENS9_5minusIdEEEE10hipError_tPvRmT2_T3_mT4_P12ihipStream_tbEUlT_E_NS1_11comp_targetILNS1_3genE8ELNS1_11target_archE1030ELNS1_3gpuE2ELNS1_3repE0EEENS1_30default_config_static_selectorELNS0_4arch9wavefront6targetE1EEEvT1_,@function
_ZN7rocprim17ROCPRIM_400000_NS6detail17trampoline_kernelINS0_14default_configENS1_35adjacent_difference_config_selectorILb1EdEEZNS1_24adjacent_difference_implIS3_Lb1ELb0EPdN6thrust23THRUST_200600_302600_NS16discard_iteratorINS9_11use_defaultEEENS9_5minusIdEEEE10hipError_tPvRmT2_T3_mT4_P12ihipStream_tbEUlT_E_NS1_11comp_targetILNS1_3genE8ELNS1_11target_archE1030ELNS1_3gpuE2ELNS1_3repE0EEENS1_30default_config_static_selectorELNS0_4arch9wavefront6targetE1EEEvT1_: ; @_ZN7rocprim17ROCPRIM_400000_NS6detail17trampoline_kernelINS0_14default_configENS1_35adjacent_difference_config_selectorILb1EdEEZNS1_24adjacent_difference_implIS3_Lb1ELb0EPdN6thrust23THRUST_200600_302600_NS16discard_iteratorINS9_11use_defaultEEENS9_5minusIdEEEE10hipError_tPvRmT2_T3_mT4_P12ihipStream_tbEUlT_E_NS1_11comp_targetILNS1_3genE8ELNS1_11target_archE1030ELNS1_3gpuE2ELNS1_3repE0EEENS1_30default_config_static_selectorELNS0_4arch9wavefront6targetE1EEEvT1_
; %bb.0:
	.section	.rodata,"a",@progbits
	.p2align	6, 0x0
	.amdhsa_kernel _ZN7rocprim17ROCPRIM_400000_NS6detail17trampoline_kernelINS0_14default_configENS1_35adjacent_difference_config_selectorILb1EdEEZNS1_24adjacent_difference_implIS3_Lb1ELb0EPdN6thrust23THRUST_200600_302600_NS16discard_iteratorINS9_11use_defaultEEENS9_5minusIdEEEE10hipError_tPvRmT2_T3_mT4_P12ihipStream_tbEUlT_E_NS1_11comp_targetILNS1_3genE8ELNS1_11target_archE1030ELNS1_3gpuE2ELNS1_3repE0EEENS1_30default_config_static_selectorELNS0_4arch9wavefront6targetE1EEEvT1_
		.amdhsa_group_segment_fixed_size 0
		.amdhsa_private_segment_fixed_size 0
		.amdhsa_kernarg_size 64
		.amdhsa_user_sgpr_count 6
		.amdhsa_user_sgpr_private_segment_buffer 1
		.amdhsa_user_sgpr_dispatch_ptr 0
		.amdhsa_user_sgpr_queue_ptr 0
		.amdhsa_user_sgpr_kernarg_segment_ptr 1
		.amdhsa_user_sgpr_dispatch_id 0
		.amdhsa_user_sgpr_flat_scratch_init 0
		.amdhsa_user_sgpr_kernarg_preload_length 0
		.amdhsa_user_sgpr_kernarg_preload_offset 0
		.amdhsa_user_sgpr_private_segment_size 0
		.amdhsa_uses_dynamic_stack 0
		.amdhsa_system_sgpr_private_segment_wavefront_offset 0
		.amdhsa_system_sgpr_workgroup_id_x 1
		.amdhsa_system_sgpr_workgroup_id_y 0
		.amdhsa_system_sgpr_workgroup_id_z 0
		.amdhsa_system_sgpr_workgroup_info 0
		.amdhsa_system_vgpr_workitem_id 0
		.amdhsa_next_free_vgpr 1
		.amdhsa_next_free_sgpr 0
		.amdhsa_accum_offset 4
		.amdhsa_reserve_vcc 0
		.amdhsa_reserve_flat_scratch 0
		.amdhsa_float_round_mode_32 0
		.amdhsa_float_round_mode_16_64 0
		.amdhsa_float_denorm_mode_32 3
		.amdhsa_float_denorm_mode_16_64 3
		.amdhsa_dx10_clamp 1
		.amdhsa_ieee_mode 1
		.amdhsa_fp16_overflow 0
		.amdhsa_tg_split 0
		.amdhsa_exception_fp_ieee_invalid_op 0
		.amdhsa_exception_fp_denorm_src 0
		.amdhsa_exception_fp_ieee_div_zero 0
		.amdhsa_exception_fp_ieee_overflow 0
		.amdhsa_exception_fp_ieee_underflow 0
		.amdhsa_exception_fp_ieee_inexact 0
		.amdhsa_exception_int_div_zero 0
	.end_amdhsa_kernel
	.section	.text._ZN7rocprim17ROCPRIM_400000_NS6detail17trampoline_kernelINS0_14default_configENS1_35adjacent_difference_config_selectorILb1EdEEZNS1_24adjacent_difference_implIS3_Lb1ELb0EPdN6thrust23THRUST_200600_302600_NS16discard_iteratorINS9_11use_defaultEEENS9_5minusIdEEEE10hipError_tPvRmT2_T3_mT4_P12ihipStream_tbEUlT_E_NS1_11comp_targetILNS1_3genE8ELNS1_11target_archE1030ELNS1_3gpuE2ELNS1_3repE0EEENS1_30default_config_static_selectorELNS0_4arch9wavefront6targetE1EEEvT1_,"axG",@progbits,_ZN7rocprim17ROCPRIM_400000_NS6detail17trampoline_kernelINS0_14default_configENS1_35adjacent_difference_config_selectorILb1EdEEZNS1_24adjacent_difference_implIS3_Lb1ELb0EPdN6thrust23THRUST_200600_302600_NS16discard_iteratorINS9_11use_defaultEEENS9_5minusIdEEEE10hipError_tPvRmT2_T3_mT4_P12ihipStream_tbEUlT_E_NS1_11comp_targetILNS1_3genE8ELNS1_11target_archE1030ELNS1_3gpuE2ELNS1_3repE0EEENS1_30default_config_static_selectorELNS0_4arch9wavefront6targetE1EEEvT1_,comdat
.Lfunc_end801:
	.size	_ZN7rocprim17ROCPRIM_400000_NS6detail17trampoline_kernelINS0_14default_configENS1_35adjacent_difference_config_selectorILb1EdEEZNS1_24adjacent_difference_implIS3_Lb1ELb0EPdN6thrust23THRUST_200600_302600_NS16discard_iteratorINS9_11use_defaultEEENS9_5minusIdEEEE10hipError_tPvRmT2_T3_mT4_P12ihipStream_tbEUlT_E_NS1_11comp_targetILNS1_3genE8ELNS1_11target_archE1030ELNS1_3gpuE2ELNS1_3repE0EEENS1_30default_config_static_selectorELNS0_4arch9wavefront6targetE1EEEvT1_, .Lfunc_end801-_ZN7rocprim17ROCPRIM_400000_NS6detail17trampoline_kernelINS0_14default_configENS1_35adjacent_difference_config_selectorILb1EdEEZNS1_24adjacent_difference_implIS3_Lb1ELb0EPdN6thrust23THRUST_200600_302600_NS16discard_iteratorINS9_11use_defaultEEENS9_5minusIdEEEE10hipError_tPvRmT2_T3_mT4_P12ihipStream_tbEUlT_E_NS1_11comp_targetILNS1_3genE8ELNS1_11target_archE1030ELNS1_3gpuE2ELNS1_3repE0EEENS1_30default_config_static_selectorELNS0_4arch9wavefront6targetE1EEEvT1_
                                        ; -- End function
	.section	.AMDGPU.csdata,"",@progbits
; Kernel info:
; codeLenInByte = 0
; NumSgprs: 4
; NumVgprs: 0
; NumAgprs: 0
; TotalNumVgprs: 0
; ScratchSize: 0
; MemoryBound: 0
; FloatMode: 240
; IeeeMode: 1
; LDSByteSize: 0 bytes/workgroup (compile time only)
; SGPRBlocks: 0
; VGPRBlocks: 0
; NumSGPRsForWavesPerEU: 4
; NumVGPRsForWavesPerEU: 1
; AccumOffset: 4
; Occupancy: 8
; WaveLimiterHint : 0
; COMPUTE_PGM_RSRC2:SCRATCH_EN: 0
; COMPUTE_PGM_RSRC2:USER_SGPR: 6
; COMPUTE_PGM_RSRC2:TRAP_HANDLER: 0
; COMPUTE_PGM_RSRC2:TGID_X_EN: 1
; COMPUTE_PGM_RSRC2:TGID_Y_EN: 0
; COMPUTE_PGM_RSRC2:TGID_Z_EN: 0
; COMPUTE_PGM_RSRC2:TIDIG_COMP_CNT: 0
; COMPUTE_PGM_RSRC3_GFX90A:ACCUM_OFFSET: 0
; COMPUTE_PGM_RSRC3_GFX90A:TG_SPLIT: 0
	.section	.text._ZN6thrust23THRUST_200600_302600_NS11hip_rocprim14__parallel_for6kernelILj256ENS1_20__uninitialized_fill7functorINS0_10device_ptrIiEEiEEmLj1EEEvT0_T1_SA_,"axG",@progbits,_ZN6thrust23THRUST_200600_302600_NS11hip_rocprim14__parallel_for6kernelILj256ENS1_20__uninitialized_fill7functorINS0_10device_ptrIiEEiEEmLj1EEEvT0_T1_SA_,comdat
	.protected	_ZN6thrust23THRUST_200600_302600_NS11hip_rocprim14__parallel_for6kernelILj256ENS1_20__uninitialized_fill7functorINS0_10device_ptrIiEEiEEmLj1EEEvT0_T1_SA_ ; -- Begin function _ZN6thrust23THRUST_200600_302600_NS11hip_rocprim14__parallel_for6kernelILj256ENS1_20__uninitialized_fill7functorINS0_10device_ptrIiEEiEEmLj1EEEvT0_T1_SA_
	.globl	_ZN6thrust23THRUST_200600_302600_NS11hip_rocprim14__parallel_for6kernelILj256ENS1_20__uninitialized_fill7functorINS0_10device_ptrIiEEiEEmLj1EEEvT0_T1_SA_
	.p2align	8
	.type	_ZN6thrust23THRUST_200600_302600_NS11hip_rocprim14__parallel_for6kernelILj256ENS1_20__uninitialized_fill7functorINS0_10device_ptrIiEEiEEmLj1EEEvT0_T1_SA_,@function
_ZN6thrust23THRUST_200600_302600_NS11hip_rocprim14__parallel_for6kernelILj256ENS1_20__uninitialized_fill7functorINS0_10device_ptrIiEEiEEmLj1EEEvT0_T1_SA_: ; @_ZN6thrust23THRUST_200600_302600_NS11hip_rocprim14__parallel_for6kernelILj256ENS1_20__uninitialized_fill7functorINS0_10device_ptrIiEEiEEmLj1EEEvT0_T1_SA_
; %bb.0:
	s_load_dwordx4 s[8:11], s[4:5], 0x10
	s_lshl_b32 s0, s6, 8
	v_mov_b32_e32 v2, 0x100
	v_mov_b32_e32 v3, 0
	s_waitcnt lgkmcnt(0)
	s_add_u32 s0, s0, s10
	s_addc_u32 s1, 0, s11
	s_sub_u32 s2, s8, s0
	s_subb_u32 s3, s9, s1
	v_cmp_lt_u64_e32 vcc, s[2:3], v[2:3]
	s_cbranch_vccz .LBB802_2
; %bb.1:
	v_cmp_gt_u32_e32 vcc, s2, v0
	s_and_b64 s[2:3], vcc, exec
	s_cbranch_execz .LBB802_3
	s_branch .LBB802_4
.LBB802_2:
	s_mov_b64 s[2:3], 0
.LBB802_3:
	s_or_b64 s[2:3], s[2:3], exec
.LBB802_4:
	s_and_saveexec_b64 s[6:7], s[2:3]
	s_cbranch_execnz .LBB802_6
; %bb.5:
	s_endpgm
.LBB802_6:
	s_load_dwordx2 s[2:3], s[4:5], 0x0
	s_load_dword s6, s[4:5], 0x8
	s_lshl_b64 s[0:1], s[0:1], 2
	v_mov_b32_e32 v1, 0
	v_lshlrev_b64 v[0:1], 2, v[0:1]
	s_waitcnt lgkmcnt(0)
	s_add_u32 s0, s2, s0
	s_addc_u32 s1, s3, s1
	v_mov_b32_e32 v2, s1
	v_add_co_u32_e32 v0, vcc, s0, v0
	v_addc_co_u32_e32 v1, vcc, v2, v1, vcc
	v_mov_b32_e32 v2, s6
	flat_store_dword v[0:1], v2
	s_endpgm
	.section	.rodata,"a",@progbits
	.p2align	6, 0x0
	.amdhsa_kernel _ZN6thrust23THRUST_200600_302600_NS11hip_rocprim14__parallel_for6kernelILj256ENS1_20__uninitialized_fill7functorINS0_10device_ptrIiEEiEEmLj1EEEvT0_T1_SA_
		.amdhsa_group_segment_fixed_size 0
		.amdhsa_private_segment_fixed_size 0
		.amdhsa_kernarg_size 32
		.amdhsa_user_sgpr_count 6
		.amdhsa_user_sgpr_private_segment_buffer 1
		.amdhsa_user_sgpr_dispatch_ptr 0
		.amdhsa_user_sgpr_queue_ptr 0
		.amdhsa_user_sgpr_kernarg_segment_ptr 1
		.amdhsa_user_sgpr_dispatch_id 0
		.amdhsa_user_sgpr_flat_scratch_init 0
		.amdhsa_user_sgpr_kernarg_preload_length 0
		.amdhsa_user_sgpr_kernarg_preload_offset 0
		.amdhsa_user_sgpr_private_segment_size 0
		.amdhsa_uses_dynamic_stack 0
		.amdhsa_system_sgpr_private_segment_wavefront_offset 0
		.amdhsa_system_sgpr_workgroup_id_x 1
		.amdhsa_system_sgpr_workgroup_id_y 0
		.amdhsa_system_sgpr_workgroup_id_z 0
		.amdhsa_system_sgpr_workgroup_info 0
		.amdhsa_system_vgpr_workitem_id 0
		.amdhsa_next_free_vgpr 4
		.amdhsa_next_free_sgpr 12
		.amdhsa_accum_offset 4
		.amdhsa_reserve_vcc 1
		.amdhsa_reserve_flat_scratch 0
		.amdhsa_float_round_mode_32 0
		.amdhsa_float_round_mode_16_64 0
		.amdhsa_float_denorm_mode_32 3
		.amdhsa_float_denorm_mode_16_64 3
		.amdhsa_dx10_clamp 1
		.amdhsa_ieee_mode 1
		.amdhsa_fp16_overflow 0
		.amdhsa_tg_split 0
		.amdhsa_exception_fp_ieee_invalid_op 0
		.amdhsa_exception_fp_denorm_src 0
		.amdhsa_exception_fp_ieee_div_zero 0
		.amdhsa_exception_fp_ieee_overflow 0
		.amdhsa_exception_fp_ieee_underflow 0
		.amdhsa_exception_fp_ieee_inexact 0
		.amdhsa_exception_int_div_zero 0
	.end_amdhsa_kernel
	.section	.text._ZN6thrust23THRUST_200600_302600_NS11hip_rocprim14__parallel_for6kernelILj256ENS1_20__uninitialized_fill7functorINS0_10device_ptrIiEEiEEmLj1EEEvT0_T1_SA_,"axG",@progbits,_ZN6thrust23THRUST_200600_302600_NS11hip_rocprim14__parallel_for6kernelILj256ENS1_20__uninitialized_fill7functorINS0_10device_ptrIiEEiEEmLj1EEEvT0_T1_SA_,comdat
.Lfunc_end802:
	.size	_ZN6thrust23THRUST_200600_302600_NS11hip_rocprim14__parallel_for6kernelILj256ENS1_20__uninitialized_fill7functorINS0_10device_ptrIiEEiEEmLj1EEEvT0_T1_SA_, .Lfunc_end802-_ZN6thrust23THRUST_200600_302600_NS11hip_rocprim14__parallel_for6kernelILj256ENS1_20__uninitialized_fill7functorINS0_10device_ptrIiEEiEEmLj1EEEvT0_T1_SA_
                                        ; -- End function
	.section	.AMDGPU.csdata,"",@progbits
; Kernel info:
; codeLenInByte = 160
; NumSgprs: 16
; NumVgprs: 4
; NumAgprs: 0
; TotalNumVgprs: 4
; ScratchSize: 0
; MemoryBound: 0
; FloatMode: 240
; IeeeMode: 1
; LDSByteSize: 0 bytes/workgroup (compile time only)
; SGPRBlocks: 1
; VGPRBlocks: 0
; NumSGPRsForWavesPerEU: 16
; NumVGPRsForWavesPerEU: 4
; AccumOffset: 4
; Occupancy: 8
; WaveLimiterHint : 0
; COMPUTE_PGM_RSRC2:SCRATCH_EN: 0
; COMPUTE_PGM_RSRC2:USER_SGPR: 6
; COMPUTE_PGM_RSRC2:TRAP_HANDLER: 0
; COMPUTE_PGM_RSRC2:TGID_X_EN: 1
; COMPUTE_PGM_RSRC2:TGID_Y_EN: 0
; COMPUTE_PGM_RSRC2:TGID_Z_EN: 0
; COMPUTE_PGM_RSRC2:TIDIG_COMP_CNT: 0
; COMPUTE_PGM_RSRC3_GFX90A:ACCUM_OFFSET: 0
; COMPUTE_PGM_RSRC3_GFX90A:TG_SPLIT: 0
	.text
	.p2alignl 6, 3212836864
	.fill 256, 4, 3212836864
	.type	__hip_cuid_f3dd21bb84b36c3a,@object ; @__hip_cuid_f3dd21bb84b36c3a
	.section	.bss,"aw",@nobits
	.globl	__hip_cuid_f3dd21bb84b36c3a
__hip_cuid_f3dd21bb84b36c3a:
	.byte	0                               ; 0x0
	.size	__hip_cuid_f3dd21bb84b36c3a, 1

	.ident	"AMD clang version 19.0.0git (https://github.com/RadeonOpenCompute/llvm-project roc-6.4.0 25133 c7fe45cf4b819c5991fe208aaa96edf142730f1d)"
	.section	".note.GNU-stack","",@progbits
	.addrsig
	.addrsig_sym __hip_cuid_f3dd21bb84b36c3a
	.amdgpu_metadata
---
amdhsa.kernels:
  - .agpr_count:     0
    .args:
      - .offset:         0
        .size:           16
        .value_kind:     by_value
      - .offset:         16
        .size:           8
        .value_kind:     by_value
      - .offset:         24
        .size:           8
        .value_kind:     by_value
    .group_segment_fixed_size: 0
    .kernarg_segment_align: 8
    .kernarg_segment_size: 32
    .language:       OpenCL C
    .language_version:
      - 2
      - 0
    .max_flat_workgroup_size: 256
    .name:           _ZN6thrust23THRUST_200600_302600_NS11hip_rocprim14__parallel_for6kernelILj256ENS1_20__uninitialized_fill7functorINS0_10device_ptrIaEEaEEmLj1EEEvT0_T1_SA_
    .private_segment_fixed_size: 0
    .sgpr_count:     12
    .sgpr_spill_count: 0
    .symbol:         _ZN6thrust23THRUST_200600_302600_NS11hip_rocprim14__parallel_for6kernelILj256ENS1_20__uninitialized_fill7functorINS0_10device_ptrIaEEaEEmLj1EEEvT0_T1_SA_.kd
    .uniform_work_group_size: 1
    .uses_dynamic_stack: false
    .vgpr_count:     4
    .vgpr_spill_count: 0
    .wavefront_size: 64
  - .agpr_count:     0
    .args:
      - .offset:         0
        .size:           56
        .value_kind:     by_value
    .group_segment_fixed_size: 0
    .kernarg_segment_align: 8
    .kernarg_segment_size: 56
    .language:       OpenCL C
    .language_version:
      - 2
      - 0
    .max_flat_workgroup_size: 64
    .name:           _ZN7rocprim17ROCPRIM_400000_NS6detail17trampoline_kernelINS0_14default_configENS1_35adjacent_difference_config_selectorILb0EaEEZNS1_24adjacent_difference_implIS3_Lb0ELb0EPaS7_N6thrust23THRUST_200600_302600_NS5minusIaEEEE10hipError_tPvRmT2_T3_mT4_P12ihipStream_tbEUlT_E_NS1_11comp_targetILNS1_3genE0ELNS1_11target_archE4294967295ELNS1_3gpuE0ELNS1_3repE0EEENS1_30default_config_static_selectorELNS0_4arch9wavefront6targetE1EEEvT1_
    .private_segment_fixed_size: 0
    .sgpr_count:     4
    .sgpr_spill_count: 0
    .symbol:         _ZN7rocprim17ROCPRIM_400000_NS6detail17trampoline_kernelINS0_14default_configENS1_35adjacent_difference_config_selectorILb0EaEEZNS1_24adjacent_difference_implIS3_Lb0ELb0EPaS7_N6thrust23THRUST_200600_302600_NS5minusIaEEEE10hipError_tPvRmT2_T3_mT4_P12ihipStream_tbEUlT_E_NS1_11comp_targetILNS1_3genE0ELNS1_11target_archE4294967295ELNS1_3gpuE0ELNS1_3repE0EEENS1_30default_config_static_selectorELNS0_4arch9wavefront6targetE1EEEvT1_.kd
    .uniform_work_group_size: 1
    .uses_dynamic_stack: false
    .vgpr_count:     0
    .vgpr_spill_count: 0
    .wavefront_size: 64
  - .agpr_count:     0
    .args:
      - .offset:         0
        .size:           56
        .value_kind:     by_value
    .group_segment_fixed_size: 0
    .kernarg_segment_align: 8
    .kernarg_segment_size: 56
    .language:       OpenCL C
    .language_version:
      - 2
      - 0
    .max_flat_workgroup_size: 1024
    .name:           _ZN7rocprim17ROCPRIM_400000_NS6detail17trampoline_kernelINS0_14default_configENS1_35adjacent_difference_config_selectorILb0EaEEZNS1_24adjacent_difference_implIS3_Lb0ELb0EPaS7_N6thrust23THRUST_200600_302600_NS5minusIaEEEE10hipError_tPvRmT2_T3_mT4_P12ihipStream_tbEUlT_E_NS1_11comp_targetILNS1_3genE10ELNS1_11target_archE1201ELNS1_3gpuE5ELNS1_3repE0EEENS1_30default_config_static_selectorELNS0_4arch9wavefront6targetE1EEEvT1_
    .private_segment_fixed_size: 0
    .sgpr_count:     4
    .sgpr_spill_count: 0
    .symbol:         _ZN7rocprim17ROCPRIM_400000_NS6detail17trampoline_kernelINS0_14default_configENS1_35adjacent_difference_config_selectorILb0EaEEZNS1_24adjacent_difference_implIS3_Lb0ELb0EPaS7_N6thrust23THRUST_200600_302600_NS5minusIaEEEE10hipError_tPvRmT2_T3_mT4_P12ihipStream_tbEUlT_E_NS1_11comp_targetILNS1_3genE10ELNS1_11target_archE1201ELNS1_3gpuE5ELNS1_3repE0EEENS1_30default_config_static_selectorELNS0_4arch9wavefront6targetE1EEEvT1_.kd
    .uniform_work_group_size: 1
    .uses_dynamic_stack: false
    .vgpr_count:     0
    .vgpr_spill_count: 0
    .wavefront_size: 64
  - .agpr_count:     0
    .args:
      - .offset:         0
        .size:           56
        .value_kind:     by_value
    .group_segment_fixed_size: 0
    .kernarg_segment_align: 8
    .kernarg_segment_size: 56
    .language:       OpenCL C
    .language_version:
      - 2
      - 0
    .max_flat_workgroup_size: 128
    .name:           _ZN7rocprim17ROCPRIM_400000_NS6detail17trampoline_kernelINS0_14default_configENS1_35adjacent_difference_config_selectorILb0EaEEZNS1_24adjacent_difference_implIS3_Lb0ELb0EPaS7_N6thrust23THRUST_200600_302600_NS5minusIaEEEE10hipError_tPvRmT2_T3_mT4_P12ihipStream_tbEUlT_E_NS1_11comp_targetILNS1_3genE5ELNS1_11target_archE942ELNS1_3gpuE9ELNS1_3repE0EEENS1_30default_config_static_selectorELNS0_4arch9wavefront6targetE1EEEvT1_
    .private_segment_fixed_size: 0
    .sgpr_count:     4
    .sgpr_spill_count: 0
    .symbol:         _ZN7rocprim17ROCPRIM_400000_NS6detail17trampoline_kernelINS0_14default_configENS1_35adjacent_difference_config_selectorILb0EaEEZNS1_24adjacent_difference_implIS3_Lb0ELb0EPaS7_N6thrust23THRUST_200600_302600_NS5minusIaEEEE10hipError_tPvRmT2_T3_mT4_P12ihipStream_tbEUlT_E_NS1_11comp_targetILNS1_3genE5ELNS1_11target_archE942ELNS1_3gpuE9ELNS1_3repE0EEENS1_30default_config_static_selectorELNS0_4arch9wavefront6targetE1EEEvT1_.kd
    .uniform_work_group_size: 1
    .uses_dynamic_stack: false
    .vgpr_count:     0
    .vgpr_spill_count: 0
    .wavefront_size: 64
  - .agpr_count:     0
    .args:
      - .offset:         0
        .size:           56
        .value_kind:     by_value
    .group_segment_fixed_size: 1216
    .kernarg_segment_align: 8
    .kernarg_segment_size: 56
    .language:       OpenCL C
    .language_version:
      - 2
      - 0
    .max_flat_workgroup_size: 64
    .name:           _ZN7rocprim17ROCPRIM_400000_NS6detail17trampoline_kernelINS0_14default_configENS1_35adjacent_difference_config_selectorILb0EaEEZNS1_24adjacent_difference_implIS3_Lb0ELb0EPaS7_N6thrust23THRUST_200600_302600_NS5minusIaEEEE10hipError_tPvRmT2_T3_mT4_P12ihipStream_tbEUlT_E_NS1_11comp_targetILNS1_3genE4ELNS1_11target_archE910ELNS1_3gpuE8ELNS1_3repE0EEENS1_30default_config_static_selectorELNS0_4arch9wavefront6targetE1EEEvT1_
    .private_segment_fixed_size: 0
    .sgpr_count:     26
    .sgpr_spill_count: 0
    .symbol:         _ZN7rocprim17ROCPRIM_400000_NS6detail17trampoline_kernelINS0_14default_configENS1_35adjacent_difference_config_selectorILb0EaEEZNS1_24adjacent_difference_implIS3_Lb0ELb0EPaS7_N6thrust23THRUST_200600_302600_NS5minusIaEEEE10hipError_tPvRmT2_T3_mT4_P12ihipStream_tbEUlT_E_NS1_11comp_targetILNS1_3genE4ELNS1_11target_archE910ELNS1_3gpuE8ELNS1_3repE0EEENS1_30default_config_static_selectorELNS0_4arch9wavefront6targetE1EEEvT1_.kd
    .uniform_work_group_size: 1
    .uses_dynamic_stack: false
    .vgpr_count:     34
    .vgpr_spill_count: 0
    .wavefront_size: 64
  - .agpr_count:     0
    .args:
      - .offset:         0
        .size:           56
        .value_kind:     by_value
    .group_segment_fixed_size: 0
    .kernarg_segment_align: 8
    .kernarg_segment_size: 56
    .language:       OpenCL C
    .language_version:
      - 2
      - 0
    .max_flat_workgroup_size: 64
    .name:           _ZN7rocprim17ROCPRIM_400000_NS6detail17trampoline_kernelINS0_14default_configENS1_35adjacent_difference_config_selectorILb0EaEEZNS1_24adjacent_difference_implIS3_Lb0ELb0EPaS7_N6thrust23THRUST_200600_302600_NS5minusIaEEEE10hipError_tPvRmT2_T3_mT4_P12ihipStream_tbEUlT_E_NS1_11comp_targetILNS1_3genE3ELNS1_11target_archE908ELNS1_3gpuE7ELNS1_3repE0EEENS1_30default_config_static_selectorELNS0_4arch9wavefront6targetE1EEEvT1_
    .private_segment_fixed_size: 0
    .sgpr_count:     4
    .sgpr_spill_count: 0
    .symbol:         _ZN7rocprim17ROCPRIM_400000_NS6detail17trampoline_kernelINS0_14default_configENS1_35adjacent_difference_config_selectorILb0EaEEZNS1_24adjacent_difference_implIS3_Lb0ELb0EPaS7_N6thrust23THRUST_200600_302600_NS5minusIaEEEE10hipError_tPvRmT2_T3_mT4_P12ihipStream_tbEUlT_E_NS1_11comp_targetILNS1_3genE3ELNS1_11target_archE908ELNS1_3gpuE7ELNS1_3repE0EEENS1_30default_config_static_selectorELNS0_4arch9wavefront6targetE1EEEvT1_.kd
    .uniform_work_group_size: 1
    .uses_dynamic_stack: false
    .vgpr_count:     0
    .vgpr_spill_count: 0
    .wavefront_size: 64
  - .agpr_count:     0
    .args:
      - .offset:         0
        .size:           56
        .value_kind:     by_value
    .group_segment_fixed_size: 0
    .kernarg_segment_align: 8
    .kernarg_segment_size: 56
    .language:       OpenCL C
    .language_version:
      - 2
      - 0
    .max_flat_workgroup_size: 64
    .name:           _ZN7rocprim17ROCPRIM_400000_NS6detail17trampoline_kernelINS0_14default_configENS1_35adjacent_difference_config_selectorILb0EaEEZNS1_24adjacent_difference_implIS3_Lb0ELb0EPaS7_N6thrust23THRUST_200600_302600_NS5minusIaEEEE10hipError_tPvRmT2_T3_mT4_P12ihipStream_tbEUlT_E_NS1_11comp_targetILNS1_3genE2ELNS1_11target_archE906ELNS1_3gpuE6ELNS1_3repE0EEENS1_30default_config_static_selectorELNS0_4arch9wavefront6targetE1EEEvT1_
    .private_segment_fixed_size: 0
    .sgpr_count:     4
    .sgpr_spill_count: 0
    .symbol:         _ZN7rocprim17ROCPRIM_400000_NS6detail17trampoline_kernelINS0_14default_configENS1_35adjacent_difference_config_selectorILb0EaEEZNS1_24adjacent_difference_implIS3_Lb0ELb0EPaS7_N6thrust23THRUST_200600_302600_NS5minusIaEEEE10hipError_tPvRmT2_T3_mT4_P12ihipStream_tbEUlT_E_NS1_11comp_targetILNS1_3genE2ELNS1_11target_archE906ELNS1_3gpuE6ELNS1_3repE0EEENS1_30default_config_static_selectorELNS0_4arch9wavefront6targetE1EEEvT1_.kd
    .uniform_work_group_size: 1
    .uses_dynamic_stack: false
    .vgpr_count:     0
    .vgpr_spill_count: 0
    .wavefront_size: 64
  - .agpr_count:     0
    .args:
      - .offset:         0
        .size:           56
        .value_kind:     by_value
    .group_segment_fixed_size: 0
    .kernarg_segment_align: 8
    .kernarg_segment_size: 56
    .language:       OpenCL C
    .language_version:
      - 2
      - 0
    .max_flat_workgroup_size: 64
    .name:           _ZN7rocprim17ROCPRIM_400000_NS6detail17trampoline_kernelINS0_14default_configENS1_35adjacent_difference_config_selectorILb0EaEEZNS1_24adjacent_difference_implIS3_Lb0ELb0EPaS7_N6thrust23THRUST_200600_302600_NS5minusIaEEEE10hipError_tPvRmT2_T3_mT4_P12ihipStream_tbEUlT_E_NS1_11comp_targetILNS1_3genE9ELNS1_11target_archE1100ELNS1_3gpuE3ELNS1_3repE0EEENS1_30default_config_static_selectorELNS0_4arch9wavefront6targetE1EEEvT1_
    .private_segment_fixed_size: 0
    .sgpr_count:     4
    .sgpr_spill_count: 0
    .symbol:         _ZN7rocprim17ROCPRIM_400000_NS6detail17trampoline_kernelINS0_14default_configENS1_35adjacent_difference_config_selectorILb0EaEEZNS1_24adjacent_difference_implIS3_Lb0ELb0EPaS7_N6thrust23THRUST_200600_302600_NS5minusIaEEEE10hipError_tPvRmT2_T3_mT4_P12ihipStream_tbEUlT_E_NS1_11comp_targetILNS1_3genE9ELNS1_11target_archE1100ELNS1_3gpuE3ELNS1_3repE0EEENS1_30default_config_static_selectorELNS0_4arch9wavefront6targetE1EEEvT1_.kd
    .uniform_work_group_size: 1
    .uses_dynamic_stack: false
    .vgpr_count:     0
    .vgpr_spill_count: 0
    .wavefront_size: 64
  - .agpr_count:     0
    .args:
      - .offset:         0
        .size:           56
        .value_kind:     by_value
    .group_segment_fixed_size: 0
    .kernarg_segment_align: 8
    .kernarg_segment_size: 56
    .language:       OpenCL C
    .language_version:
      - 2
      - 0
    .max_flat_workgroup_size: 64
    .name:           _ZN7rocprim17ROCPRIM_400000_NS6detail17trampoline_kernelINS0_14default_configENS1_35adjacent_difference_config_selectorILb0EaEEZNS1_24adjacent_difference_implIS3_Lb0ELb0EPaS7_N6thrust23THRUST_200600_302600_NS5minusIaEEEE10hipError_tPvRmT2_T3_mT4_P12ihipStream_tbEUlT_E_NS1_11comp_targetILNS1_3genE8ELNS1_11target_archE1030ELNS1_3gpuE2ELNS1_3repE0EEENS1_30default_config_static_selectorELNS0_4arch9wavefront6targetE1EEEvT1_
    .private_segment_fixed_size: 0
    .sgpr_count:     4
    .sgpr_spill_count: 0
    .symbol:         _ZN7rocprim17ROCPRIM_400000_NS6detail17trampoline_kernelINS0_14default_configENS1_35adjacent_difference_config_selectorILb0EaEEZNS1_24adjacent_difference_implIS3_Lb0ELb0EPaS7_N6thrust23THRUST_200600_302600_NS5minusIaEEEE10hipError_tPvRmT2_T3_mT4_P12ihipStream_tbEUlT_E_NS1_11comp_targetILNS1_3genE8ELNS1_11target_archE1030ELNS1_3gpuE2ELNS1_3repE0EEENS1_30default_config_static_selectorELNS0_4arch9wavefront6targetE1EEEvT1_.kd
    .uniform_work_group_size: 1
    .uses_dynamic_stack: false
    .vgpr_count:     0
    .vgpr_spill_count: 0
    .wavefront_size: 64
  - .agpr_count:     0
    .args:
      - .offset:         0
        .size:           56
        .value_kind:     by_value
    .group_segment_fixed_size: 0
    .kernarg_segment_align: 8
    .kernarg_segment_size: 56
    .language:       OpenCL C
    .language_version:
      - 2
      - 0
    .max_flat_workgroup_size: 128
    .name:           _ZN7rocprim17ROCPRIM_400000_NS6detail17trampoline_kernelINS0_14default_configENS1_25transform_config_selectorIaLb0EEEZNS1_14transform_implILb0ES3_S5_NS0_18transform_iteratorINS0_17counting_iteratorImlEEZNS1_24adjacent_difference_implIS3_Lb1ELb0EPaSB_N6thrust23THRUST_200600_302600_NS5minusIaEEEE10hipError_tPvRmT2_T3_mT4_P12ihipStream_tbEUlmE_aEESB_NS0_8identityIvEEEESG_SJ_SK_mSL_SN_bEUlT_E_NS1_11comp_targetILNS1_3genE0ELNS1_11target_archE4294967295ELNS1_3gpuE0ELNS1_3repE0EEENS1_30default_config_static_selectorELNS0_4arch9wavefront6targetE1EEEvT1_
    .private_segment_fixed_size: 0
    .sgpr_count:     4
    .sgpr_spill_count: 0
    .symbol:         _ZN7rocprim17ROCPRIM_400000_NS6detail17trampoline_kernelINS0_14default_configENS1_25transform_config_selectorIaLb0EEEZNS1_14transform_implILb0ES3_S5_NS0_18transform_iteratorINS0_17counting_iteratorImlEEZNS1_24adjacent_difference_implIS3_Lb1ELb0EPaSB_N6thrust23THRUST_200600_302600_NS5minusIaEEEE10hipError_tPvRmT2_T3_mT4_P12ihipStream_tbEUlmE_aEESB_NS0_8identityIvEEEESG_SJ_SK_mSL_SN_bEUlT_E_NS1_11comp_targetILNS1_3genE0ELNS1_11target_archE4294967295ELNS1_3gpuE0ELNS1_3repE0EEENS1_30default_config_static_selectorELNS0_4arch9wavefront6targetE1EEEvT1_.kd
    .uniform_work_group_size: 1
    .uses_dynamic_stack: false
    .vgpr_count:     0
    .vgpr_spill_count: 0
    .wavefront_size: 64
  - .agpr_count:     0
    .args:
      - .offset:         0
        .size:           56
        .value_kind:     by_value
    .group_segment_fixed_size: 0
    .kernarg_segment_align: 8
    .kernarg_segment_size: 56
    .language:       OpenCL C
    .language_version:
      - 2
      - 0
    .max_flat_workgroup_size: 1024
    .name:           _ZN7rocprim17ROCPRIM_400000_NS6detail17trampoline_kernelINS0_14default_configENS1_25transform_config_selectorIaLb0EEEZNS1_14transform_implILb0ES3_S5_NS0_18transform_iteratorINS0_17counting_iteratorImlEEZNS1_24adjacent_difference_implIS3_Lb1ELb0EPaSB_N6thrust23THRUST_200600_302600_NS5minusIaEEEE10hipError_tPvRmT2_T3_mT4_P12ihipStream_tbEUlmE_aEESB_NS0_8identityIvEEEESG_SJ_SK_mSL_SN_bEUlT_E_NS1_11comp_targetILNS1_3genE5ELNS1_11target_archE942ELNS1_3gpuE9ELNS1_3repE0EEENS1_30default_config_static_selectorELNS0_4arch9wavefront6targetE1EEEvT1_
    .private_segment_fixed_size: 0
    .sgpr_count:     4
    .sgpr_spill_count: 0
    .symbol:         _ZN7rocprim17ROCPRIM_400000_NS6detail17trampoline_kernelINS0_14default_configENS1_25transform_config_selectorIaLb0EEEZNS1_14transform_implILb0ES3_S5_NS0_18transform_iteratorINS0_17counting_iteratorImlEEZNS1_24adjacent_difference_implIS3_Lb1ELb0EPaSB_N6thrust23THRUST_200600_302600_NS5minusIaEEEE10hipError_tPvRmT2_T3_mT4_P12ihipStream_tbEUlmE_aEESB_NS0_8identityIvEEEESG_SJ_SK_mSL_SN_bEUlT_E_NS1_11comp_targetILNS1_3genE5ELNS1_11target_archE942ELNS1_3gpuE9ELNS1_3repE0EEENS1_30default_config_static_selectorELNS0_4arch9wavefront6targetE1EEEvT1_.kd
    .uniform_work_group_size: 1
    .uses_dynamic_stack: false
    .vgpr_count:     0
    .vgpr_spill_count: 0
    .wavefront_size: 64
  - .agpr_count:     0
    .args:
      - .offset:         0
        .size:           56
        .value_kind:     by_value
      - .offset:         56
        .size:           4
        .value_kind:     hidden_block_count_x
      - .offset:         60
        .size:           4
        .value_kind:     hidden_block_count_y
      - .offset:         64
        .size:           4
        .value_kind:     hidden_block_count_z
      - .offset:         68
        .size:           2
        .value_kind:     hidden_group_size_x
      - .offset:         70
        .size:           2
        .value_kind:     hidden_group_size_y
      - .offset:         72
        .size:           2
        .value_kind:     hidden_group_size_z
      - .offset:         74
        .size:           2
        .value_kind:     hidden_remainder_x
      - .offset:         76
        .size:           2
        .value_kind:     hidden_remainder_y
      - .offset:         78
        .size:           2
        .value_kind:     hidden_remainder_z
      - .offset:         96
        .size:           8
        .value_kind:     hidden_global_offset_x
      - .offset:         104
        .size:           8
        .value_kind:     hidden_global_offset_y
      - .offset:         112
        .size:           8
        .value_kind:     hidden_global_offset_z
      - .offset:         120
        .size:           2
        .value_kind:     hidden_grid_dims
    .group_segment_fixed_size: 0
    .kernarg_segment_align: 8
    .kernarg_segment_size: 312
    .language:       OpenCL C
    .language_version:
      - 2
      - 0
    .max_flat_workgroup_size: 64
    .name:           _ZN7rocprim17ROCPRIM_400000_NS6detail17trampoline_kernelINS0_14default_configENS1_25transform_config_selectorIaLb0EEEZNS1_14transform_implILb0ES3_S5_NS0_18transform_iteratorINS0_17counting_iteratorImlEEZNS1_24adjacent_difference_implIS3_Lb1ELb0EPaSB_N6thrust23THRUST_200600_302600_NS5minusIaEEEE10hipError_tPvRmT2_T3_mT4_P12ihipStream_tbEUlmE_aEESB_NS0_8identityIvEEEESG_SJ_SK_mSL_SN_bEUlT_E_NS1_11comp_targetILNS1_3genE4ELNS1_11target_archE910ELNS1_3gpuE8ELNS1_3repE0EEENS1_30default_config_static_selectorELNS0_4arch9wavefront6targetE1EEEvT1_
    .private_segment_fixed_size: 0
    .sgpr_count:     50
    .sgpr_spill_count: 0
    .symbol:         _ZN7rocprim17ROCPRIM_400000_NS6detail17trampoline_kernelINS0_14default_configENS1_25transform_config_selectorIaLb0EEEZNS1_14transform_implILb0ES3_S5_NS0_18transform_iteratorINS0_17counting_iteratorImlEEZNS1_24adjacent_difference_implIS3_Lb1ELb0EPaSB_N6thrust23THRUST_200600_302600_NS5minusIaEEEE10hipError_tPvRmT2_T3_mT4_P12ihipStream_tbEUlmE_aEESB_NS0_8identityIvEEEESG_SJ_SK_mSL_SN_bEUlT_E_NS1_11comp_targetILNS1_3genE4ELNS1_11target_archE910ELNS1_3gpuE8ELNS1_3repE0EEENS1_30default_config_static_selectorELNS0_4arch9wavefront6targetE1EEEvT1_.kd
    .uniform_work_group_size: 1
    .uses_dynamic_stack: false
    .vgpr_count:     20
    .vgpr_spill_count: 0
    .wavefront_size: 64
  - .agpr_count:     0
    .args:
      - .offset:         0
        .size:           56
        .value_kind:     by_value
    .group_segment_fixed_size: 0
    .kernarg_segment_align: 8
    .kernarg_segment_size: 56
    .language:       OpenCL C
    .language_version:
      - 2
      - 0
    .max_flat_workgroup_size: 128
    .name:           _ZN7rocprim17ROCPRIM_400000_NS6detail17trampoline_kernelINS0_14default_configENS1_25transform_config_selectorIaLb0EEEZNS1_14transform_implILb0ES3_S5_NS0_18transform_iteratorINS0_17counting_iteratorImlEEZNS1_24adjacent_difference_implIS3_Lb1ELb0EPaSB_N6thrust23THRUST_200600_302600_NS5minusIaEEEE10hipError_tPvRmT2_T3_mT4_P12ihipStream_tbEUlmE_aEESB_NS0_8identityIvEEEESG_SJ_SK_mSL_SN_bEUlT_E_NS1_11comp_targetILNS1_3genE3ELNS1_11target_archE908ELNS1_3gpuE7ELNS1_3repE0EEENS1_30default_config_static_selectorELNS0_4arch9wavefront6targetE1EEEvT1_
    .private_segment_fixed_size: 0
    .sgpr_count:     4
    .sgpr_spill_count: 0
    .symbol:         _ZN7rocprim17ROCPRIM_400000_NS6detail17trampoline_kernelINS0_14default_configENS1_25transform_config_selectorIaLb0EEEZNS1_14transform_implILb0ES3_S5_NS0_18transform_iteratorINS0_17counting_iteratorImlEEZNS1_24adjacent_difference_implIS3_Lb1ELb0EPaSB_N6thrust23THRUST_200600_302600_NS5minusIaEEEE10hipError_tPvRmT2_T3_mT4_P12ihipStream_tbEUlmE_aEESB_NS0_8identityIvEEEESG_SJ_SK_mSL_SN_bEUlT_E_NS1_11comp_targetILNS1_3genE3ELNS1_11target_archE908ELNS1_3gpuE7ELNS1_3repE0EEENS1_30default_config_static_selectorELNS0_4arch9wavefront6targetE1EEEvT1_.kd
    .uniform_work_group_size: 1
    .uses_dynamic_stack: false
    .vgpr_count:     0
    .vgpr_spill_count: 0
    .wavefront_size: 64
  - .agpr_count:     0
    .args:
      - .offset:         0
        .size:           56
        .value_kind:     by_value
    .group_segment_fixed_size: 0
    .kernarg_segment_align: 8
    .kernarg_segment_size: 56
    .language:       OpenCL C
    .language_version:
      - 2
      - 0
    .max_flat_workgroup_size: 64
    .name:           _ZN7rocprim17ROCPRIM_400000_NS6detail17trampoline_kernelINS0_14default_configENS1_25transform_config_selectorIaLb0EEEZNS1_14transform_implILb0ES3_S5_NS0_18transform_iteratorINS0_17counting_iteratorImlEEZNS1_24adjacent_difference_implIS3_Lb1ELb0EPaSB_N6thrust23THRUST_200600_302600_NS5minusIaEEEE10hipError_tPvRmT2_T3_mT4_P12ihipStream_tbEUlmE_aEESB_NS0_8identityIvEEEESG_SJ_SK_mSL_SN_bEUlT_E_NS1_11comp_targetILNS1_3genE2ELNS1_11target_archE906ELNS1_3gpuE6ELNS1_3repE0EEENS1_30default_config_static_selectorELNS0_4arch9wavefront6targetE1EEEvT1_
    .private_segment_fixed_size: 0
    .sgpr_count:     4
    .sgpr_spill_count: 0
    .symbol:         _ZN7rocprim17ROCPRIM_400000_NS6detail17trampoline_kernelINS0_14default_configENS1_25transform_config_selectorIaLb0EEEZNS1_14transform_implILb0ES3_S5_NS0_18transform_iteratorINS0_17counting_iteratorImlEEZNS1_24adjacent_difference_implIS3_Lb1ELb0EPaSB_N6thrust23THRUST_200600_302600_NS5minusIaEEEE10hipError_tPvRmT2_T3_mT4_P12ihipStream_tbEUlmE_aEESB_NS0_8identityIvEEEESG_SJ_SK_mSL_SN_bEUlT_E_NS1_11comp_targetILNS1_3genE2ELNS1_11target_archE906ELNS1_3gpuE6ELNS1_3repE0EEENS1_30default_config_static_selectorELNS0_4arch9wavefront6targetE1EEEvT1_.kd
    .uniform_work_group_size: 1
    .uses_dynamic_stack: false
    .vgpr_count:     0
    .vgpr_spill_count: 0
    .wavefront_size: 64
  - .agpr_count:     0
    .args:
      - .offset:         0
        .size:           56
        .value_kind:     by_value
    .group_segment_fixed_size: 0
    .kernarg_segment_align: 8
    .kernarg_segment_size: 56
    .language:       OpenCL C
    .language_version:
      - 2
      - 0
    .max_flat_workgroup_size: 256
    .name:           _ZN7rocprim17ROCPRIM_400000_NS6detail17trampoline_kernelINS0_14default_configENS1_25transform_config_selectorIaLb0EEEZNS1_14transform_implILb0ES3_S5_NS0_18transform_iteratorINS0_17counting_iteratorImlEEZNS1_24adjacent_difference_implIS3_Lb1ELb0EPaSB_N6thrust23THRUST_200600_302600_NS5minusIaEEEE10hipError_tPvRmT2_T3_mT4_P12ihipStream_tbEUlmE_aEESB_NS0_8identityIvEEEESG_SJ_SK_mSL_SN_bEUlT_E_NS1_11comp_targetILNS1_3genE10ELNS1_11target_archE1201ELNS1_3gpuE5ELNS1_3repE0EEENS1_30default_config_static_selectorELNS0_4arch9wavefront6targetE1EEEvT1_
    .private_segment_fixed_size: 0
    .sgpr_count:     4
    .sgpr_spill_count: 0
    .symbol:         _ZN7rocprim17ROCPRIM_400000_NS6detail17trampoline_kernelINS0_14default_configENS1_25transform_config_selectorIaLb0EEEZNS1_14transform_implILb0ES3_S5_NS0_18transform_iteratorINS0_17counting_iteratorImlEEZNS1_24adjacent_difference_implIS3_Lb1ELb0EPaSB_N6thrust23THRUST_200600_302600_NS5minusIaEEEE10hipError_tPvRmT2_T3_mT4_P12ihipStream_tbEUlmE_aEESB_NS0_8identityIvEEEESG_SJ_SK_mSL_SN_bEUlT_E_NS1_11comp_targetILNS1_3genE10ELNS1_11target_archE1201ELNS1_3gpuE5ELNS1_3repE0EEENS1_30default_config_static_selectorELNS0_4arch9wavefront6targetE1EEEvT1_.kd
    .uniform_work_group_size: 1
    .uses_dynamic_stack: false
    .vgpr_count:     0
    .vgpr_spill_count: 0
    .wavefront_size: 64
  - .agpr_count:     0
    .args:
      - .offset:         0
        .size:           56
        .value_kind:     by_value
    .group_segment_fixed_size: 0
    .kernarg_segment_align: 8
    .kernarg_segment_size: 56
    .language:       OpenCL C
    .language_version:
      - 2
      - 0
    .max_flat_workgroup_size: 256
    .name:           _ZN7rocprim17ROCPRIM_400000_NS6detail17trampoline_kernelINS0_14default_configENS1_25transform_config_selectorIaLb0EEEZNS1_14transform_implILb0ES3_S5_NS0_18transform_iteratorINS0_17counting_iteratorImlEEZNS1_24adjacent_difference_implIS3_Lb1ELb0EPaSB_N6thrust23THRUST_200600_302600_NS5minusIaEEEE10hipError_tPvRmT2_T3_mT4_P12ihipStream_tbEUlmE_aEESB_NS0_8identityIvEEEESG_SJ_SK_mSL_SN_bEUlT_E_NS1_11comp_targetILNS1_3genE10ELNS1_11target_archE1200ELNS1_3gpuE4ELNS1_3repE0EEENS1_30default_config_static_selectorELNS0_4arch9wavefront6targetE1EEEvT1_
    .private_segment_fixed_size: 0
    .sgpr_count:     4
    .sgpr_spill_count: 0
    .symbol:         _ZN7rocprim17ROCPRIM_400000_NS6detail17trampoline_kernelINS0_14default_configENS1_25transform_config_selectorIaLb0EEEZNS1_14transform_implILb0ES3_S5_NS0_18transform_iteratorINS0_17counting_iteratorImlEEZNS1_24adjacent_difference_implIS3_Lb1ELb0EPaSB_N6thrust23THRUST_200600_302600_NS5minusIaEEEE10hipError_tPvRmT2_T3_mT4_P12ihipStream_tbEUlmE_aEESB_NS0_8identityIvEEEESG_SJ_SK_mSL_SN_bEUlT_E_NS1_11comp_targetILNS1_3genE10ELNS1_11target_archE1200ELNS1_3gpuE4ELNS1_3repE0EEENS1_30default_config_static_selectorELNS0_4arch9wavefront6targetE1EEEvT1_.kd
    .uniform_work_group_size: 1
    .uses_dynamic_stack: false
    .vgpr_count:     0
    .vgpr_spill_count: 0
    .wavefront_size: 64
  - .agpr_count:     0
    .args:
      - .offset:         0
        .size:           56
        .value_kind:     by_value
    .group_segment_fixed_size: 0
    .kernarg_segment_align: 8
    .kernarg_segment_size: 56
    .language:       OpenCL C
    .language_version:
      - 2
      - 0
    .max_flat_workgroup_size: 1024
    .name:           _ZN7rocprim17ROCPRIM_400000_NS6detail17trampoline_kernelINS0_14default_configENS1_25transform_config_selectorIaLb0EEEZNS1_14transform_implILb0ES3_S5_NS0_18transform_iteratorINS0_17counting_iteratorImlEEZNS1_24adjacent_difference_implIS3_Lb1ELb0EPaSB_N6thrust23THRUST_200600_302600_NS5minusIaEEEE10hipError_tPvRmT2_T3_mT4_P12ihipStream_tbEUlmE_aEESB_NS0_8identityIvEEEESG_SJ_SK_mSL_SN_bEUlT_E_NS1_11comp_targetILNS1_3genE9ELNS1_11target_archE1100ELNS1_3gpuE3ELNS1_3repE0EEENS1_30default_config_static_selectorELNS0_4arch9wavefront6targetE1EEEvT1_
    .private_segment_fixed_size: 0
    .sgpr_count:     4
    .sgpr_spill_count: 0
    .symbol:         _ZN7rocprim17ROCPRIM_400000_NS6detail17trampoline_kernelINS0_14default_configENS1_25transform_config_selectorIaLb0EEEZNS1_14transform_implILb0ES3_S5_NS0_18transform_iteratorINS0_17counting_iteratorImlEEZNS1_24adjacent_difference_implIS3_Lb1ELb0EPaSB_N6thrust23THRUST_200600_302600_NS5minusIaEEEE10hipError_tPvRmT2_T3_mT4_P12ihipStream_tbEUlmE_aEESB_NS0_8identityIvEEEESG_SJ_SK_mSL_SN_bEUlT_E_NS1_11comp_targetILNS1_3genE9ELNS1_11target_archE1100ELNS1_3gpuE3ELNS1_3repE0EEENS1_30default_config_static_selectorELNS0_4arch9wavefront6targetE1EEEvT1_.kd
    .uniform_work_group_size: 1
    .uses_dynamic_stack: false
    .vgpr_count:     0
    .vgpr_spill_count: 0
    .wavefront_size: 64
  - .agpr_count:     0
    .args:
      - .offset:         0
        .size:           56
        .value_kind:     by_value
    .group_segment_fixed_size: 0
    .kernarg_segment_align: 8
    .kernarg_segment_size: 56
    .language:       OpenCL C
    .language_version:
      - 2
      - 0
    .max_flat_workgroup_size: 128
    .name:           _ZN7rocprim17ROCPRIM_400000_NS6detail17trampoline_kernelINS0_14default_configENS1_25transform_config_selectorIaLb0EEEZNS1_14transform_implILb0ES3_S5_NS0_18transform_iteratorINS0_17counting_iteratorImlEEZNS1_24adjacent_difference_implIS3_Lb1ELb0EPaSB_N6thrust23THRUST_200600_302600_NS5minusIaEEEE10hipError_tPvRmT2_T3_mT4_P12ihipStream_tbEUlmE_aEESB_NS0_8identityIvEEEESG_SJ_SK_mSL_SN_bEUlT_E_NS1_11comp_targetILNS1_3genE8ELNS1_11target_archE1030ELNS1_3gpuE2ELNS1_3repE0EEENS1_30default_config_static_selectorELNS0_4arch9wavefront6targetE1EEEvT1_
    .private_segment_fixed_size: 0
    .sgpr_count:     4
    .sgpr_spill_count: 0
    .symbol:         _ZN7rocprim17ROCPRIM_400000_NS6detail17trampoline_kernelINS0_14default_configENS1_25transform_config_selectorIaLb0EEEZNS1_14transform_implILb0ES3_S5_NS0_18transform_iteratorINS0_17counting_iteratorImlEEZNS1_24adjacent_difference_implIS3_Lb1ELb0EPaSB_N6thrust23THRUST_200600_302600_NS5minusIaEEEE10hipError_tPvRmT2_T3_mT4_P12ihipStream_tbEUlmE_aEESB_NS0_8identityIvEEEESG_SJ_SK_mSL_SN_bEUlT_E_NS1_11comp_targetILNS1_3genE8ELNS1_11target_archE1030ELNS1_3gpuE2ELNS1_3repE0EEENS1_30default_config_static_selectorELNS0_4arch9wavefront6targetE1EEEvT1_.kd
    .uniform_work_group_size: 1
    .uses_dynamic_stack: false
    .vgpr_count:     0
    .vgpr_spill_count: 0
    .wavefront_size: 64
  - .agpr_count:     0
    .args:
      - .offset:         0
        .size:           56
        .value_kind:     by_value
    .group_segment_fixed_size: 0
    .kernarg_segment_align: 8
    .kernarg_segment_size: 56
    .language:       OpenCL C
    .language_version:
      - 2
      - 0
    .max_flat_workgroup_size: 64
    .name:           _ZN7rocprim17ROCPRIM_400000_NS6detail17trampoline_kernelINS0_14default_configENS1_35adjacent_difference_config_selectorILb1EaEEZNS1_24adjacent_difference_implIS3_Lb1ELb0EPaS7_N6thrust23THRUST_200600_302600_NS5minusIaEEEE10hipError_tPvRmT2_T3_mT4_P12ihipStream_tbEUlT_E_NS1_11comp_targetILNS1_3genE0ELNS1_11target_archE4294967295ELNS1_3gpuE0ELNS1_3repE0EEENS1_30default_config_static_selectorELNS0_4arch9wavefront6targetE1EEEvT1_
    .private_segment_fixed_size: 0
    .sgpr_count:     4
    .sgpr_spill_count: 0
    .symbol:         _ZN7rocprim17ROCPRIM_400000_NS6detail17trampoline_kernelINS0_14default_configENS1_35adjacent_difference_config_selectorILb1EaEEZNS1_24adjacent_difference_implIS3_Lb1ELb0EPaS7_N6thrust23THRUST_200600_302600_NS5minusIaEEEE10hipError_tPvRmT2_T3_mT4_P12ihipStream_tbEUlT_E_NS1_11comp_targetILNS1_3genE0ELNS1_11target_archE4294967295ELNS1_3gpuE0ELNS1_3repE0EEENS1_30default_config_static_selectorELNS0_4arch9wavefront6targetE1EEEvT1_.kd
    .uniform_work_group_size: 1
    .uses_dynamic_stack: false
    .vgpr_count:     0
    .vgpr_spill_count: 0
    .wavefront_size: 64
  - .agpr_count:     0
    .args:
      - .offset:         0
        .size:           56
        .value_kind:     by_value
    .group_segment_fixed_size: 0
    .kernarg_segment_align: 8
    .kernarg_segment_size: 56
    .language:       OpenCL C
    .language_version:
      - 2
      - 0
    .max_flat_workgroup_size: 128
    .name:           _ZN7rocprim17ROCPRIM_400000_NS6detail17trampoline_kernelINS0_14default_configENS1_35adjacent_difference_config_selectorILb1EaEEZNS1_24adjacent_difference_implIS3_Lb1ELb0EPaS7_N6thrust23THRUST_200600_302600_NS5minusIaEEEE10hipError_tPvRmT2_T3_mT4_P12ihipStream_tbEUlT_E_NS1_11comp_targetILNS1_3genE10ELNS1_11target_archE1201ELNS1_3gpuE5ELNS1_3repE0EEENS1_30default_config_static_selectorELNS0_4arch9wavefront6targetE1EEEvT1_
    .private_segment_fixed_size: 0
    .sgpr_count:     4
    .sgpr_spill_count: 0
    .symbol:         _ZN7rocprim17ROCPRIM_400000_NS6detail17trampoline_kernelINS0_14default_configENS1_35adjacent_difference_config_selectorILb1EaEEZNS1_24adjacent_difference_implIS3_Lb1ELb0EPaS7_N6thrust23THRUST_200600_302600_NS5minusIaEEEE10hipError_tPvRmT2_T3_mT4_P12ihipStream_tbEUlT_E_NS1_11comp_targetILNS1_3genE10ELNS1_11target_archE1201ELNS1_3gpuE5ELNS1_3repE0EEENS1_30default_config_static_selectorELNS0_4arch9wavefront6targetE1EEEvT1_.kd
    .uniform_work_group_size: 1
    .uses_dynamic_stack: false
    .vgpr_count:     0
    .vgpr_spill_count: 0
    .wavefront_size: 64
  - .agpr_count:     0
    .args:
      - .offset:         0
        .size:           56
        .value_kind:     by_value
    .group_segment_fixed_size: 0
    .kernarg_segment_align: 8
    .kernarg_segment_size: 56
    .language:       OpenCL C
    .language_version:
      - 2
      - 0
    .max_flat_workgroup_size: 128
    .name:           _ZN7rocprim17ROCPRIM_400000_NS6detail17trampoline_kernelINS0_14default_configENS1_35adjacent_difference_config_selectorILb1EaEEZNS1_24adjacent_difference_implIS3_Lb1ELb0EPaS7_N6thrust23THRUST_200600_302600_NS5minusIaEEEE10hipError_tPvRmT2_T3_mT4_P12ihipStream_tbEUlT_E_NS1_11comp_targetILNS1_3genE5ELNS1_11target_archE942ELNS1_3gpuE9ELNS1_3repE0EEENS1_30default_config_static_selectorELNS0_4arch9wavefront6targetE1EEEvT1_
    .private_segment_fixed_size: 0
    .sgpr_count:     4
    .sgpr_spill_count: 0
    .symbol:         _ZN7rocprim17ROCPRIM_400000_NS6detail17trampoline_kernelINS0_14default_configENS1_35adjacent_difference_config_selectorILb1EaEEZNS1_24adjacent_difference_implIS3_Lb1ELb0EPaS7_N6thrust23THRUST_200600_302600_NS5minusIaEEEE10hipError_tPvRmT2_T3_mT4_P12ihipStream_tbEUlT_E_NS1_11comp_targetILNS1_3genE5ELNS1_11target_archE942ELNS1_3gpuE9ELNS1_3repE0EEENS1_30default_config_static_selectorELNS0_4arch9wavefront6targetE1EEEvT1_.kd
    .uniform_work_group_size: 1
    .uses_dynamic_stack: false
    .vgpr_count:     0
    .vgpr_spill_count: 0
    .wavefront_size: 64
  - .agpr_count:     0
    .args:
      - .offset:         0
        .size:           56
        .value_kind:     by_value
    .group_segment_fixed_size: 2432
    .kernarg_segment_align: 8
    .kernarg_segment_size: 56
    .language:       OpenCL C
    .language_version:
      - 2
      - 0
    .max_flat_workgroup_size: 128
    .name:           _ZN7rocprim17ROCPRIM_400000_NS6detail17trampoline_kernelINS0_14default_configENS1_35adjacent_difference_config_selectorILb1EaEEZNS1_24adjacent_difference_implIS3_Lb1ELb0EPaS7_N6thrust23THRUST_200600_302600_NS5minusIaEEEE10hipError_tPvRmT2_T3_mT4_P12ihipStream_tbEUlT_E_NS1_11comp_targetILNS1_3genE4ELNS1_11target_archE910ELNS1_3gpuE8ELNS1_3repE0EEENS1_30default_config_static_selectorELNS0_4arch9wavefront6targetE1EEEvT1_
    .private_segment_fixed_size: 0
    .sgpr_count:     31
    .sgpr_spill_count: 0
    .symbol:         _ZN7rocprim17ROCPRIM_400000_NS6detail17trampoline_kernelINS0_14default_configENS1_35adjacent_difference_config_selectorILb1EaEEZNS1_24adjacent_difference_implIS3_Lb1ELb0EPaS7_N6thrust23THRUST_200600_302600_NS5minusIaEEEE10hipError_tPvRmT2_T3_mT4_P12ihipStream_tbEUlT_E_NS1_11comp_targetILNS1_3genE4ELNS1_11target_archE910ELNS1_3gpuE8ELNS1_3repE0EEENS1_30default_config_static_selectorELNS0_4arch9wavefront6targetE1EEEvT1_.kd
    .uniform_work_group_size: 1
    .uses_dynamic_stack: false
    .vgpr_count:     34
    .vgpr_spill_count: 0
    .wavefront_size: 64
  - .agpr_count:     0
    .args:
      - .offset:         0
        .size:           56
        .value_kind:     by_value
    .group_segment_fixed_size: 0
    .kernarg_segment_align: 8
    .kernarg_segment_size: 56
    .language:       OpenCL C
    .language_version:
      - 2
      - 0
    .max_flat_workgroup_size: 64
    .name:           _ZN7rocprim17ROCPRIM_400000_NS6detail17trampoline_kernelINS0_14default_configENS1_35adjacent_difference_config_selectorILb1EaEEZNS1_24adjacent_difference_implIS3_Lb1ELb0EPaS7_N6thrust23THRUST_200600_302600_NS5minusIaEEEE10hipError_tPvRmT2_T3_mT4_P12ihipStream_tbEUlT_E_NS1_11comp_targetILNS1_3genE3ELNS1_11target_archE908ELNS1_3gpuE7ELNS1_3repE0EEENS1_30default_config_static_selectorELNS0_4arch9wavefront6targetE1EEEvT1_
    .private_segment_fixed_size: 0
    .sgpr_count:     4
    .sgpr_spill_count: 0
    .symbol:         _ZN7rocprim17ROCPRIM_400000_NS6detail17trampoline_kernelINS0_14default_configENS1_35adjacent_difference_config_selectorILb1EaEEZNS1_24adjacent_difference_implIS3_Lb1ELb0EPaS7_N6thrust23THRUST_200600_302600_NS5minusIaEEEE10hipError_tPvRmT2_T3_mT4_P12ihipStream_tbEUlT_E_NS1_11comp_targetILNS1_3genE3ELNS1_11target_archE908ELNS1_3gpuE7ELNS1_3repE0EEENS1_30default_config_static_selectorELNS0_4arch9wavefront6targetE1EEEvT1_.kd
    .uniform_work_group_size: 1
    .uses_dynamic_stack: false
    .vgpr_count:     0
    .vgpr_spill_count: 0
    .wavefront_size: 64
  - .agpr_count:     0
    .args:
      - .offset:         0
        .size:           56
        .value_kind:     by_value
    .group_segment_fixed_size: 0
    .kernarg_segment_align: 8
    .kernarg_segment_size: 56
    .language:       OpenCL C
    .language_version:
      - 2
      - 0
    .max_flat_workgroup_size: 64
    .name:           _ZN7rocprim17ROCPRIM_400000_NS6detail17trampoline_kernelINS0_14default_configENS1_35adjacent_difference_config_selectorILb1EaEEZNS1_24adjacent_difference_implIS3_Lb1ELb0EPaS7_N6thrust23THRUST_200600_302600_NS5minusIaEEEE10hipError_tPvRmT2_T3_mT4_P12ihipStream_tbEUlT_E_NS1_11comp_targetILNS1_3genE2ELNS1_11target_archE906ELNS1_3gpuE6ELNS1_3repE0EEENS1_30default_config_static_selectorELNS0_4arch9wavefront6targetE1EEEvT1_
    .private_segment_fixed_size: 0
    .sgpr_count:     4
    .sgpr_spill_count: 0
    .symbol:         _ZN7rocprim17ROCPRIM_400000_NS6detail17trampoline_kernelINS0_14default_configENS1_35adjacent_difference_config_selectorILb1EaEEZNS1_24adjacent_difference_implIS3_Lb1ELb0EPaS7_N6thrust23THRUST_200600_302600_NS5minusIaEEEE10hipError_tPvRmT2_T3_mT4_P12ihipStream_tbEUlT_E_NS1_11comp_targetILNS1_3genE2ELNS1_11target_archE906ELNS1_3gpuE6ELNS1_3repE0EEENS1_30default_config_static_selectorELNS0_4arch9wavefront6targetE1EEEvT1_.kd
    .uniform_work_group_size: 1
    .uses_dynamic_stack: false
    .vgpr_count:     0
    .vgpr_spill_count: 0
    .wavefront_size: 64
  - .agpr_count:     0
    .args:
      - .offset:         0
        .size:           56
        .value_kind:     by_value
    .group_segment_fixed_size: 0
    .kernarg_segment_align: 8
    .kernarg_segment_size: 56
    .language:       OpenCL C
    .language_version:
      - 2
      - 0
    .max_flat_workgroup_size: 512
    .name:           _ZN7rocprim17ROCPRIM_400000_NS6detail17trampoline_kernelINS0_14default_configENS1_35adjacent_difference_config_selectorILb1EaEEZNS1_24adjacent_difference_implIS3_Lb1ELb0EPaS7_N6thrust23THRUST_200600_302600_NS5minusIaEEEE10hipError_tPvRmT2_T3_mT4_P12ihipStream_tbEUlT_E_NS1_11comp_targetILNS1_3genE9ELNS1_11target_archE1100ELNS1_3gpuE3ELNS1_3repE0EEENS1_30default_config_static_selectorELNS0_4arch9wavefront6targetE1EEEvT1_
    .private_segment_fixed_size: 0
    .sgpr_count:     4
    .sgpr_spill_count: 0
    .symbol:         _ZN7rocprim17ROCPRIM_400000_NS6detail17trampoline_kernelINS0_14default_configENS1_35adjacent_difference_config_selectorILb1EaEEZNS1_24adjacent_difference_implIS3_Lb1ELb0EPaS7_N6thrust23THRUST_200600_302600_NS5minusIaEEEE10hipError_tPvRmT2_T3_mT4_P12ihipStream_tbEUlT_E_NS1_11comp_targetILNS1_3genE9ELNS1_11target_archE1100ELNS1_3gpuE3ELNS1_3repE0EEENS1_30default_config_static_selectorELNS0_4arch9wavefront6targetE1EEEvT1_.kd
    .uniform_work_group_size: 1
    .uses_dynamic_stack: false
    .vgpr_count:     0
    .vgpr_spill_count: 0
    .wavefront_size: 64
  - .agpr_count:     0
    .args:
      - .offset:         0
        .size:           56
        .value_kind:     by_value
    .group_segment_fixed_size: 0
    .kernarg_segment_align: 8
    .kernarg_segment_size: 56
    .language:       OpenCL C
    .language_version:
      - 2
      - 0
    .max_flat_workgroup_size: 1024
    .name:           _ZN7rocprim17ROCPRIM_400000_NS6detail17trampoline_kernelINS0_14default_configENS1_35adjacent_difference_config_selectorILb1EaEEZNS1_24adjacent_difference_implIS3_Lb1ELb0EPaS7_N6thrust23THRUST_200600_302600_NS5minusIaEEEE10hipError_tPvRmT2_T3_mT4_P12ihipStream_tbEUlT_E_NS1_11comp_targetILNS1_3genE8ELNS1_11target_archE1030ELNS1_3gpuE2ELNS1_3repE0EEENS1_30default_config_static_selectorELNS0_4arch9wavefront6targetE1EEEvT1_
    .private_segment_fixed_size: 0
    .sgpr_count:     4
    .sgpr_spill_count: 0
    .symbol:         _ZN7rocprim17ROCPRIM_400000_NS6detail17trampoline_kernelINS0_14default_configENS1_35adjacent_difference_config_selectorILb1EaEEZNS1_24adjacent_difference_implIS3_Lb1ELb0EPaS7_N6thrust23THRUST_200600_302600_NS5minusIaEEEE10hipError_tPvRmT2_T3_mT4_P12ihipStream_tbEUlT_E_NS1_11comp_targetILNS1_3genE8ELNS1_11target_archE1030ELNS1_3gpuE2ELNS1_3repE0EEENS1_30default_config_static_selectorELNS0_4arch9wavefront6targetE1EEEvT1_.kd
    .uniform_work_group_size: 1
    .uses_dynamic_stack: false
    .vgpr_count:     0
    .vgpr_spill_count: 0
    .wavefront_size: 64
  - .agpr_count:     0
    .args:
      - .offset:         0
        .size:           56
        .value_kind:     by_value
    .group_segment_fixed_size: 0
    .kernarg_segment_align: 8
    .kernarg_segment_size: 56
    .language:       OpenCL C
    .language_version:
      - 2
      - 0
    .max_flat_workgroup_size: 64
    .name:           _ZN7rocprim17ROCPRIM_400000_NS6detail17trampoline_kernelINS0_14default_configENS1_35adjacent_difference_config_selectorILb0EaEEZNS1_24adjacent_difference_implIS3_Lb0ELb0EPaS7_N6thrust23THRUST_200600_302600_NS4plusIaEEEE10hipError_tPvRmT2_T3_mT4_P12ihipStream_tbEUlT_E_NS1_11comp_targetILNS1_3genE0ELNS1_11target_archE4294967295ELNS1_3gpuE0ELNS1_3repE0EEENS1_30default_config_static_selectorELNS0_4arch9wavefront6targetE1EEEvT1_
    .private_segment_fixed_size: 0
    .sgpr_count:     4
    .sgpr_spill_count: 0
    .symbol:         _ZN7rocprim17ROCPRIM_400000_NS6detail17trampoline_kernelINS0_14default_configENS1_35adjacent_difference_config_selectorILb0EaEEZNS1_24adjacent_difference_implIS3_Lb0ELb0EPaS7_N6thrust23THRUST_200600_302600_NS4plusIaEEEE10hipError_tPvRmT2_T3_mT4_P12ihipStream_tbEUlT_E_NS1_11comp_targetILNS1_3genE0ELNS1_11target_archE4294967295ELNS1_3gpuE0ELNS1_3repE0EEENS1_30default_config_static_selectorELNS0_4arch9wavefront6targetE1EEEvT1_.kd
    .uniform_work_group_size: 1
    .uses_dynamic_stack: false
    .vgpr_count:     0
    .vgpr_spill_count: 0
    .wavefront_size: 64
  - .agpr_count:     0
    .args:
      - .offset:         0
        .size:           56
        .value_kind:     by_value
    .group_segment_fixed_size: 0
    .kernarg_segment_align: 8
    .kernarg_segment_size: 56
    .language:       OpenCL C
    .language_version:
      - 2
      - 0
    .max_flat_workgroup_size: 1024
    .name:           _ZN7rocprim17ROCPRIM_400000_NS6detail17trampoline_kernelINS0_14default_configENS1_35adjacent_difference_config_selectorILb0EaEEZNS1_24adjacent_difference_implIS3_Lb0ELb0EPaS7_N6thrust23THRUST_200600_302600_NS4plusIaEEEE10hipError_tPvRmT2_T3_mT4_P12ihipStream_tbEUlT_E_NS1_11comp_targetILNS1_3genE10ELNS1_11target_archE1201ELNS1_3gpuE5ELNS1_3repE0EEENS1_30default_config_static_selectorELNS0_4arch9wavefront6targetE1EEEvT1_
    .private_segment_fixed_size: 0
    .sgpr_count:     4
    .sgpr_spill_count: 0
    .symbol:         _ZN7rocprim17ROCPRIM_400000_NS6detail17trampoline_kernelINS0_14default_configENS1_35adjacent_difference_config_selectorILb0EaEEZNS1_24adjacent_difference_implIS3_Lb0ELb0EPaS7_N6thrust23THRUST_200600_302600_NS4plusIaEEEE10hipError_tPvRmT2_T3_mT4_P12ihipStream_tbEUlT_E_NS1_11comp_targetILNS1_3genE10ELNS1_11target_archE1201ELNS1_3gpuE5ELNS1_3repE0EEENS1_30default_config_static_selectorELNS0_4arch9wavefront6targetE1EEEvT1_.kd
    .uniform_work_group_size: 1
    .uses_dynamic_stack: false
    .vgpr_count:     0
    .vgpr_spill_count: 0
    .wavefront_size: 64
  - .agpr_count:     0
    .args:
      - .offset:         0
        .size:           56
        .value_kind:     by_value
    .group_segment_fixed_size: 0
    .kernarg_segment_align: 8
    .kernarg_segment_size: 56
    .language:       OpenCL C
    .language_version:
      - 2
      - 0
    .max_flat_workgroup_size: 128
    .name:           _ZN7rocprim17ROCPRIM_400000_NS6detail17trampoline_kernelINS0_14default_configENS1_35adjacent_difference_config_selectorILb0EaEEZNS1_24adjacent_difference_implIS3_Lb0ELb0EPaS7_N6thrust23THRUST_200600_302600_NS4plusIaEEEE10hipError_tPvRmT2_T3_mT4_P12ihipStream_tbEUlT_E_NS1_11comp_targetILNS1_3genE5ELNS1_11target_archE942ELNS1_3gpuE9ELNS1_3repE0EEENS1_30default_config_static_selectorELNS0_4arch9wavefront6targetE1EEEvT1_
    .private_segment_fixed_size: 0
    .sgpr_count:     4
    .sgpr_spill_count: 0
    .symbol:         _ZN7rocprim17ROCPRIM_400000_NS6detail17trampoline_kernelINS0_14default_configENS1_35adjacent_difference_config_selectorILb0EaEEZNS1_24adjacent_difference_implIS3_Lb0ELb0EPaS7_N6thrust23THRUST_200600_302600_NS4plusIaEEEE10hipError_tPvRmT2_T3_mT4_P12ihipStream_tbEUlT_E_NS1_11comp_targetILNS1_3genE5ELNS1_11target_archE942ELNS1_3gpuE9ELNS1_3repE0EEENS1_30default_config_static_selectorELNS0_4arch9wavefront6targetE1EEEvT1_.kd
    .uniform_work_group_size: 1
    .uses_dynamic_stack: false
    .vgpr_count:     0
    .vgpr_spill_count: 0
    .wavefront_size: 64
  - .agpr_count:     0
    .args:
      - .offset:         0
        .size:           56
        .value_kind:     by_value
    .group_segment_fixed_size: 1216
    .kernarg_segment_align: 8
    .kernarg_segment_size: 56
    .language:       OpenCL C
    .language_version:
      - 2
      - 0
    .max_flat_workgroup_size: 64
    .name:           _ZN7rocprim17ROCPRIM_400000_NS6detail17trampoline_kernelINS0_14default_configENS1_35adjacent_difference_config_selectorILb0EaEEZNS1_24adjacent_difference_implIS3_Lb0ELb0EPaS7_N6thrust23THRUST_200600_302600_NS4plusIaEEEE10hipError_tPvRmT2_T3_mT4_P12ihipStream_tbEUlT_E_NS1_11comp_targetILNS1_3genE4ELNS1_11target_archE910ELNS1_3gpuE8ELNS1_3repE0EEENS1_30default_config_static_selectorELNS0_4arch9wavefront6targetE1EEEvT1_
    .private_segment_fixed_size: 0
    .sgpr_count:     52
    .sgpr_spill_count: 0
    .symbol:         _ZN7rocprim17ROCPRIM_400000_NS6detail17trampoline_kernelINS0_14default_configENS1_35adjacent_difference_config_selectorILb0EaEEZNS1_24adjacent_difference_implIS3_Lb0ELb0EPaS7_N6thrust23THRUST_200600_302600_NS4plusIaEEEE10hipError_tPvRmT2_T3_mT4_P12ihipStream_tbEUlT_E_NS1_11comp_targetILNS1_3genE4ELNS1_11target_archE910ELNS1_3gpuE8ELNS1_3repE0EEENS1_30default_config_static_selectorELNS0_4arch9wavefront6targetE1EEEvT1_.kd
    .uniform_work_group_size: 1
    .uses_dynamic_stack: false
    .vgpr_count:     42
    .vgpr_spill_count: 0
    .wavefront_size: 64
  - .agpr_count:     0
    .args:
      - .offset:         0
        .size:           56
        .value_kind:     by_value
    .group_segment_fixed_size: 0
    .kernarg_segment_align: 8
    .kernarg_segment_size: 56
    .language:       OpenCL C
    .language_version:
      - 2
      - 0
    .max_flat_workgroup_size: 64
    .name:           _ZN7rocprim17ROCPRIM_400000_NS6detail17trampoline_kernelINS0_14default_configENS1_35adjacent_difference_config_selectorILb0EaEEZNS1_24adjacent_difference_implIS3_Lb0ELb0EPaS7_N6thrust23THRUST_200600_302600_NS4plusIaEEEE10hipError_tPvRmT2_T3_mT4_P12ihipStream_tbEUlT_E_NS1_11comp_targetILNS1_3genE3ELNS1_11target_archE908ELNS1_3gpuE7ELNS1_3repE0EEENS1_30default_config_static_selectorELNS0_4arch9wavefront6targetE1EEEvT1_
    .private_segment_fixed_size: 0
    .sgpr_count:     4
    .sgpr_spill_count: 0
    .symbol:         _ZN7rocprim17ROCPRIM_400000_NS6detail17trampoline_kernelINS0_14default_configENS1_35adjacent_difference_config_selectorILb0EaEEZNS1_24adjacent_difference_implIS3_Lb0ELb0EPaS7_N6thrust23THRUST_200600_302600_NS4plusIaEEEE10hipError_tPvRmT2_T3_mT4_P12ihipStream_tbEUlT_E_NS1_11comp_targetILNS1_3genE3ELNS1_11target_archE908ELNS1_3gpuE7ELNS1_3repE0EEENS1_30default_config_static_selectorELNS0_4arch9wavefront6targetE1EEEvT1_.kd
    .uniform_work_group_size: 1
    .uses_dynamic_stack: false
    .vgpr_count:     0
    .vgpr_spill_count: 0
    .wavefront_size: 64
  - .agpr_count:     0
    .args:
      - .offset:         0
        .size:           56
        .value_kind:     by_value
    .group_segment_fixed_size: 0
    .kernarg_segment_align: 8
    .kernarg_segment_size: 56
    .language:       OpenCL C
    .language_version:
      - 2
      - 0
    .max_flat_workgroup_size: 64
    .name:           _ZN7rocprim17ROCPRIM_400000_NS6detail17trampoline_kernelINS0_14default_configENS1_35adjacent_difference_config_selectorILb0EaEEZNS1_24adjacent_difference_implIS3_Lb0ELb0EPaS7_N6thrust23THRUST_200600_302600_NS4plusIaEEEE10hipError_tPvRmT2_T3_mT4_P12ihipStream_tbEUlT_E_NS1_11comp_targetILNS1_3genE2ELNS1_11target_archE906ELNS1_3gpuE6ELNS1_3repE0EEENS1_30default_config_static_selectorELNS0_4arch9wavefront6targetE1EEEvT1_
    .private_segment_fixed_size: 0
    .sgpr_count:     4
    .sgpr_spill_count: 0
    .symbol:         _ZN7rocprim17ROCPRIM_400000_NS6detail17trampoline_kernelINS0_14default_configENS1_35adjacent_difference_config_selectorILb0EaEEZNS1_24adjacent_difference_implIS3_Lb0ELb0EPaS7_N6thrust23THRUST_200600_302600_NS4plusIaEEEE10hipError_tPvRmT2_T3_mT4_P12ihipStream_tbEUlT_E_NS1_11comp_targetILNS1_3genE2ELNS1_11target_archE906ELNS1_3gpuE6ELNS1_3repE0EEENS1_30default_config_static_selectorELNS0_4arch9wavefront6targetE1EEEvT1_.kd
    .uniform_work_group_size: 1
    .uses_dynamic_stack: false
    .vgpr_count:     0
    .vgpr_spill_count: 0
    .wavefront_size: 64
  - .agpr_count:     0
    .args:
      - .offset:         0
        .size:           56
        .value_kind:     by_value
    .group_segment_fixed_size: 0
    .kernarg_segment_align: 8
    .kernarg_segment_size: 56
    .language:       OpenCL C
    .language_version:
      - 2
      - 0
    .max_flat_workgroup_size: 64
    .name:           _ZN7rocprim17ROCPRIM_400000_NS6detail17trampoline_kernelINS0_14default_configENS1_35adjacent_difference_config_selectorILb0EaEEZNS1_24adjacent_difference_implIS3_Lb0ELb0EPaS7_N6thrust23THRUST_200600_302600_NS4plusIaEEEE10hipError_tPvRmT2_T3_mT4_P12ihipStream_tbEUlT_E_NS1_11comp_targetILNS1_3genE9ELNS1_11target_archE1100ELNS1_3gpuE3ELNS1_3repE0EEENS1_30default_config_static_selectorELNS0_4arch9wavefront6targetE1EEEvT1_
    .private_segment_fixed_size: 0
    .sgpr_count:     4
    .sgpr_spill_count: 0
    .symbol:         _ZN7rocprim17ROCPRIM_400000_NS6detail17trampoline_kernelINS0_14default_configENS1_35adjacent_difference_config_selectorILb0EaEEZNS1_24adjacent_difference_implIS3_Lb0ELb0EPaS7_N6thrust23THRUST_200600_302600_NS4plusIaEEEE10hipError_tPvRmT2_T3_mT4_P12ihipStream_tbEUlT_E_NS1_11comp_targetILNS1_3genE9ELNS1_11target_archE1100ELNS1_3gpuE3ELNS1_3repE0EEENS1_30default_config_static_selectorELNS0_4arch9wavefront6targetE1EEEvT1_.kd
    .uniform_work_group_size: 1
    .uses_dynamic_stack: false
    .vgpr_count:     0
    .vgpr_spill_count: 0
    .wavefront_size: 64
  - .agpr_count:     0
    .args:
      - .offset:         0
        .size:           56
        .value_kind:     by_value
    .group_segment_fixed_size: 0
    .kernarg_segment_align: 8
    .kernarg_segment_size: 56
    .language:       OpenCL C
    .language_version:
      - 2
      - 0
    .max_flat_workgroup_size: 64
    .name:           _ZN7rocprim17ROCPRIM_400000_NS6detail17trampoline_kernelINS0_14default_configENS1_35adjacent_difference_config_selectorILb0EaEEZNS1_24adjacent_difference_implIS3_Lb0ELb0EPaS7_N6thrust23THRUST_200600_302600_NS4plusIaEEEE10hipError_tPvRmT2_T3_mT4_P12ihipStream_tbEUlT_E_NS1_11comp_targetILNS1_3genE8ELNS1_11target_archE1030ELNS1_3gpuE2ELNS1_3repE0EEENS1_30default_config_static_selectorELNS0_4arch9wavefront6targetE1EEEvT1_
    .private_segment_fixed_size: 0
    .sgpr_count:     4
    .sgpr_spill_count: 0
    .symbol:         _ZN7rocprim17ROCPRIM_400000_NS6detail17trampoline_kernelINS0_14default_configENS1_35adjacent_difference_config_selectorILb0EaEEZNS1_24adjacent_difference_implIS3_Lb0ELb0EPaS7_N6thrust23THRUST_200600_302600_NS4plusIaEEEE10hipError_tPvRmT2_T3_mT4_P12ihipStream_tbEUlT_E_NS1_11comp_targetILNS1_3genE8ELNS1_11target_archE1030ELNS1_3gpuE2ELNS1_3repE0EEENS1_30default_config_static_selectorELNS0_4arch9wavefront6targetE1EEEvT1_.kd
    .uniform_work_group_size: 1
    .uses_dynamic_stack: false
    .vgpr_count:     0
    .vgpr_spill_count: 0
    .wavefront_size: 64
  - .agpr_count:     0
    .args:
      - .offset:         0
        .size:           56
        .value_kind:     by_value
    .group_segment_fixed_size: 0
    .kernarg_segment_align: 8
    .kernarg_segment_size: 56
    .language:       OpenCL C
    .language_version:
      - 2
      - 0
    .max_flat_workgroup_size: 128
    .name:           _ZN7rocprim17ROCPRIM_400000_NS6detail17trampoline_kernelINS0_14default_configENS1_25transform_config_selectorIaLb0EEEZNS1_14transform_implILb0ES3_S5_NS0_18transform_iteratorINS0_17counting_iteratorImlEEZNS1_24adjacent_difference_implIS3_Lb1ELb0EPaSB_N6thrust23THRUST_200600_302600_NS4plusIaEEEE10hipError_tPvRmT2_T3_mT4_P12ihipStream_tbEUlmE_aEESB_NS0_8identityIvEEEESG_SJ_SK_mSL_SN_bEUlT_E_NS1_11comp_targetILNS1_3genE0ELNS1_11target_archE4294967295ELNS1_3gpuE0ELNS1_3repE0EEENS1_30default_config_static_selectorELNS0_4arch9wavefront6targetE1EEEvT1_
    .private_segment_fixed_size: 0
    .sgpr_count:     4
    .sgpr_spill_count: 0
    .symbol:         _ZN7rocprim17ROCPRIM_400000_NS6detail17trampoline_kernelINS0_14default_configENS1_25transform_config_selectorIaLb0EEEZNS1_14transform_implILb0ES3_S5_NS0_18transform_iteratorINS0_17counting_iteratorImlEEZNS1_24adjacent_difference_implIS3_Lb1ELb0EPaSB_N6thrust23THRUST_200600_302600_NS4plusIaEEEE10hipError_tPvRmT2_T3_mT4_P12ihipStream_tbEUlmE_aEESB_NS0_8identityIvEEEESG_SJ_SK_mSL_SN_bEUlT_E_NS1_11comp_targetILNS1_3genE0ELNS1_11target_archE4294967295ELNS1_3gpuE0ELNS1_3repE0EEENS1_30default_config_static_selectorELNS0_4arch9wavefront6targetE1EEEvT1_.kd
    .uniform_work_group_size: 1
    .uses_dynamic_stack: false
    .vgpr_count:     0
    .vgpr_spill_count: 0
    .wavefront_size: 64
  - .agpr_count:     0
    .args:
      - .offset:         0
        .size:           56
        .value_kind:     by_value
    .group_segment_fixed_size: 0
    .kernarg_segment_align: 8
    .kernarg_segment_size: 56
    .language:       OpenCL C
    .language_version:
      - 2
      - 0
    .max_flat_workgroup_size: 1024
    .name:           _ZN7rocprim17ROCPRIM_400000_NS6detail17trampoline_kernelINS0_14default_configENS1_25transform_config_selectorIaLb0EEEZNS1_14transform_implILb0ES3_S5_NS0_18transform_iteratorINS0_17counting_iteratorImlEEZNS1_24adjacent_difference_implIS3_Lb1ELb0EPaSB_N6thrust23THRUST_200600_302600_NS4plusIaEEEE10hipError_tPvRmT2_T3_mT4_P12ihipStream_tbEUlmE_aEESB_NS0_8identityIvEEEESG_SJ_SK_mSL_SN_bEUlT_E_NS1_11comp_targetILNS1_3genE5ELNS1_11target_archE942ELNS1_3gpuE9ELNS1_3repE0EEENS1_30default_config_static_selectorELNS0_4arch9wavefront6targetE1EEEvT1_
    .private_segment_fixed_size: 0
    .sgpr_count:     4
    .sgpr_spill_count: 0
    .symbol:         _ZN7rocprim17ROCPRIM_400000_NS6detail17trampoline_kernelINS0_14default_configENS1_25transform_config_selectorIaLb0EEEZNS1_14transform_implILb0ES3_S5_NS0_18transform_iteratorINS0_17counting_iteratorImlEEZNS1_24adjacent_difference_implIS3_Lb1ELb0EPaSB_N6thrust23THRUST_200600_302600_NS4plusIaEEEE10hipError_tPvRmT2_T3_mT4_P12ihipStream_tbEUlmE_aEESB_NS0_8identityIvEEEESG_SJ_SK_mSL_SN_bEUlT_E_NS1_11comp_targetILNS1_3genE5ELNS1_11target_archE942ELNS1_3gpuE9ELNS1_3repE0EEENS1_30default_config_static_selectorELNS0_4arch9wavefront6targetE1EEEvT1_.kd
    .uniform_work_group_size: 1
    .uses_dynamic_stack: false
    .vgpr_count:     0
    .vgpr_spill_count: 0
    .wavefront_size: 64
  - .agpr_count:     0
    .args:
      - .offset:         0
        .size:           56
        .value_kind:     by_value
      - .offset:         56
        .size:           4
        .value_kind:     hidden_block_count_x
      - .offset:         60
        .size:           4
        .value_kind:     hidden_block_count_y
      - .offset:         64
        .size:           4
        .value_kind:     hidden_block_count_z
      - .offset:         68
        .size:           2
        .value_kind:     hidden_group_size_x
      - .offset:         70
        .size:           2
        .value_kind:     hidden_group_size_y
      - .offset:         72
        .size:           2
        .value_kind:     hidden_group_size_z
      - .offset:         74
        .size:           2
        .value_kind:     hidden_remainder_x
      - .offset:         76
        .size:           2
        .value_kind:     hidden_remainder_y
      - .offset:         78
        .size:           2
        .value_kind:     hidden_remainder_z
      - .offset:         96
        .size:           8
        .value_kind:     hidden_global_offset_x
      - .offset:         104
        .size:           8
        .value_kind:     hidden_global_offset_y
      - .offset:         112
        .size:           8
        .value_kind:     hidden_global_offset_z
      - .offset:         120
        .size:           2
        .value_kind:     hidden_grid_dims
    .group_segment_fixed_size: 0
    .kernarg_segment_align: 8
    .kernarg_segment_size: 312
    .language:       OpenCL C
    .language_version:
      - 2
      - 0
    .max_flat_workgroup_size: 64
    .name:           _ZN7rocprim17ROCPRIM_400000_NS6detail17trampoline_kernelINS0_14default_configENS1_25transform_config_selectorIaLb0EEEZNS1_14transform_implILb0ES3_S5_NS0_18transform_iteratorINS0_17counting_iteratorImlEEZNS1_24adjacent_difference_implIS3_Lb1ELb0EPaSB_N6thrust23THRUST_200600_302600_NS4plusIaEEEE10hipError_tPvRmT2_T3_mT4_P12ihipStream_tbEUlmE_aEESB_NS0_8identityIvEEEESG_SJ_SK_mSL_SN_bEUlT_E_NS1_11comp_targetILNS1_3genE4ELNS1_11target_archE910ELNS1_3gpuE8ELNS1_3repE0EEENS1_30default_config_static_selectorELNS0_4arch9wavefront6targetE1EEEvT1_
    .private_segment_fixed_size: 0
    .sgpr_count:     50
    .sgpr_spill_count: 0
    .symbol:         _ZN7rocprim17ROCPRIM_400000_NS6detail17trampoline_kernelINS0_14default_configENS1_25transform_config_selectorIaLb0EEEZNS1_14transform_implILb0ES3_S5_NS0_18transform_iteratorINS0_17counting_iteratorImlEEZNS1_24adjacent_difference_implIS3_Lb1ELb0EPaSB_N6thrust23THRUST_200600_302600_NS4plusIaEEEE10hipError_tPvRmT2_T3_mT4_P12ihipStream_tbEUlmE_aEESB_NS0_8identityIvEEEESG_SJ_SK_mSL_SN_bEUlT_E_NS1_11comp_targetILNS1_3genE4ELNS1_11target_archE910ELNS1_3gpuE8ELNS1_3repE0EEENS1_30default_config_static_selectorELNS0_4arch9wavefront6targetE1EEEvT1_.kd
    .uniform_work_group_size: 1
    .uses_dynamic_stack: false
    .vgpr_count:     20
    .vgpr_spill_count: 0
    .wavefront_size: 64
  - .agpr_count:     0
    .args:
      - .offset:         0
        .size:           56
        .value_kind:     by_value
    .group_segment_fixed_size: 0
    .kernarg_segment_align: 8
    .kernarg_segment_size: 56
    .language:       OpenCL C
    .language_version:
      - 2
      - 0
    .max_flat_workgroup_size: 128
    .name:           _ZN7rocprim17ROCPRIM_400000_NS6detail17trampoline_kernelINS0_14default_configENS1_25transform_config_selectorIaLb0EEEZNS1_14transform_implILb0ES3_S5_NS0_18transform_iteratorINS0_17counting_iteratorImlEEZNS1_24adjacent_difference_implIS3_Lb1ELb0EPaSB_N6thrust23THRUST_200600_302600_NS4plusIaEEEE10hipError_tPvRmT2_T3_mT4_P12ihipStream_tbEUlmE_aEESB_NS0_8identityIvEEEESG_SJ_SK_mSL_SN_bEUlT_E_NS1_11comp_targetILNS1_3genE3ELNS1_11target_archE908ELNS1_3gpuE7ELNS1_3repE0EEENS1_30default_config_static_selectorELNS0_4arch9wavefront6targetE1EEEvT1_
    .private_segment_fixed_size: 0
    .sgpr_count:     4
    .sgpr_spill_count: 0
    .symbol:         _ZN7rocprim17ROCPRIM_400000_NS6detail17trampoline_kernelINS0_14default_configENS1_25transform_config_selectorIaLb0EEEZNS1_14transform_implILb0ES3_S5_NS0_18transform_iteratorINS0_17counting_iteratorImlEEZNS1_24adjacent_difference_implIS3_Lb1ELb0EPaSB_N6thrust23THRUST_200600_302600_NS4plusIaEEEE10hipError_tPvRmT2_T3_mT4_P12ihipStream_tbEUlmE_aEESB_NS0_8identityIvEEEESG_SJ_SK_mSL_SN_bEUlT_E_NS1_11comp_targetILNS1_3genE3ELNS1_11target_archE908ELNS1_3gpuE7ELNS1_3repE0EEENS1_30default_config_static_selectorELNS0_4arch9wavefront6targetE1EEEvT1_.kd
    .uniform_work_group_size: 1
    .uses_dynamic_stack: false
    .vgpr_count:     0
    .vgpr_spill_count: 0
    .wavefront_size: 64
  - .agpr_count:     0
    .args:
      - .offset:         0
        .size:           56
        .value_kind:     by_value
    .group_segment_fixed_size: 0
    .kernarg_segment_align: 8
    .kernarg_segment_size: 56
    .language:       OpenCL C
    .language_version:
      - 2
      - 0
    .max_flat_workgroup_size: 64
    .name:           _ZN7rocprim17ROCPRIM_400000_NS6detail17trampoline_kernelINS0_14default_configENS1_25transform_config_selectorIaLb0EEEZNS1_14transform_implILb0ES3_S5_NS0_18transform_iteratorINS0_17counting_iteratorImlEEZNS1_24adjacent_difference_implIS3_Lb1ELb0EPaSB_N6thrust23THRUST_200600_302600_NS4plusIaEEEE10hipError_tPvRmT2_T3_mT4_P12ihipStream_tbEUlmE_aEESB_NS0_8identityIvEEEESG_SJ_SK_mSL_SN_bEUlT_E_NS1_11comp_targetILNS1_3genE2ELNS1_11target_archE906ELNS1_3gpuE6ELNS1_3repE0EEENS1_30default_config_static_selectorELNS0_4arch9wavefront6targetE1EEEvT1_
    .private_segment_fixed_size: 0
    .sgpr_count:     4
    .sgpr_spill_count: 0
    .symbol:         _ZN7rocprim17ROCPRIM_400000_NS6detail17trampoline_kernelINS0_14default_configENS1_25transform_config_selectorIaLb0EEEZNS1_14transform_implILb0ES3_S5_NS0_18transform_iteratorINS0_17counting_iteratorImlEEZNS1_24adjacent_difference_implIS3_Lb1ELb0EPaSB_N6thrust23THRUST_200600_302600_NS4plusIaEEEE10hipError_tPvRmT2_T3_mT4_P12ihipStream_tbEUlmE_aEESB_NS0_8identityIvEEEESG_SJ_SK_mSL_SN_bEUlT_E_NS1_11comp_targetILNS1_3genE2ELNS1_11target_archE906ELNS1_3gpuE6ELNS1_3repE0EEENS1_30default_config_static_selectorELNS0_4arch9wavefront6targetE1EEEvT1_.kd
    .uniform_work_group_size: 1
    .uses_dynamic_stack: false
    .vgpr_count:     0
    .vgpr_spill_count: 0
    .wavefront_size: 64
  - .agpr_count:     0
    .args:
      - .offset:         0
        .size:           56
        .value_kind:     by_value
    .group_segment_fixed_size: 0
    .kernarg_segment_align: 8
    .kernarg_segment_size: 56
    .language:       OpenCL C
    .language_version:
      - 2
      - 0
    .max_flat_workgroup_size: 256
    .name:           _ZN7rocprim17ROCPRIM_400000_NS6detail17trampoline_kernelINS0_14default_configENS1_25transform_config_selectorIaLb0EEEZNS1_14transform_implILb0ES3_S5_NS0_18transform_iteratorINS0_17counting_iteratorImlEEZNS1_24adjacent_difference_implIS3_Lb1ELb0EPaSB_N6thrust23THRUST_200600_302600_NS4plusIaEEEE10hipError_tPvRmT2_T3_mT4_P12ihipStream_tbEUlmE_aEESB_NS0_8identityIvEEEESG_SJ_SK_mSL_SN_bEUlT_E_NS1_11comp_targetILNS1_3genE10ELNS1_11target_archE1201ELNS1_3gpuE5ELNS1_3repE0EEENS1_30default_config_static_selectorELNS0_4arch9wavefront6targetE1EEEvT1_
    .private_segment_fixed_size: 0
    .sgpr_count:     4
    .sgpr_spill_count: 0
    .symbol:         _ZN7rocprim17ROCPRIM_400000_NS6detail17trampoline_kernelINS0_14default_configENS1_25transform_config_selectorIaLb0EEEZNS1_14transform_implILb0ES3_S5_NS0_18transform_iteratorINS0_17counting_iteratorImlEEZNS1_24adjacent_difference_implIS3_Lb1ELb0EPaSB_N6thrust23THRUST_200600_302600_NS4plusIaEEEE10hipError_tPvRmT2_T3_mT4_P12ihipStream_tbEUlmE_aEESB_NS0_8identityIvEEEESG_SJ_SK_mSL_SN_bEUlT_E_NS1_11comp_targetILNS1_3genE10ELNS1_11target_archE1201ELNS1_3gpuE5ELNS1_3repE0EEENS1_30default_config_static_selectorELNS0_4arch9wavefront6targetE1EEEvT1_.kd
    .uniform_work_group_size: 1
    .uses_dynamic_stack: false
    .vgpr_count:     0
    .vgpr_spill_count: 0
    .wavefront_size: 64
  - .agpr_count:     0
    .args:
      - .offset:         0
        .size:           56
        .value_kind:     by_value
    .group_segment_fixed_size: 0
    .kernarg_segment_align: 8
    .kernarg_segment_size: 56
    .language:       OpenCL C
    .language_version:
      - 2
      - 0
    .max_flat_workgroup_size: 256
    .name:           _ZN7rocprim17ROCPRIM_400000_NS6detail17trampoline_kernelINS0_14default_configENS1_25transform_config_selectorIaLb0EEEZNS1_14transform_implILb0ES3_S5_NS0_18transform_iteratorINS0_17counting_iteratorImlEEZNS1_24adjacent_difference_implIS3_Lb1ELb0EPaSB_N6thrust23THRUST_200600_302600_NS4plusIaEEEE10hipError_tPvRmT2_T3_mT4_P12ihipStream_tbEUlmE_aEESB_NS0_8identityIvEEEESG_SJ_SK_mSL_SN_bEUlT_E_NS1_11comp_targetILNS1_3genE10ELNS1_11target_archE1200ELNS1_3gpuE4ELNS1_3repE0EEENS1_30default_config_static_selectorELNS0_4arch9wavefront6targetE1EEEvT1_
    .private_segment_fixed_size: 0
    .sgpr_count:     4
    .sgpr_spill_count: 0
    .symbol:         _ZN7rocprim17ROCPRIM_400000_NS6detail17trampoline_kernelINS0_14default_configENS1_25transform_config_selectorIaLb0EEEZNS1_14transform_implILb0ES3_S5_NS0_18transform_iteratorINS0_17counting_iteratorImlEEZNS1_24adjacent_difference_implIS3_Lb1ELb0EPaSB_N6thrust23THRUST_200600_302600_NS4plusIaEEEE10hipError_tPvRmT2_T3_mT4_P12ihipStream_tbEUlmE_aEESB_NS0_8identityIvEEEESG_SJ_SK_mSL_SN_bEUlT_E_NS1_11comp_targetILNS1_3genE10ELNS1_11target_archE1200ELNS1_3gpuE4ELNS1_3repE0EEENS1_30default_config_static_selectorELNS0_4arch9wavefront6targetE1EEEvT1_.kd
    .uniform_work_group_size: 1
    .uses_dynamic_stack: false
    .vgpr_count:     0
    .vgpr_spill_count: 0
    .wavefront_size: 64
  - .agpr_count:     0
    .args:
      - .offset:         0
        .size:           56
        .value_kind:     by_value
    .group_segment_fixed_size: 0
    .kernarg_segment_align: 8
    .kernarg_segment_size: 56
    .language:       OpenCL C
    .language_version:
      - 2
      - 0
    .max_flat_workgroup_size: 1024
    .name:           _ZN7rocprim17ROCPRIM_400000_NS6detail17trampoline_kernelINS0_14default_configENS1_25transform_config_selectorIaLb0EEEZNS1_14transform_implILb0ES3_S5_NS0_18transform_iteratorINS0_17counting_iteratorImlEEZNS1_24adjacent_difference_implIS3_Lb1ELb0EPaSB_N6thrust23THRUST_200600_302600_NS4plusIaEEEE10hipError_tPvRmT2_T3_mT4_P12ihipStream_tbEUlmE_aEESB_NS0_8identityIvEEEESG_SJ_SK_mSL_SN_bEUlT_E_NS1_11comp_targetILNS1_3genE9ELNS1_11target_archE1100ELNS1_3gpuE3ELNS1_3repE0EEENS1_30default_config_static_selectorELNS0_4arch9wavefront6targetE1EEEvT1_
    .private_segment_fixed_size: 0
    .sgpr_count:     4
    .sgpr_spill_count: 0
    .symbol:         _ZN7rocprim17ROCPRIM_400000_NS6detail17trampoline_kernelINS0_14default_configENS1_25transform_config_selectorIaLb0EEEZNS1_14transform_implILb0ES3_S5_NS0_18transform_iteratorINS0_17counting_iteratorImlEEZNS1_24adjacent_difference_implIS3_Lb1ELb0EPaSB_N6thrust23THRUST_200600_302600_NS4plusIaEEEE10hipError_tPvRmT2_T3_mT4_P12ihipStream_tbEUlmE_aEESB_NS0_8identityIvEEEESG_SJ_SK_mSL_SN_bEUlT_E_NS1_11comp_targetILNS1_3genE9ELNS1_11target_archE1100ELNS1_3gpuE3ELNS1_3repE0EEENS1_30default_config_static_selectorELNS0_4arch9wavefront6targetE1EEEvT1_.kd
    .uniform_work_group_size: 1
    .uses_dynamic_stack: false
    .vgpr_count:     0
    .vgpr_spill_count: 0
    .wavefront_size: 64
  - .agpr_count:     0
    .args:
      - .offset:         0
        .size:           56
        .value_kind:     by_value
    .group_segment_fixed_size: 0
    .kernarg_segment_align: 8
    .kernarg_segment_size: 56
    .language:       OpenCL C
    .language_version:
      - 2
      - 0
    .max_flat_workgroup_size: 128
    .name:           _ZN7rocprim17ROCPRIM_400000_NS6detail17trampoline_kernelINS0_14default_configENS1_25transform_config_selectorIaLb0EEEZNS1_14transform_implILb0ES3_S5_NS0_18transform_iteratorINS0_17counting_iteratorImlEEZNS1_24adjacent_difference_implIS3_Lb1ELb0EPaSB_N6thrust23THRUST_200600_302600_NS4plusIaEEEE10hipError_tPvRmT2_T3_mT4_P12ihipStream_tbEUlmE_aEESB_NS0_8identityIvEEEESG_SJ_SK_mSL_SN_bEUlT_E_NS1_11comp_targetILNS1_3genE8ELNS1_11target_archE1030ELNS1_3gpuE2ELNS1_3repE0EEENS1_30default_config_static_selectorELNS0_4arch9wavefront6targetE1EEEvT1_
    .private_segment_fixed_size: 0
    .sgpr_count:     4
    .sgpr_spill_count: 0
    .symbol:         _ZN7rocprim17ROCPRIM_400000_NS6detail17trampoline_kernelINS0_14default_configENS1_25transform_config_selectorIaLb0EEEZNS1_14transform_implILb0ES3_S5_NS0_18transform_iteratorINS0_17counting_iteratorImlEEZNS1_24adjacent_difference_implIS3_Lb1ELb0EPaSB_N6thrust23THRUST_200600_302600_NS4plusIaEEEE10hipError_tPvRmT2_T3_mT4_P12ihipStream_tbEUlmE_aEESB_NS0_8identityIvEEEESG_SJ_SK_mSL_SN_bEUlT_E_NS1_11comp_targetILNS1_3genE8ELNS1_11target_archE1030ELNS1_3gpuE2ELNS1_3repE0EEENS1_30default_config_static_selectorELNS0_4arch9wavefront6targetE1EEEvT1_.kd
    .uniform_work_group_size: 1
    .uses_dynamic_stack: false
    .vgpr_count:     0
    .vgpr_spill_count: 0
    .wavefront_size: 64
  - .agpr_count:     0
    .args:
      - .offset:         0
        .size:           56
        .value_kind:     by_value
    .group_segment_fixed_size: 0
    .kernarg_segment_align: 8
    .kernarg_segment_size: 56
    .language:       OpenCL C
    .language_version:
      - 2
      - 0
    .max_flat_workgroup_size: 64
    .name:           _ZN7rocprim17ROCPRIM_400000_NS6detail17trampoline_kernelINS0_14default_configENS1_35adjacent_difference_config_selectorILb1EaEEZNS1_24adjacent_difference_implIS3_Lb1ELb0EPaS7_N6thrust23THRUST_200600_302600_NS4plusIaEEEE10hipError_tPvRmT2_T3_mT4_P12ihipStream_tbEUlT_E_NS1_11comp_targetILNS1_3genE0ELNS1_11target_archE4294967295ELNS1_3gpuE0ELNS1_3repE0EEENS1_30default_config_static_selectorELNS0_4arch9wavefront6targetE1EEEvT1_
    .private_segment_fixed_size: 0
    .sgpr_count:     4
    .sgpr_spill_count: 0
    .symbol:         _ZN7rocprim17ROCPRIM_400000_NS6detail17trampoline_kernelINS0_14default_configENS1_35adjacent_difference_config_selectorILb1EaEEZNS1_24adjacent_difference_implIS3_Lb1ELb0EPaS7_N6thrust23THRUST_200600_302600_NS4plusIaEEEE10hipError_tPvRmT2_T3_mT4_P12ihipStream_tbEUlT_E_NS1_11comp_targetILNS1_3genE0ELNS1_11target_archE4294967295ELNS1_3gpuE0ELNS1_3repE0EEENS1_30default_config_static_selectorELNS0_4arch9wavefront6targetE1EEEvT1_.kd
    .uniform_work_group_size: 1
    .uses_dynamic_stack: false
    .vgpr_count:     0
    .vgpr_spill_count: 0
    .wavefront_size: 64
  - .agpr_count:     0
    .args:
      - .offset:         0
        .size:           56
        .value_kind:     by_value
    .group_segment_fixed_size: 0
    .kernarg_segment_align: 8
    .kernarg_segment_size: 56
    .language:       OpenCL C
    .language_version:
      - 2
      - 0
    .max_flat_workgroup_size: 128
    .name:           _ZN7rocprim17ROCPRIM_400000_NS6detail17trampoline_kernelINS0_14default_configENS1_35adjacent_difference_config_selectorILb1EaEEZNS1_24adjacent_difference_implIS3_Lb1ELb0EPaS7_N6thrust23THRUST_200600_302600_NS4plusIaEEEE10hipError_tPvRmT2_T3_mT4_P12ihipStream_tbEUlT_E_NS1_11comp_targetILNS1_3genE10ELNS1_11target_archE1201ELNS1_3gpuE5ELNS1_3repE0EEENS1_30default_config_static_selectorELNS0_4arch9wavefront6targetE1EEEvT1_
    .private_segment_fixed_size: 0
    .sgpr_count:     4
    .sgpr_spill_count: 0
    .symbol:         _ZN7rocprim17ROCPRIM_400000_NS6detail17trampoline_kernelINS0_14default_configENS1_35adjacent_difference_config_selectorILb1EaEEZNS1_24adjacent_difference_implIS3_Lb1ELb0EPaS7_N6thrust23THRUST_200600_302600_NS4plusIaEEEE10hipError_tPvRmT2_T3_mT4_P12ihipStream_tbEUlT_E_NS1_11comp_targetILNS1_3genE10ELNS1_11target_archE1201ELNS1_3gpuE5ELNS1_3repE0EEENS1_30default_config_static_selectorELNS0_4arch9wavefront6targetE1EEEvT1_.kd
    .uniform_work_group_size: 1
    .uses_dynamic_stack: false
    .vgpr_count:     0
    .vgpr_spill_count: 0
    .wavefront_size: 64
  - .agpr_count:     0
    .args:
      - .offset:         0
        .size:           56
        .value_kind:     by_value
    .group_segment_fixed_size: 0
    .kernarg_segment_align: 8
    .kernarg_segment_size: 56
    .language:       OpenCL C
    .language_version:
      - 2
      - 0
    .max_flat_workgroup_size: 128
    .name:           _ZN7rocprim17ROCPRIM_400000_NS6detail17trampoline_kernelINS0_14default_configENS1_35adjacent_difference_config_selectorILb1EaEEZNS1_24adjacent_difference_implIS3_Lb1ELb0EPaS7_N6thrust23THRUST_200600_302600_NS4plusIaEEEE10hipError_tPvRmT2_T3_mT4_P12ihipStream_tbEUlT_E_NS1_11comp_targetILNS1_3genE5ELNS1_11target_archE942ELNS1_3gpuE9ELNS1_3repE0EEENS1_30default_config_static_selectorELNS0_4arch9wavefront6targetE1EEEvT1_
    .private_segment_fixed_size: 0
    .sgpr_count:     4
    .sgpr_spill_count: 0
    .symbol:         _ZN7rocprim17ROCPRIM_400000_NS6detail17trampoline_kernelINS0_14default_configENS1_35adjacent_difference_config_selectorILb1EaEEZNS1_24adjacent_difference_implIS3_Lb1ELb0EPaS7_N6thrust23THRUST_200600_302600_NS4plusIaEEEE10hipError_tPvRmT2_T3_mT4_P12ihipStream_tbEUlT_E_NS1_11comp_targetILNS1_3genE5ELNS1_11target_archE942ELNS1_3gpuE9ELNS1_3repE0EEENS1_30default_config_static_selectorELNS0_4arch9wavefront6targetE1EEEvT1_.kd
    .uniform_work_group_size: 1
    .uses_dynamic_stack: false
    .vgpr_count:     0
    .vgpr_spill_count: 0
    .wavefront_size: 64
  - .agpr_count:     0
    .args:
      - .offset:         0
        .size:           56
        .value_kind:     by_value
    .group_segment_fixed_size: 2432
    .kernarg_segment_align: 8
    .kernarg_segment_size: 56
    .language:       OpenCL C
    .language_version:
      - 2
      - 0
    .max_flat_workgroup_size: 128
    .name:           _ZN7rocprim17ROCPRIM_400000_NS6detail17trampoline_kernelINS0_14default_configENS1_35adjacent_difference_config_selectorILb1EaEEZNS1_24adjacent_difference_implIS3_Lb1ELb0EPaS7_N6thrust23THRUST_200600_302600_NS4plusIaEEEE10hipError_tPvRmT2_T3_mT4_P12ihipStream_tbEUlT_E_NS1_11comp_targetILNS1_3genE4ELNS1_11target_archE910ELNS1_3gpuE8ELNS1_3repE0EEENS1_30default_config_static_selectorELNS0_4arch9wavefront6targetE1EEEvT1_
    .private_segment_fixed_size: 0
    .sgpr_count:     52
    .sgpr_spill_count: 0
    .symbol:         _ZN7rocprim17ROCPRIM_400000_NS6detail17trampoline_kernelINS0_14default_configENS1_35adjacent_difference_config_selectorILb1EaEEZNS1_24adjacent_difference_implIS3_Lb1ELb0EPaS7_N6thrust23THRUST_200600_302600_NS4plusIaEEEE10hipError_tPvRmT2_T3_mT4_P12ihipStream_tbEUlT_E_NS1_11comp_targetILNS1_3genE4ELNS1_11target_archE910ELNS1_3gpuE8ELNS1_3repE0EEENS1_30default_config_static_selectorELNS0_4arch9wavefront6targetE1EEEvT1_.kd
    .uniform_work_group_size: 1
    .uses_dynamic_stack: false
    .vgpr_count:     42
    .vgpr_spill_count: 0
    .wavefront_size: 64
  - .agpr_count:     0
    .args:
      - .offset:         0
        .size:           56
        .value_kind:     by_value
    .group_segment_fixed_size: 0
    .kernarg_segment_align: 8
    .kernarg_segment_size: 56
    .language:       OpenCL C
    .language_version:
      - 2
      - 0
    .max_flat_workgroup_size: 64
    .name:           _ZN7rocprim17ROCPRIM_400000_NS6detail17trampoline_kernelINS0_14default_configENS1_35adjacent_difference_config_selectorILb1EaEEZNS1_24adjacent_difference_implIS3_Lb1ELb0EPaS7_N6thrust23THRUST_200600_302600_NS4plusIaEEEE10hipError_tPvRmT2_T3_mT4_P12ihipStream_tbEUlT_E_NS1_11comp_targetILNS1_3genE3ELNS1_11target_archE908ELNS1_3gpuE7ELNS1_3repE0EEENS1_30default_config_static_selectorELNS0_4arch9wavefront6targetE1EEEvT1_
    .private_segment_fixed_size: 0
    .sgpr_count:     4
    .sgpr_spill_count: 0
    .symbol:         _ZN7rocprim17ROCPRIM_400000_NS6detail17trampoline_kernelINS0_14default_configENS1_35adjacent_difference_config_selectorILb1EaEEZNS1_24adjacent_difference_implIS3_Lb1ELb0EPaS7_N6thrust23THRUST_200600_302600_NS4plusIaEEEE10hipError_tPvRmT2_T3_mT4_P12ihipStream_tbEUlT_E_NS1_11comp_targetILNS1_3genE3ELNS1_11target_archE908ELNS1_3gpuE7ELNS1_3repE0EEENS1_30default_config_static_selectorELNS0_4arch9wavefront6targetE1EEEvT1_.kd
    .uniform_work_group_size: 1
    .uses_dynamic_stack: false
    .vgpr_count:     0
    .vgpr_spill_count: 0
    .wavefront_size: 64
  - .agpr_count:     0
    .args:
      - .offset:         0
        .size:           56
        .value_kind:     by_value
    .group_segment_fixed_size: 0
    .kernarg_segment_align: 8
    .kernarg_segment_size: 56
    .language:       OpenCL C
    .language_version:
      - 2
      - 0
    .max_flat_workgroup_size: 64
    .name:           _ZN7rocprim17ROCPRIM_400000_NS6detail17trampoline_kernelINS0_14default_configENS1_35adjacent_difference_config_selectorILb1EaEEZNS1_24adjacent_difference_implIS3_Lb1ELb0EPaS7_N6thrust23THRUST_200600_302600_NS4plusIaEEEE10hipError_tPvRmT2_T3_mT4_P12ihipStream_tbEUlT_E_NS1_11comp_targetILNS1_3genE2ELNS1_11target_archE906ELNS1_3gpuE6ELNS1_3repE0EEENS1_30default_config_static_selectorELNS0_4arch9wavefront6targetE1EEEvT1_
    .private_segment_fixed_size: 0
    .sgpr_count:     4
    .sgpr_spill_count: 0
    .symbol:         _ZN7rocprim17ROCPRIM_400000_NS6detail17trampoline_kernelINS0_14default_configENS1_35adjacent_difference_config_selectorILb1EaEEZNS1_24adjacent_difference_implIS3_Lb1ELb0EPaS7_N6thrust23THRUST_200600_302600_NS4plusIaEEEE10hipError_tPvRmT2_T3_mT4_P12ihipStream_tbEUlT_E_NS1_11comp_targetILNS1_3genE2ELNS1_11target_archE906ELNS1_3gpuE6ELNS1_3repE0EEENS1_30default_config_static_selectorELNS0_4arch9wavefront6targetE1EEEvT1_.kd
    .uniform_work_group_size: 1
    .uses_dynamic_stack: false
    .vgpr_count:     0
    .vgpr_spill_count: 0
    .wavefront_size: 64
  - .agpr_count:     0
    .args:
      - .offset:         0
        .size:           56
        .value_kind:     by_value
    .group_segment_fixed_size: 0
    .kernarg_segment_align: 8
    .kernarg_segment_size: 56
    .language:       OpenCL C
    .language_version:
      - 2
      - 0
    .max_flat_workgroup_size: 512
    .name:           _ZN7rocprim17ROCPRIM_400000_NS6detail17trampoline_kernelINS0_14default_configENS1_35adjacent_difference_config_selectorILb1EaEEZNS1_24adjacent_difference_implIS3_Lb1ELb0EPaS7_N6thrust23THRUST_200600_302600_NS4plusIaEEEE10hipError_tPvRmT2_T3_mT4_P12ihipStream_tbEUlT_E_NS1_11comp_targetILNS1_3genE9ELNS1_11target_archE1100ELNS1_3gpuE3ELNS1_3repE0EEENS1_30default_config_static_selectorELNS0_4arch9wavefront6targetE1EEEvT1_
    .private_segment_fixed_size: 0
    .sgpr_count:     4
    .sgpr_spill_count: 0
    .symbol:         _ZN7rocprim17ROCPRIM_400000_NS6detail17trampoline_kernelINS0_14default_configENS1_35adjacent_difference_config_selectorILb1EaEEZNS1_24adjacent_difference_implIS3_Lb1ELb0EPaS7_N6thrust23THRUST_200600_302600_NS4plusIaEEEE10hipError_tPvRmT2_T3_mT4_P12ihipStream_tbEUlT_E_NS1_11comp_targetILNS1_3genE9ELNS1_11target_archE1100ELNS1_3gpuE3ELNS1_3repE0EEENS1_30default_config_static_selectorELNS0_4arch9wavefront6targetE1EEEvT1_.kd
    .uniform_work_group_size: 1
    .uses_dynamic_stack: false
    .vgpr_count:     0
    .vgpr_spill_count: 0
    .wavefront_size: 64
  - .agpr_count:     0
    .args:
      - .offset:         0
        .size:           56
        .value_kind:     by_value
    .group_segment_fixed_size: 0
    .kernarg_segment_align: 8
    .kernarg_segment_size: 56
    .language:       OpenCL C
    .language_version:
      - 2
      - 0
    .max_flat_workgroup_size: 1024
    .name:           _ZN7rocprim17ROCPRIM_400000_NS6detail17trampoline_kernelINS0_14default_configENS1_35adjacent_difference_config_selectorILb1EaEEZNS1_24adjacent_difference_implIS3_Lb1ELb0EPaS7_N6thrust23THRUST_200600_302600_NS4plusIaEEEE10hipError_tPvRmT2_T3_mT4_P12ihipStream_tbEUlT_E_NS1_11comp_targetILNS1_3genE8ELNS1_11target_archE1030ELNS1_3gpuE2ELNS1_3repE0EEENS1_30default_config_static_selectorELNS0_4arch9wavefront6targetE1EEEvT1_
    .private_segment_fixed_size: 0
    .sgpr_count:     4
    .sgpr_spill_count: 0
    .symbol:         _ZN7rocprim17ROCPRIM_400000_NS6detail17trampoline_kernelINS0_14default_configENS1_35adjacent_difference_config_selectorILb1EaEEZNS1_24adjacent_difference_implIS3_Lb1ELb0EPaS7_N6thrust23THRUST_200600_302600_NS4plusIaEEEE10hipError_tPvRmT2_T3_mT4_P12ihipStream_tbEUlT_E_NS1_11comp_targetILNS1_3genE8ELNS1_11target_archE1030ELNS1_3gpuE2ELNS1_3repE0EEENS1_30default_config_static_selectorELNS0_4arch9wavefront6targetE1EEEvT1_.kd
    .uniform_work_group_size: 1
    .uses_dynamic_stack: false
    .vgpr_count:     0
    .vgpr_spill_count: 0
    .wavefront_size: 64
  - .agpr_count:     0
    .args:
      - .offset:         0
        .size:           16
        .value_kind:     by_value
      - .offset:         16
        .size:           8
        .value_kind:     by_value
      - .offset:         24
        .size:           8
        .value_kind:     by_value
    .group_segment_fixed_size: 0
    .kernarg_segment_align: 8
    .kernarg_segment_size: 32
    .language:       OpenCL C
    .language_version:
      - 2
      - 0
    .max_flat_workgroup_size: 256
    .name:           _ZN6thrust23THRUST_200600_302600_NS11hip_rocprim14__parallel_for6kernelILj256ENS1_20__uninitialized_fill7functorINS0_10device_ptrIsEEsEEmLj1EEEvT0_T1_SA_
    .private_segment_fixed_size: 0
    .sgpr_count:     16
    .sgpr_spill_count: 0
    .symbol:         _ZN6thrust23THRUST_200600_302600_NS11hip_rocprim14__parallel_for6kernelILj256ENS1_20__uninitialized_fill7functorINS0_10device_ptrIsEEsEEmLj1EEEvT0_T1_SA_.kd
    .uniform_work_group_size: 1
    .uses_dynamic_stack: false
    .vgpr_count:     4
    .vgpr_spill_count: 0
    .wavefront_size: 64
  - .agpr_count:     0
    .args:
      - .offset:         0
        .size:           56
        .value_kind:     by_value
    .group_segment_fixed_size: 0
    .kernarg_segment_align: 8
    .kernarg_segment_size: 56
    .language:       OpenCL C
    .language_version:
      - 2
      - 0
    .max_flat_workgroup_size: 64
    .name:           _ZN7rocprim17ROCPRIM_400000_NS6detail17trampoline_kernelINS0_14default_configENS1_35adjacent_difference_config_selectorILb0EsEEZNS1_24adjacent_difference_implIS3_Lb0ELb0EPsS7_N6thrust23THRUST_200600_302600_NS5minusIsEEEE10hipError_tPvRmT2_T3_mT4_P12ihipStream_tbEUlT_E_NS1_11comp_targetILNS1_3genE0ELNS1_11target_archE4294967295ELNS1_3gpuE0ELNS1_3repE0EEENS1_30default_config_static_selectorELNS0_4arch9wavefront6targetE1EEEvT1_
    .private_segment_fixed_size: 0
    .sgpr_count:     4
    .sgpr_spill_count: 0
    .symbol:         _ZN7rocprim17ROCPRIM_400000_NS6detail17trampoline_kernelINS0_14default_configENS1_35adjacent_difference_config_selectorILb0EsEEZNS1_24adjacent_difference_implIS3_Lb0ELb0EPsS7_N6thrust23THRUST_200600_302600_NS5minusIsEEEE10hipError_tPvRmT2_T3_mT4_P12ihipStream_tbEUlT_E_NS1_11comp_targetILNS1_3genE0ELNS1_11target_archE4294967295ELNS1_3gpuE0ELNS1_3repE0EEENS1_30default_config_static_selectorELNS0_4arch9wavefront6targetE1EEEvT1_.kd
    .uniform_work_group_size: 1
    .uses_dynamic_stack: false
    .vgpr_count:     0
    .vgpr_spill_count: 0
    .wavefront_size: 64
  - .agpr_count:     0
    .args:
      - .offset:         0
        .size:           56
        .value_kind:     by_value
    .group_segment_fixed_size: 0
    .kernarg_segment_align: 8
    .kernarg_segment_size: 56
    .language:       OpenCL C
    .language_version:
      - 2
      - 0
    .max_flat_workgroup_size: 128
    .name:           _ZN7rocprim17ROCPRIM_400000_NS6detail17trampoline_kernelINS0_14default_configENS1_35adjacent_difference_config_selectorILb0EsEEZNS1_24adjacent_difference_implIS3_Lb0ELb0EPsS7_N6thrust23THRUST_200600_302600_NS5minusIsEEEE10hipError_tPvRmT2_T3_mT4_P12ihipStream_tbEUlT_E_NS1_11comp_targetILNS1_3genE10ELNS1_11target_archE1201ELNS1_3gpuE5ELNS1_3repE0EEENS1_30default_config_static_selectorELNS0_4arch9wavefront6targetE1EEEvT1_
    .private_segment_fixed_size: 0
    .sgpr_count:     4
    .sgpr_spill_count: 0
    .symbol:         _ZN7rocprim17ROCPRIM_400000_NS6detail17trampoline_kernelINS0_14default_configENS1_35adjacent_difference_config_selectorILb0EsEEZNS1_24adjacent_difference_implIS3_Lb0ELb0EPsS7_N6thrust23THRUST_200600_302600_NS5minusIsEEEE10hipError_tPvRmT2_T3_mT4_P12ihipStream_tbEUlT_E_NS1_11comp_targetILNS1_3genE10ELNS1_11target_archE1201ELNS1_3gpuE5ELNS1_3repE0EEENS1_30default_config_static_selectorELNS0_4arch9wavefront6targetE1EEEvT1_.kd
    .uniform_work_group_size: 1
    .uses_dynamic_stack: false
    .vgpr_count:     0
    .vgpr_spill_count: 0
    .wavefront_size: 64
  - .agpr_count:     0
    .args:
      - .offset:         0
        .size:           56
        .value_kind:     by_value
    .group_segment_fixed_size: 0
    .kernarg_segment_align: 8
    .kernarg_segment_size: 56
    .language:       OpenCL C
    .language_version:
      - 2
      - 0
    .max_flat_workgroup_size: 256
    .name:           _ZN7rocprim17ROCPRIM_400000_NS6detail17trampoline_kernelINS0_14default_configENS1_35adjacent_difference_config_selectorILb0EsEEZNS1_24adjacent_difference_implIS3_Lb0ELb0EPsS7_N6thrust23THRUST_200600_302600_NS5minusIsEEEE10hipError_tPvRmT2_T3_mT4_P12ihipStream_tbEUlT_E_NS1_11comp_targetILNS1_3genE5ELNS1_11target_archE942ELNS1_3gpuE9ELNS1_3repE0EEENS1_30default_config_static_selectorELNS0_4arch9wavefront6targetE1EEEvT1_
    .private_segment_fixed_size: 0
    .sgpr_count:     4
    .sgpr_spill_count: 0
    .symbol:         _ZN7rocprim17ROCPRIM_400000_NS6detail17trampoline_kernelINS0_14default_configENS1_35adjacent_difference_config_selectorILb0EsEEZNS1_24adjacent_difference_implIS3_Lb0ELb0EPsS7_N6thrust23THRUST_200600_302600_NS5minusIsEEEE10hipError_tPvRmT2_T3_mT4_P12ihipStream_tbEUlT_E_NS1_11comp_targetILNS1_3genE5ELNS1_11target_archE942ELNS1_3gpuE9ELNS1_3repE0EEENS1_30default_config_static_selectorELNS0_4arch9wavefront6targetE1EEEvT1_.kd
    .uniform_work_group_size: 1
    .uses_dynamic_stack: false
    .vgpr_count:     0
    .vgpr_spill_count: 0
    .wavefront_size: 64
  - .agpr_count:     0
    .args:
      - .offset:         0
        .size:           56
        .value_kind:     by_value
    .group_segment_fixed_size: 2176
    .kernarg_segment_align: 8
    .kernarg_segment_size: 56
    .language:       OpenCL C
    .language_version:
      - 2
      - 0
    .max_flat_workgroup_size: 64
    .name:           _ZN7rocprim17ROCPRIM_400000_NS6detail17trampoline_kernelINS0_14default_configENS1_35adjacent_difference_config_selectorILb0EsEEZNS1_24adjacent_difference_implIS3_Lb0ELb0EPsS7_N6thrust23THRUST_200600_302600_NS5minusIsEEEE10hipError_tPvRmT2_T3_mT4_P12ihipStream_tbEUlT_E_NS1_11comp_targetILNS1_3genE4ELNS1_11target_archE910ELNS1_3gpuE8ELNS1_3repE0EEENS1_30default_config_static_selectorELNS0_4arch9wavefront6targetE1EEEvT1_
    .private_segment_fixed_size: 0
    .sgpr_count:     27
    .sgpr_spill_count: 0
    .symbol:         _ZN7rocprim17ROCPRIM_400000_NS6detail17trampoline_kernelINS0_14default_configENS1_35adjacent_difference_config_selectorILb0EsEEZNS1_24adjacent_difference_implIS3_Lb0ELb0EPsS7_N6thrust23THRUST_200600_302600_NS5minusIsEEEE10hipError_tPvRmT2_T3_mT4_P12ihipStream_tbEUlT_E_NS1_11comp_targetILNS1_3genE4ELNS1_11target_archE910ELNS1_3gpuE8ELNS1_3repE0EEENS1_30default_config_static_selectorELNS0_4arch9wavefront6targetE1EEEvT1_.kd
    .uniform_work_group_size: 1
    .uses_dynamic_stack: false
    .vgpr_count:     34
    .vgpr_spill_count: 0
    .wavefront_size: 64
  - .agpr_count:     0
    .args:
      - .offset:         0
        .size:           56
        .value_kind:     by_value
    .group_segment_fixed_size: 0
    .kernarg_segment_align: 8
    .kernarg_segment_size: 56
    .language:       OpenCL C
    .language_version:
      - 2
      - 0
    .max_flat_workgroup_size: 64
    .name:           _ZN7rocprim17ROCPRIM_400000_NS6detail17trampoline_kernelINS0_14default_configENS1_35adjacent_difference_config_selectorILb0EsEEZNS1_24adjacent_difference_implIS3_Lb0ELb0EPsS7_N6thrust23THRUST_200600_302600_NS5minusIsEEEE10hipError_tPvRmT2_T3_mT4_P12ihipStream_tbEUlT_E_NS1_11comp_targetILNS1_3genE3ELNS1_11target_archE908ELNS1_3gpuE7ELNS1_3repE0EEENS1_30default_config_static_selectorELNS0_4arch9wavefront6targetE1EEEvT1_
    .private_segment_fixed_size: 0
    .sgpr_count:     4
    .sgpr_spill_count: 0
    .symbol:         _ZN7rocprim17ROCPRIM_400000_NS6detail17trampoline_kernelINS0_14default_configENS1_35adjacent_difference_config_selectorILb0EsEEZNS1_24adjacent_difference_implIS3_Lb0ELb0EPsS7_N6thrust23THRUST_200600_302600_NS5minusIsEEEE10hipError_tPvRmT2_T3_mT4_P12ihipStream_tbEUlT_E_NS1_11comp_targetILNS1_3genE3ELNS1_11target_archE908ELNS1_3gpuE7ELNS1_3repE0EEENS1_30default_config_static_selectorELNS0_4arch9wavefront6targetE1EEEvT1_.kd
    .uniform_work_group_size: 1
    .uses_dynamic_stack: false
    .vgpr_count:     0
    .vgpr_spill_count: 0
    .wavefront_size: 64
  - .agpr_count:     0
    .args:
      - .offset:         0
        .size:           56
        .value_kind:     by_value
    .group_segment_fixed_size: 0
    .kernarg_segment_align: 8
    .kernarg_segment_size: 56
    .language:       OpenCL C
    .language_version:
      - 2
      - 0
    .max_flat_workgroup_size: 64
    .name:           _ZN7rocprim17ROCPRIM_400000_NS6detail17trampoline_kernelINS0_14default_configENS1_35adjacent_difference_config_selectorILb0EsEEZNS1_24adjacent_difference_implIS3_Lb0ELb0EPsS7_N6thrust23THRUST_200600_302600_NS5minusIsEEEE10hipError_tPvRmT2_T3_mT4_P12ihipStream_tbEUlT_E_NS1_11comp_targetILNS1_3genE2ELNS1_11target_archE906ELNS1_3gpuE6ELNS1_3repE0EEENS1_30default_config_static_selectorELNS0_4arch9wavefront6targetE1EEEvT1_
    .private_segment_fixed_size: 0
    .sgpr_count:     4
    .sgpr_spill_count: 0
    .symbol:         _ZN7rocprim17ROCPRIM_400000_NS6detail17trampoline_kernelINS0_14default_configENS1_35adjacent_difference_config_selectorILb0EsEEZNS1_24adjacent_difference_implIS3_Lb0ELb0EPsS7_N6thrust23THRUST_200600_302600_NS5minusIsEEEE10hipError_tPvRmT2_T3_mT4_P12ihipStream_tbEUlT_E_NS1_11comp_targetILNS1_3genE2ELNS1_11target_archE906ELNS1_3gpuE6ELNS1_3repE0EEENS1_30default_config_static_selectorELNS0_4arch9wavefront6targetE1EEEvT1_.kd
    .uniform_work_group_size: 1
    .uses_dynamic_stack: false
    .vgpr_count:     0
    .vgpr_spill_count: 0
    .wavefront_size: 64
  - .agpr_count:     0
    .args:
      - .offset:         0
        .size:           56
        .value_kind:     by_value
    .group_segment_fixed_size: 0
    .kernarg_segment_align: 8
    .kernarg_segment_size: 56
    .language:       OpenCL C
    .language_version:
      - 2
      - 0
    .max_flat_workgroup_size: 64
    .name:           _ZN7rocprim17ROCPRIM_400000_NS6detail17trampoline_kernelINS0_14default_configENS1_35adjacent_difference_config_selectorILb0EsEEZNS1_24adjacent_difference_implIS3_Lb0ELb0EPsS7_N6thrust23THRUST_200600_302600_NS5minusIsEEEE10hipError_tPvRmT2_T3_mT4_P12ihipStream_tbEUlT_E_NS1_11comp_targetILNS1_3genE9ELNS1_11target_archE1100ELNS1_3gpuE3ELNS1_3repE0EEENS1_30default_config_static_selectorELNS0_4arch9wavefront6targetE1EEEvT1_
    .private_segment_fixed_size: 0
    .sgpr_count:     4
    .sgpr_spill_count: 0
    .symbol:         _ZN7rocprim17ROCPRIM_400000_NS6detail17trampoline_kernelINS0_14default_configENS1_35adjacent_difference_config_selectorILb0EsEEZNS1_24adjacent_difference_implIS3_Lb0ELb0EPsS7_N6thrust23THRUST_200600_302600_NS5minusIsEEEE10hipError_tPvRmT2_T3_mT4_P12ihipStream_tbEUlT_E_NS1_11comp_targetILNS1_3genE9ELNS1_11target_archE1100ELNS1_3gpuE3ELNS1_3repE0EEENS1_30default_config_static_selectorELNS0_4arch9wavefront6targetE1EEEvT1_.kd
    .uniform_work_group_size: 1
    .uses_dynamic_stack: false
    .vgpr_count:     0
    .vgpr_spill_count: 0
    .wavefront_size: 64
  - .agpr_count:     0
    .args:
      - .offset:         0
        .size:           56
        .value_kind:     by_value
    .group_segment_fixed_size: 0
    .kernarg_segment_align: 8
    .kernarg_segment_size: 56
    .language:       OpenCL C
    .language_version:
      - 2
      - 0
    .max_flat_workgroup_size: 1024
    .name:           _ZN7rocprim17ROCPRIM_400000_NS6detail17trampoline_kernelINS0_14default_configENS1_35adjacent_difference_config_selectorILb0EsEEZNS1_24adjacent_difference_implIS3_Lb0ELb0EPsS7_N6thrust23THRUST_200600_302600_NS5minusIsEEEE10hipError_tPvRmT2_T3_mT4_P12ihipStream_tbEUlT_E_NS1_11comp_targetILNS1_3genE8ELNS1_11target_archE1030ELNS1_3gpuE2ELNS1_3repE0EEENS1_30default_config_static_selectorELNS0_4arch9wavefront6targetE1EEEvT1_
    .private_segment_fixed_size: 0
    .sgpr_count:     4
    .sgpr_spill_count: 0
    .symbol:         _ZN7rocprim17ROCPRIM_400000_NS6detail17trampoline_kernelINS0_14default_configENS1_35adjacent_difference_config_selectorILb0EsEEZNS1_24adjacent_difference_implIS3_Lb0ELb0EPsS7_N6thrust23THRUST_200600_302600_NS5minusIsEEEE10hipError_tPvRmT2_T3_mT4_P12ihipStream_tbEUlT_E_NS1_11comp_targetILNS1_3genE8ELNS1_11target_archE1030ELNS1_3gpuE2ELNS1_3repE0EEENS1_30default_config_static_selectorELNS0_4arch9wavefront6targetE1EEEvT1_.kd
    .uniform_work_group_size: 1
    .uses_dynamic_stack: false
    .vgpr_count:     0
    .vgpr_spill_count: 0
    .wavefront_size: 64
  - .agpr_count:     0
    .args:
      - .offset:         0
        .size:           56
        .value_kind:     by_value
    .group_segment_fixed_size: 0
    .kernarg_segment_align: 8
    .kernarg_segment_size: 56
    .language:       OpenCL C
    .language_version:
      - 2
      - 0
    .max_flat_workgroup_size: 128
    .name:           _ZN7rocprim17ROCPRIM_400000_NS6detail17trampoline_kernelINS0_14default_configENS1_25transform_config_selectorIsLb0EEEZNS1_14transform_implILb0ES3_S5_NS0_18transform_iteratorINS0_17counting_iteratorImlEEZNS1_24adjacent_difference_implIS3_Lb1ELb0EPsSB_N6thrust23THRUST_200600_302600_NS5minusIsEEEE10hipError_tPvRmT2_T3_mT4_P12ihipStream_tbEUlmE_sEESB_NS0_8identityIvEEEESG_SJ_SK_mSL_SN_bEUlT_E_NS1_11comp_targetILNS1_3genE0ELNS1_11target_archE4294967295ELNS1_3gpuE0ELNS1_3repE0EEENS1_30default_config_static_selectorELNS0_4arch9wavefront6targetE1EEEvT1_
    .private_segment_fixed_size: 0
    .sgpr_count:     4
    .sgpr_spill_count: 0
    .symbol:         _ZN7rocprim17ROCPRIM_400000_NS6detail17trampoline_kernelINS0_14default_configENS1_25transform_config_selectorIsLb0EEEZNS1_14transform_implILb0ES3_S5_NS0_18transform_iteratorINS0_17counting_iteratorImlEEZNS1_24adjacent_difference_implIS3_Lb1ELb0EPsSB_N6thrust23THRUST_200600_302600_NS5minusIsEEEE10hipError_tPvRmT2_T3_mT4_P12ihipStream_tbEUlmE_sEESB_NS0_8identityIvEEEESG_SJ_SK_mSL_SN_bEUlT_E_NS1_11comp_targetILNS1_3genE0ELNS1_11target_archE4294967295ELNS1_3gpuE0ELNS1_3repE0EEENS1_30default_config_static_selectorELNS0_4arch9wavefront6targetE1EEEvT1_.kd
    .uniform_work_group_size: 1
    .uses_dynamic_stack: false
    .vgpr_count:     0
    .vgpr_spill_count: 0
    .wavefront_size: 64
  - .agpr_count:     0
    .args:
      - .offset:         0
        .size:           56
        .value_kind:     by_value
    .group_segment_fixed_size: 0
    .kernarg_segment_align: 8
    .kernarg_segment_size: 56
    .language:       OpenCL C
    .language_version:
      - 2
      - 0
    .max_flat_workgroup_size: 256
    .name:           _ZN7rocprim17ROCPRIM_400000_NS6detail17trampoline_kernelINS0_14default_configENS1_25transform_config_selectorIsLb0EEEZNS1_14transform_implILb0ES3_S5_NS0_18transform_iteratorINS0_17counting_iteratorImlEEZNS1_24adjacent_difference_implIS3_Lb1ELb0EPsSB_N6thrust23THRUST_200600_302600_NS5minusIsEEEE10hipError_tPvRmT2_T3_mT4_P12ihipStream_tbEUlmE_sEESB_NS0_8identityIvEEEESG_SJ_SK_mSL_SN_bEUlT_E_NS1_11comp_targetILNS1_3genE5ELNS1_11target_archE942ELNS1_3gpuE9ELNS1_3repE0EEENS1_30default_config_static_selectorELNS0_4arch9wavefront6targetE1EEEvT1_
    .private_segment_fixed_size: 0
    .sgpr_count:     4
    .sgpr_spill_count: 0
    .symbol:         _ZN7rocprim17ROCPRIM_400000_NS6detail17trampoline_kernelINS0_14default_configENS1_25transform_config_selectorIsLb0EEEZNS1_14transform_implILb0ES3_S5_NS0_18transform_iteratorINS0_17counting_iteratorImlEEZNS1_24adjacent_difference_implIS3_Lb1ELb0EPsSB_N6thrust23THRUST_200600_302600_NS5minusIsEEEE10hipError_tPvRmT2_T3_mT4_P12ihipStream_tbEUlmE_sEESB_NS0_8identityIvEEEESG_SJ_SK_mSL_SN_bEUlT_E_NS1_11comp_targetILNS1_3genE5ELNS1_11target_archE942ELNS1_3gpuE9ELNS1_3repE0EEENS1_30default_config_static_selectorELNS0_4arch9wavefront6targetE1EEEvT1_.kd
    .uniform_work_group_size: 1
    .uses_dynamic_stack: false
    .vgpr_count:     0
    .vgpr_spill_count: 0
    .wavefront_size: 64
  - .agpr_count:     0
    .args:
      - .offset:         0
        .size:           56
        .value_kind:     by_value
      - .offset:         56
        .size:           4
        .value_kind:     hidden_block_count_x
      - .offset:         60
        .size:           4
        .value_kind:     hidden_block_count_y
      - .offset:         64
        .size:           4
        .value_kind:     hidden_block_count_z
      - .offset:         68
        .size:           2
        .value_kind:     hidden_group_size_x
      - .offset:         70
        .size:           2
        .value_kind:     hidden_group_size_y
      - .offset:         72
        .size:           2
        .value_kind:     hidden_group_size_z
      - .offset:         74
        .size:           2
        .value_kind:     hidden_remainder_x
      - .offset:         76
        .size:           2
        .value_kind:     hidden_remainder_y
      - .offset:         78
        .size:           2
        .value_kind:     hidden_remainder_z
      - .offset:         96
        .size:           8
        .value_kind:     hidden_global_offset_x
      - .offset:         104
        .size:           8
        .value_kind:     hidden_global_offset_y
      - .offset:         112
        .size:           8
        .value_kind:     hidden_global_offset_z
      - .offset:         120
        .size:           2
        .value_kind:     hidden_grid_dims
    .group_segment_fixed_size: 0
    .kernarg_segment_align: 8
    .kernarg_segment_size: 312
    .language:       OpenCL C
    .language_version:
      - 2
      - 0
    .max_flat_workgroup_size: 64
    .name:           _ZN7rocprim17ROCPRIM_400000_NS6detail17trampoline_kernelINS0_14default_configENS1_25transform_config_selectorIsLb0EEEZNS1_14transform_implILb0ES3_S5_NS0_18transform_iteratorINS0_17counting_iteratorImlEEZNS1_24adjacent_difference_implIS3_Lb1ELb0EPsSB_N6thrust23THRUST_200600_302600_NS5minusIsEEEE10hipError_tPvRmT2_T3_mT4_P12ihipStream_tbEUlmE_sEESB_NS0_8identityIvEEEESG_SJ_SK_mSL_SN_bEUlT_E_NS1_11comp_targetILNS1_3genE4ELNS1_11target_archE910ELNS1_3gpuE8ELNS1_3repE0EEENS1_30default_config_static_selectorELNS0_4arch9wavefront6targetE1EEEvT1_
    .private_segment_fixed_size: 0
    .sgpr_count:     34
    .sgpr_spill_count: 0
    .symbol:         _ZN7rocprim17ROCPRIM_400000_NS6detail17trampoline_kernelINS0_14default_configENS1_25transform_config_selectorIsLb0EEEZNS1_14transform_implILb0ES3_S5_NS0_18transform_iteratorINS0_17counting_iteratorImlEEZNS1_24adjacent_difference_implIS3_Lb1ELb0EPsSB_N6thrust23THRUST_200600_302600_NS5minusIsEEEE10hipError_tPvRmT2_T3_mT4_P12ihipStream_tbEUlmE_sEESB_NS0_8identityIvEEEESG_SJ_SK_mSL_SN_bEUlT_E_NS1_11comp_targetILNS1_3genE4ELNS1_11target_archE910ELNS1_3gpuE8ELNS1_3repE0EEENS1_30default_config_static_selectorELNS0_4arch9wavefront6targetE1EEEvT1_.kd
    .uniform_work_group_size: 1
    .uses_dynamic_stack: false
    .vgpr_count:     18
    .vgpr_spill_count: 0
    .wavefront_size: 64
  - .agpr_count:     0
    .args:
      - .offset:         0
        .size:           56
        .value_kind:     by_value
    .group_segment_fixed_size: 0
    .kernarg_segment_align: 8
    .kernarg_segment_size: 56
    .language:       OpenCL C
    .language_version:
      - 2
      - 0
    .max_flat_workgroup_size: 128
    .name:           _ZN7rocprim17ROCPRIM_400000_NS6detail17trampoline_kernelINS0_14default_configENS1_25transform_config_selectorIsLb0EEEZNS1_14transform_implILb0ES3_S5_NS0_18transform_iteratorINS0_17counting_iteratorImlEEZNS1_24adjacent_difference_implIS3_Lb1ELb0EPsSB_N6thrust23THRUST_200600_302600_NS5minusIsEEEE10hipError_tPvRmT2_T3_mT4_P12ihipStream_tbEUlmE_sEESB_NS0_8identityIvEEEESG_SJ_SK_mSL_SN_bEUlT_E_NS1_11comp_targetILNS1_3genE3ELNS1_11target_archE908ELNS1_3gpuE7ELNS1_3repE0EEENS1_30default_config_static_selectorELNS0_4arch9wavefront6targetE1EEEvT1_
    .private_segment_fixed_size: 0
    .sgpr_count:     4
    .sgpr_spill_count: 0
    .symbol:         _ZN7rocprim17ROCPRIM_400000_NS6detail17trampoline_kernelINS0_14default_configENS1_25transform_config_selectorIsLb0EEEZNS1_14transform_implILb0ES3_S5_NS0_18transform_iteratorINS0_17counting_iteratorImlEEZNS1_24adjacent_difference_implIS3_Lb1ELb0EPsSB_N6thrust23THRUST_200600_302600_NS5minusIsEEEE10hipError_tPvRmT2_T3_mT4_P12ihipStream_tbEUlmE_sEESB_NS0_8identityIvEEEESG_SJ_SK_mSL_SN_bEUlT_E_NS1_11comp_targetILNS1_3genE3ELNS1_11target_archE908ELNS1_3gpuE7ELNS1_3repE0EEENS1_30default_config_static_selectorELNS0_4arch9wavefront6targetE1EEEvT1_.kd
    .uniform_work_group_size: 1
    .uses_dynamic_stack: false
    .vgpr_count:     0
    .vgpr_spill_count: 0
    .wavefront_size: 64
  - .agpr_count:     0
    .args:
      - .offset:         0
        .size:           56
        .value_kind:     by_value
    .group_segment_fixed_size: 0
    .kernarg_segment_align: 8
    .kernarg_segment_size: 56
    .language:       OpenCL C
    .language_version:
      - 2
      - 0
    .max_flat_workgroup_size: 512
    .name:           _ZN7rocprim17ROCPRIM_400000_NS6detail17trampoline_kernelINS0_14default_configENS1_25transform_config_selectorIsLb0EEEZNS1_14transform_implILb0ES3_S5_NS0_18transform_iteratorINS0_17counting_iteratorImlEEZNS1_24adjacent_difference_implIS3_Lb1ELb0EPsSB_N6thrust23THRUST_200600_302600_NS5minusIsEEEE10hipError_tPvRmT2_T3_mT4_P12ihipStream_tbEUlmE_sEESB_NS0_8identityIvEEEESG_SJ_SK_mSL_SN_bEUlT_E_NS1_11comp_targetILNS1_3genE2ELNS1_11target_archE906ELNS1_3gpuE6ELNS1_3repE0EEENS1_30default_config_static_selectorELNS0_4arch9wavefront6targetE1EEEvT1_
    .private_segment_fixed_size: 0
    .sgpr_count:     4
    .sgpr_spill_count: 0
    .symbol:         _ZN7rocprim17ROCPRIM_400000_NS6detail17trampoline_kernelINS0_14default_configENS1_25transform_config_selectorIsLb0EEEZNS1_14transform_implILb0ES3_S5_NS0_18transform_iteratorINS0_17counting_iteratorImlEEZNS1_24adjacent_difference_implIS3_Lb1ELb0EPsSB_N6thrust23THRUST_200600_302600_NS5minusIsEEEE10hipError_tPvRmT2_T3_mT4_P12ihipStream_tbEUlmE_sEESB_NS0_8identityIvEEEESG_SJ_SK_mSL_SN_bEUlT_E_NS1_11comp_targetILNS1_3genE2ELNS1_11target_archE906ELNS1_3gpuE6ELNS1_3repE0EEENS1_30default_config_static_selectorELNS0_4arch9wavefront6targetE1EEEvT1_.kd
    .uniform_work_group_size: 1
    .uses_dynamic_stack: false
    .vgpr_count:     0
    .vgpr_spill_count: 0
    .wavefront_size: 64
  - .agpr_count:     0
    .args:
      - .offset:         0
        .size:           56
        .value_kind:     by_value
    .group_segment_fixed_size: 0
    .kernarg_segment_align: 8
    .kernarg_segment_size: 56
    .language:       OpenCL C
    .language_version:
      - 2
      - 0
    .max_flat_workgroup_size: 1024
    .name:           _ZN7rocprim17ROCPRIM_400000_NS6detail17trampoline_kernelINS0_14default_configENS1_25transform_config_selectorIsLb0EEEZNS1_14transform_implILb0ES3_S5_NS0_18transform_iteratorINS0_17counting_iteratorImlEEZNS1_24adjacent_difference_implIS3_Lb1ELb0EPsSB_N6thrust23THRUST_200600_302600_NS5minusIsEEEE10hipError_tPvRmT2_T3_mT4_P12ihipStream_tbEUlmE_sEESB_NS0_8identityIvEEEESG_SJ_SK_mSL_SN_bEUlT_E_NS1_11comp_targetILNS1_3genE10ELNS1_11target_archE1201ELNS1_3gpuE5ELNS1_3repE0EEENS1_30default_config_static_selectorELNS0_4arch9wavefront6targetE1EEEvT1_
    .private_segment_fixed_size: 0
    .sgpr_count:     4
    .sgpr_spill_count: 0
    .symbol:         _ZN7rocprim17ROCPRIM_400000_NS6detail17trampoline_kernelINS0_14default_configENS1_25transform_config_selectorIsLb0EEEZNS1_14transform_implILb0ES3_S5_NS0_18transform_iteratorINS0_17counting_iteratorImlEEZNS1_24adjacent_difference_implIS3_Lb1ELb0EPsSB_N6thrust23THRUST_200600_302600_NS5minusIsEEEE10hipError_tPvRmT2_T3_mT4_P12ihipStream_tbEUlmE_sEESB_NS0_8identityIvEEEESG_SJ_SK_mSL_SN_bEUlT_E_NS1_11comp_targetILNS1_3genE10ELNS1_11target_archE1201ELNS1_3gpuE5ELNS1_3repE0EEENS1_30default_config_static_selectorELNS0_4arch9wavefront6targetE1EEEvT1_.kd
    .uniform_work_group_size: 1
    .uses_dynamic_stack: false
    .vgpr_count:     0
    .vgpr_spill_count: 0
    .wavefront_size: 64
  - .agpr_count:     0
    .args:
      - .offset:         0
        .size:           56
        .value_kind:     by_value
    .group_segment_fixed_size: 0
    .kernarg_segment_align: 8
    .kernarg_segment_size: 56
    .language:       OpenCL C
    .language_version:
      - 2
      - 0
    .max_flat_workgroup_size: 512
    .name:           _ZN7rocprim17ROCPRIM_400000_NS6detail17trampoline_kernelINS0_14default_configENS1_25transform_config_selectorIsLb0EEEZNS1_14transform_implILb0ES3_S5_NS0_18transform_iteratorINS0_17counting_iteratorImlEEZNS1_24adjacent_difference_implIS3_Lb1ELb0EPsSB_N6thrust23THRUST_200600_302600_NS5minusIsEEEE10hipError_tPvRmT2_T3_mT4_P12ihipStream_tbEUlmE_sEESB_NS0_8identityIvEEEESG_SJ_SK_mSL_SN_bEUlT_E_NS1_11comp_targetILNS1_3genE10ELNS1_11target_archE1200ELNS1_3gpuE4ELNS1_3repE0EEENS1_30default_config_static_selectorELNS0_4arch9wavefront6targetE1EEEvT1_
    .private_segment_fixed_size: 0
    .sgpr_count:     4
    .sgpr_spill_count: 0
    .symbol:         _ZN7rocprim17ROCPRIM_400000_NS6detail17trampoline_kernelINS0_14default_configENS1_25transform_config_selectorIsLb0EEEZNS1_14transform_implILb0ES3_S5_NS0_18transform_iteratorINS0_17counting_iteratorImlEEZNS1_24adjacent_difference_implIS3_Lb1ELb0EPsSB_N6thrust23THRUST_200600_302600_NS5minusIsEEEE10hipError_tPvRmT2_T3_mT4_P12ihipStream_tbEUlmE_sEESB_NS0_8identityIvEEEESG_SJ_SK_mSL_SN_bEUlT_E_NS1_11comp_targetILNS1_3genE10ELNS1_11target_archE1200ELNS1_3gpuE4ELNS1_3repE0EEENS1_30default_config_static_selectorELNS0_4arch9wavefront6targetE1EEEvT1_.kd
    .uniform_work_group_size: 1
    .uses_dynamic_stack: false
    .vgpr_count:     0
    .vgpr_spill_count: 0
    .wavefront_size: 64
  - .agpr_count:     0
    .args:
      - .offset:         0
        .size:           56
        .value_kind:     by_value
    .group_segment_fixed_size: 0
    .kernarg_segment_align: 8
    .kernarg_segment_size: 56
    .language:       OpenCL C
    .language_version:
      - 2
      - 0
    .max_flat_workgroup_size: 1024
    .name:           _ZN7rocprim17ROCPRIM_400000_NS6detail17trampoline_kernelINS0_14default_configENS1_25transform_config_selectorIsLb0EEEZNS1_14transform_implILb0ES3_S5_NS0_18transform_iteratorINS0_17counting_iteratorImlEEZNS1_24adjacent_difference_implIS3_Lb1ELb0EPsSB_N6thrust23THRUST_200600_302600_NS5minusIsEEEE10hipError_tPvRmT2_T3_mT4_P12ihipStream_tbEUlmE_sEESB_NS0_8identityIvEEEESG_SJ_SK_mSL_SN_bEUlT_E_NS1_11comp_targetILNS1_3genE9ELNS1_11target_archE1100ELNS1_3gpuE3ELNS1_3repE0EEENS1_30default_config_static_selectorELNS0_4arch9wavefront6targetE1EEEvT1_
    .private_segment_fixed_size: 0
    .sgpr_count:     4
    .sgpr_spill_count: 0
    .symbol:         _ZN7rocprim17ROCPRIM_400000_NS6detail17trampoline_kernelINS0_14default_configENS1_25transform_config_selectorIsLb0EEEZNS1_14transform_implILb0ES3_S5_NS0_18transform_iteratorINS0_17counting_iteratorImlEEZNS1_24adjacent_difference_implIS3_Lb1ELb0EPsSB_N6thrust23THRUST_200600_302600_NS5minusIsEEEE10hipError_tPvRmT2_T3_mT4_P12ihipStream_tbEUlmE_sEESB_NS0_8identityIvEEEESG_SJ_SK_mSL_SN_bEUlT_E_NS1_11comp_targetILNS1_3genE9ELNS1_11target_archE1100ELNS1_3gpuE3ELNS1_3repE0EEENS1_30default_config_static_selectorELNS0_4arch9wavefront6targetE1EEEvT1_.kd
    .uniform_work_group_size: 1
    .uses_dynamic_stack: false
    .vgpr_count:     0
    .vgpr_spill_count: 0
    .wavefront_size: 64
  - .agpr_count:     0
    .args:
      - .offset:         0
        .size:           56
        .value_kind:     by_value
    .group_segment_fixed_size: 0
    .kernarg_segment_align: 8
    .kernarg_segment_size: 56
    .language:       OpenCL C
    .language_version:
      - 2
      - 0
    .max_flat_workgroup_size: 1024
    .name:           _ZN7rocprim17ROCPRIM_400000_NS6detail17trampoline_kernelINS0_14default_configENS1_25transform_config_selectorIsLb0EEEZNS1_14transform_implILb0ES3_S5_NS0_18transform_iteratorINS0_17counting_iteratorImlEEZNS1_24adjacent_difference_implIS3_Lb1ELb0EPsSB_N6thrust23THRUST_200600_302600_NS5minusIsEEEE10hipError_tPvRmT2_T3_mT4_P12ihipStream_tbEUlmE_sEESB_NS0_8identityIvEEEESG_SJ_SK_mSL_SN_bEUlT_E_NS1_11comp_targetILNS1_3genE8ELNS1_11target_archE1030ELNS1_3gpuE2ELNS1_3repE0EEENS1_30default_config_static_selectorELNS0_4arch9wavefront6targetE1EEEvT1_
    .private_segment_fixed_size: 0
    .sgpr_count:     4
    .sgpr_spill_count: 0
    .symbol:         _ZN7rocprim17ROCPRIM_400000_NS6detail17trampoline_kernelINS0_14default_configENS1_25transform_config_selectorIsLb0EEEZNS1_14transform_implILb0ES3_S5_NS0_18transform_iteratorINS0_17counting_iteratorImlEEZNS1_24adjacent_difference_implIS3_Lb1ELb0EPsSB_N6thrust23THRUST_200600_302600_NS5minusIsEEEE10hipError_tPvRmT2_T3_mT4_P12ihipStream_tbEUlmE_sEESB_NS0_8identityIvEEEESG_SJ_SK_mSL_SN_bEUlT_E_NS1_11comp_targetILNS1_3genE8ELNS1_11target_archE1030ELNS1_3gpuE2ELNS1_3repE0EEENS1_30default_config_static_selectorELNS0_4arch9wavefront6targetE1EEEvT1_.kd
    .uniform_work_group_size: 1
    .uses_dynamic_stack: false
    .vgpr_count:     0
    .vgpr_spill_count: 0
    .wavefront_size: 64
  - .agpr_count:     0
    .args:
      - .offset:         0
        .size:           56
        .value_kind:     by_value
    .group_segment_fixed_size: 0
    .kernarg_segment_align: 8
    .kernarg_segment_size: 56
    .language:       OpenCL C
    .language_version:
      - 2
      - 0
    .max_flat_workgroup_size: 32
    .name:           _ZN7rocprim17ROCPRIM_400000_NS6detail17trampoline_kernelINS0_14default_configENS1_35adjacent_difference_config_selectorILb1EsEEZNS1_24adjacent_difference_implIS3_Lb1ELb0EPsS7_N6thrust23THRUST_200600_302600_NS5minusIsEEEE10hipError_tPvRmT2_T3_mT4_P12ihipStream_tbEUlT_E_NS1_11comp_targetILNS1_3genE0ELNS1_11target_archE4294967295ELNS1_3gpuE0ELNS1_3repE0EEENS1_30default_config_static_selectorELNS0_4arch9wavefront6targetE1EEEvT1_
    .private_segment_fixed_size: 0
    .sgpr_count:     4
    .sgpr_spill_count: 0
    .symbol:         _ZN7rocprim17ROCPRIM_400000_NS6detail17trampoline_kernelINS0_14default_configENS1_35adjacent_difference_config_selectorILb1EsEEZNS1_24adjacent_difference_implIS3_Lb1ELb0EPsS7_N6thrust23THRUST_200600_302600_NS5minusIsEEEE10hipError_tPvRmT2_T3_mT4_P12ihipStream_tbEUlT_E_NS1_11comp_targetILNS1_3genE0ELNS1_11target_archE4294967295ELNS1_3gpuE0ELNS1_3repE0EEENS1_30default_config_static_selectorELNS0_4arch9wavefront6targetE1EEEvT1_.kd
    .uniform_work_group_size: 1
    .uses_dynamic_stack: false
    .vgpr_count:     0
    .vgpr_spill_count: 0
    .wavefront_size: 64
  - .agpr_count:     0
    .args:
      - .offset:         0
        .size:           56
        .value_kind:     by_value
    .group_segment_fixed_size: 0
    .kernarg_segment_align: 8
    .kernarg_segment_size: 56
    .language:       OpenCL C
    .language_version:
      - 2
      - 0
    .max_flat_workgroup_size: 512
    .name:           _ZN7rocprim17ROCPRIM_400000_NS6detail17trampoline_kernelINS0_14default_configENS1_35adjacent_difference_config_selectorILb1EsEEZNS1_24adjacent_difference_implIS3_Lb1ELb0EPsS7_N6thrust23THRUST_200600_302600_NS5minusIsEEEE10hipError_tPvRmT2_T3_mT4_P12ihipStream_tbEUlT_E_NS1_11comp_targetILNS1_3genE10ELNS1_11target_archE1201ELNS1_3gpuE5ELNS1_3repE0EEENS1_30default_config_static_selectorELNS0_4arch9wavefront6targetE1EEEvT1_
    .private_segment_fixed_size: 0
    .sgpr_count:     4
    .sgpr_spill_count: 0
    .symbol:         _ZN7rocprim17ROCPRIM_400000_NS6detail17trampoline_kernelINS0_14default_configENS1_35adjacent_difference_config_selectorILb1EsEEZNS1_24adjacent_difference_implIS3_Lb1ELb0EPsS7_N6thrust23THRUST_200600_302600_NS5minusIsEEEE10hipError_tPvRmT2_T3_mT4_P12ihipStream_tbEUlT_E_NS1_11comp_targetILNS1_3genE10ELNS1_11target_archE1201ELNS1_3gpuE5ELNS1_3repE0EEENS1_30default_config_static_selectorELNS0_4arch9wavefront6targetE1EEEvT1_.kd
    .uniform_work_group_size: 1
    .uses_dynamic_stack: false
    .vgpr_count:     0
    .vgpr_spill_count: 0
    .wavefront_size: 64
  - .agpr_count:     0
    .args:
      - .offset:         0
        .size:           56
        .value_kind:     by_value
    .group_segment_fixed_size: 0
    .kernarg_segment_align: 8
    .kernarg_segment_size: 56
    .language:       OpenCL C
    .language_version:
      - 2
      - 0
    .max_flat_workgroup_size: 64
    .name:           _ZN7rocprim17ROCPRIM_400000_NS6detail17trampoline_kernelINS0_14default_configENS1_35adjacent_difference_config_selectorILb1EsEEZNS1_24adjacent_difference_implIS3_Lb1ELb0EPsS7_N6thrust23THRUST_200600_302600_NS5minusIsEEEE10hipError_tPvRmT2_T3_mT4_P12ihipStream_tbEUlT_E_NS1_11comp_targetILNS1_3genE5ELNS1_11target_archE942ELNS1_3gpuE9ELNS1_3repE0EEENS1_30default_config_static_selectorELNS0_4arch9wavefront6targetE1EEEvT1_
    .private_segment_fixed_size: 0
    .sgpr_count:     4
    .sgpr_spill_count: 0
    .symbol:         _ZN7rocprim17ROCPRIM_400000_NS6detail17trampoline_kernelINS0_14default_configENS1_35adjacent_difference_config_selectorILb1EsEEZNS1_24adjacent_difference_implIS3_Lb1ELb0EPsS7_N6thrust23THRUST_200600_302600_NS5minusIsEEEE10hipError_tPvRmT2_T3_mT4_P12ihipStream_tbEUlT_E_NS1_11comp_targetILNS1_3genE5ELNS1_11target_archE942ELNS1_3gpuE9ELNS1_3repE0EEENS1_30default_config_static_selectorELNS0_4arch9wavefront6targetE1EEEvT1_.kd
    .uniform_work_group_size: 1
    .uses_dynamic_stack: false
    .vgpr_count:     0
    .vgpr_spill_count: 0
    .wavefront_size: 64
  - .agpr_count:     0
    .args:
      - .offset:         0
        .size:           56
        .value_kind:     by_value
    .group_segment_fixed_size: 2176
    .kernarg_segment_align: 8
    .kernarg_segment_size: 56
    .language:       OpenCL C
    .language_version:
      - 2
      - 0
    .max_flat_workgroup_size: 64
    .name:           _ZN7rocprim17ROCPRIM_400000_NS6detail17trampoline_kernelINS0_14default_configENS1_35adjacent_difference_config_selectorILb1EsEEZNS1_24adjacent_difference_implIS3_Lb1ELb0EPsS7_N6thrust23THRUST_200600_302600_NS5minusIsEEEE10hipError_tPvRmT2_T3_mT4_P12ihipStream_tbEUlT_E_NS1_11comp_targetILNS1_3genE4ELNS1_11target_archE910ELNS1_3gpuE8ELNS1_3repE0EEENS1_30default_config_static_selectorELNS0_4arch9wavefront6targetE1EEEvT1_
    .private_segment_fixed_size: 0
    .sgpr_count:     33
    .sgpr_spill_count: 0
    .symbol:         _ZN7rocprim17ROCPRIM_400000_NS6detail17trampoline_kernelINS0_14default_configENS1_35adjacent_difference_config_selectorILb1EsEEZNS1_24adjacent_difference_implIS3_Lb1ELb0EPsS7_N6thrust23THRUST_200600_302600_NS5minusIsEEEE10hipError_tPvRmT2_T3_mT4_P12ihipStream_tbEUlT_E_NS1_11comp_targetILNS1_3genE4ELNS1_11target_archE910ELNS1_3gpuE8ELNS1_3repE0EEENS1_30default_config_static_selectorELNS0_4arch9wavefront6targetE1EEEvT1_.kd
    .uniform_work_group_size: 1
    .uses_dynamic_stack: false
    .vgpr_count:     34
    .vgpr_spill_count: 0
    .wavefront_size: 64
  - .agpr_count:     0
    .args:
      - .offset:         0
        .size:           56
        .value_kind:     by_value
    .group_segment_fixed_size: 0
    .kernarg_segment_align: 8
    .kernarg_segment_size: 56
    .language:       OpenCL C
    .language_version:
      - 2
      - 0
    .max_flat_workgroup_size: 32
    .name:           _ZN7rocprim17ROCPRIM_400000_NS6detail17trampoline_kernelINS0_14default_configENS1_35adjacent_difference_config_selectorILb1EsEEZNS1_24adjacent_difference_implIS3_Lb1ELb0EPsS7_N6thrust23THRUST_200600_302600_NS5minusIsEEEE10hipError_tPvRmT2_T3_mT4_P12ihipStream_tbEUlT_E_NS1_11comp_targetILNS1_3genE3ELNS1_11target_archE908ELNS1_3gpuE7ELNS1_3repE0EEENS1_30default_config_static_selectorELNS0_4arch9wavefront6targetE1EEEvT1_
    .private_segment_fixed_size: 0
    .sgpr_count:     4
    .sgpr_spill_count: 0
    .symbol:         _ZN7rocprim17ROCPRIM_400000_NS6detail17trampoline_kernelINS0_14default_configENS1_35adjacent_difference_config_selectorILb1EsEEZNS1_24adjacent_difference_implIS3_Lb1ELb0EPsS7_N6thrust23THRUST_200600_302600_NS5minusIsEEEE10hipError_tPvRmT2_T3_mT4_P12ihipStream_tbEUlT_E_NS1_11comp_targetILNS1_3genE3ELNS1_11target_archE908ELNS1_3gpuE7ELNS1_3repE0EEENS1_30default_config_static_selectorELNS0_4arch9wavefront6targetE1EEEvT1_.kd
    .uniform_work_group_size: 1
    .uses_dynamic_stack: false
    .vgpr_count:     0
    .vgpr_spill_count: 0
    .wavefront_size: 64
  - .agpr_count:     0
    .args:
      - .offset:         0
        .size:           56
        .value_kind:     by_value
    .group_segment_fixed_size: 0
    .kernarg_segment_align: 8
    .kernarg_segment_size: 56
    .language:       OpenCL C
    .language_version:
      - 2
      - 0
    .max_flat_workgroup_size: 64
    .name:           _ZN7rocprim17ROCPRIM_400000_NS6detail17trampoline_kernelINS0_14default_configENS1_35adjacent_difference_config_selectorILb1EsEEZNS1_24adjacent_difference_implIS3_Lb1ELb0EPsS7_N6thrust23THRUST_200600_302600_NS5minusIsEEEE10hipError_tPvRmT2_T3_mT4_P12ihipStream_tbEUlT_E_NS1_11comp_targetILNS1_3genE2ELNS1_11target_archE906ELNS1_3gpuE6ELNS1_3repE0EEENS1_30default_config_static_selectorELNS0_4arch9wavefront6targetE1EEEvT1_
    .private_segment_fixed_size: 0
    .sgpr_count:     4
    .sgpr_spill_count: 0
    .symbol:         _ZN7rocprim17ROCPRIM_400000_NS6detail17trampoline_kernelINS0_14default_configENS1_35adjacent_difference_config_selectorILb1EsEEZNS1_24adjacent_difference_implIS3_Lb1ELb0EPsS7_N6thrust23THRUST_200600_302600_NS5minusIsEEEE10hipError_tPvRmT2_T3_mT4_P12ihipStream_tbEUlT_E_NS1_11comp_targetILNS1_3genE2ELNS1_11target_archE906ELNS1_3gpuE6ELNS1_3repE0EEENS1_30default_config_static_selectorELNS0_4arch9wavefront6targetE1EEEvT1_.kd
    .uniform_work_group_size: 1
    .uses_dynamic_stack: false
    .vgpr_count:     0
    .vgpr_spill_count: 0
    .wavefront_size: 64
  - .agpr_count:     0
    .args:
      - .offset:         0
        .size:           56
        .value_kind:     by_value
    .group_segment_fixed_size: 0
    .kernarg_segment_align: 8
    .kernarg_segment_size: 56
    .language:       OpenCL C
    .language_version:
      - 2
      - 0
    .max_flat_workgroup_size: 128
    .name:           _ZN7rocprim17ROCPRIM_400000_NS6detail17trampoline_kernelINS0_14default_configENS1_35adjacent_difference_config_selectorILb1EsEEZNS1_24adjacent_difference_implIS3_Lb1ELb0EPsS7_N6thrust23THRUST_200600_302600_NS5minusIsEEEE10hipError_tPvRmT2_T3_mT4_P12ihipStream_tbEUlT_E_NS1_11comp_targetILNS1_3genE9ELNS1_11target_archE1100ELNS1_3gpuE3ELNS1_3repE0EEENS1_30default_config_static_selectorELNS0_4arch9wavefront6targetE1EEEvT1_
    .private_segment_fixed_size: 0
    .sgpr_count:     4
    .sgpr_spill_count: 0
    .symbol:         _ZN7rocprim17ROCPRIM_400000_NS6detail17trampoline_kernelINS0_14default_configENS1_35adjacent_difference_config_selectorILb1EsEEZNS1_24adjacent_difference_implIS3_Lb1ELb0EPsS7_N6thrust23THRUST_200600_302600_NS5minusIsEEEE10hipError_tPvRmT2_T3_mT4_P12ihipStream_tbEUlT_E_NS1_11comp_targetILNS1_3genE9ELNS1_11target_archE1100ELNS1_3gpuE3ELNS1_3repE0EEENS1_30default_config_static_selectorELNS0_4arch9wavefront6targetE1EEEvT1_.kd
    .uniform_work_group_size: 1
    .uses_dynamic_stack: false
    .vgpr_count:     0
    .vgpr_spill_count: 0
    .wavefront_size: 64
  - .agpr_count:     0
    .args:
      - .offset:         0
        .size:           56
        .value_kind:     by_value
    .group_segment_fixed_size: 0
    .kernarg_segment_align: 8
    .kernarg_segment_size: 56
    .language:       OpenCL C
    .language_version:
      - 2
      - 0
    .max_flat_workgroup_size: 512
    .name:           _ZN7rocprim17ROCPRIM_400000_NS6detail17trampoline_kernelINS0_14default_configENS1_35adjacent_difference_config_selectorILb1EsEEZNS1_24adjacent_difference_implIS3_Lb1ELb0EPsS7_N6thrust23THRUST_200600_302600_NS5minusIsEEEE10hipError_tPvRmT2_T3_mT4_P12ihipStream_tbEUlT_E_NS1_11comp_targetILNS1_3genE8ELNS1_11target_archE1030ELNS1_3gpuE2ELNS1_3repE0EEENS1_30default_config_static_selectorELNS0_4arch9wavefront6targetE1EEEvT1_
    .private_segment_fixed_size: 0
    .sgpr_count:     4
    .sgpr_spill_count: 0
    .symbol:         _ZN7rocprim17ROCPRIM_400000_NS6detail17trampoline_kernelINS0_14default_configENS1_35adjacent_difference_config_selectorILb1EsEEZNS1_24adjacent_difference_implIS3_Lb1ELb0EPsS7_N6thrust23THRUST_200600_302600_NS5minusIsEEEE10hipError_tPvRmT2_T3_mT4_P12ihipStream_tbEUlT_E_NS1_11comp_targetILNS1_3genE8ELNS1_11target_archE1030ELNS1_3gpuE2ELNS1_3repE0EEENS1_30default_config_static_selectorELNS0_4arch9wavefront6targetE1EEEvT1_.kd
    .uniform_work_group_size: 1
    .uses_dynamic_stack: false
    .vgpr_count:     0
    .vgpr_spill_count: 0
    .wavefront_size: 64
  - .agpr_count:     0
    .args:
      - .offset:         0
        .size:           56
        .value_kind:     by_value
    .group_segment_fixed_size: 0
    .kernarg_segment_align: 8
    .kernarg_segment_size: 56
    .language:       OpenCL C
    .language_version:
      - 2
      - 0
    .max_flat_workgroup_size: 64
    .name:           _ZN7rocprim17ROCPRIM_400000_NS6detail17trampoline_kernelINS0_14default_configENS1_35adjacent_difference_config_selectorILb0EsEEZNS1_24adjacent_difference_implIS3_Lb0ELb0EPsS7_N6thrust23THRUST_200600_302600_NS4plusIsEEEE10hipError_tPvRmT2_T3_mT4_P12ihipStream_tbEUlT_E_NS1_11comp_targetILNS1_3genE0ELNS1_11target_archE4294967295ELNS1_3gpuE0ELNS1_3repE0EEENS1_30default_config_static_selectorELNS0_4arch9wavefront6targetE1EEEvT1_
    .private_segment_fixed_size: 0
    .sgpr_count:     4
    .sgpr_spill_count: 0
    .symbol:         _ZN7rocprim17ROCPRIM_400000_NS6detail17trampoline_kernelINS0_14default_configENS1_35adjacent_difference_config_selectorILb0EsEEZNS1_24adjacent_difference_implIS3_Lb0ELb0EPsS7_N6thrust23THRUST_200600_302600_NS4plusIsEEEE10hipError_tPvRmT2_T3_mT4_P12ihipStream_tbEUlT_E_NS1_11comp_targetILNS1_3genE0ELNS1_11target_archE4294967295ELNS1_3gpuE0ELNS1_3repE0EEENS1_30default_config_static_selectorELNS0_4arch9wavefront6targetE1EEEvT1_.kd
    .uniform_work_group_size: 1
    .uses_dynamic_stack: false
    .vgpr_count:     0
    .vgpr_spill_count: 0
    .wavefront_size: 64
  - .agpr_count:     0
    .args:
      - .offset:         0
        .size:           56
        .value_kind:     by_value
    .group_segment_fixed_size: 0
    .kernarg_segment_align: 8
    .kernarg_segment_size: 56
    .language:       OpenCL C
    .language_version:
      - 2
      - 0
    .max_flat_workgroup_size: 128
    .name:           _ZN7rocprim17ROCPRIM_400000_NS6detail17trampoline_kernelINS0_14default_configENS1_35adjacent_difference_config_selectorILb0EsEEZNS1_24adjacent_difference_implIS3_Lb0ELb0EPsS7_N6thrust23THRUST_200600_302600_NS4plusIsEEEE10hipError_tPvRmT2_T3_mT4_P12ihipStream_tbEUlT_E_NS1_11comp_targetILNS1_3genE10ELNS1_11target_archE1201ELNS1_3gpuE5ELNS1_3repE0EEENS1_30default_config_static_selectorELNS0_4arch9wavefront6targetE1EEEvT1_
    .private_segment_fixed_size: 0
    .sgpr_count:     4
    .sgpr_spill_count: 0
    .symbol:         _ZN7rocprim17ROCPRIM_400000_NS6detail17trampoline_kernelINS0_14default_configENS1_35adjacent_difference_config_selectorILb0EsEEZNS1_24adjacent_difference_implIS3_Lb0ELb0EPsS7_N6thrust23THRUST_200600_302600_NS4plusIsEEEE10hipError_tPvRmT2_T3_mT4_P12ihipStream_tbEUlT_E_NS1_11comp_targetILNS1_3genE10ELNS1_11target_archE1201ELNS1_3gpuE5ELNS1_3repE0EEENS1_30default_config_static_selectorELNS0_4arch9wavefront6targetE1EEEvT1_.kd
    .uniform_work_group_size: 1
    .uses_dynamic_stack: false
    .vgpr_count:     0
    .vgpr_spill_count: 0
    .wavefront_size: 64
  - .agpr_count:     0
    .args:
      - .offset:         0
        .size:           56
        .value_kind:     by_value
    .group_segment_fixed_size: 0
    .kernarg_segment_align: 8
    .kernarg_segment_size: 56
    .language:       OpenCL C
    .language_version:
      - 2
      - 0
    .max_flat_workgroup_size: 256
    .name:           _ZN7rocprim17ROCPRIM_400000_NS6detail17trampoline_kernelINS0_14default_configENS1_35adjacent_difference_config_selectorILb0EsEEZNS1_24adjacent_difference_implIS3_Lb0ELb0EPsS7_N6thrust23THRUST_200600_302600_NS4plusIsEEEE10hipError_tPvRmT2_T3_mT4_P12ihipStream_tbEUlT_E_NS1_11comp_targetILNS1_3genE5ELNS1_11target_archE942ELNS1_3gpuE9ELNS1_3repE0EEENS1_30default_config_static_selectorELNS0_4arch9wavefront6targetE1EEEvT1_
    .private_segment_fixed_size: 0
    .sgpr_count:     4
    .sgpr_spill_count: 0
    .symbol:         _ZN7rocprim17ROCPRIM_400000_NS6detail17trampoline_kernelINS0_14default_configENS1_35adjacent_difference_config_selectorILb0EsEEZNS1_24adjacent_difference_implIS3_Lb0ELb0EPsS7_N6thrust23THRUST_200600_302600_NS4plusIsEEEE10hipError_tPvRmT2_T3_mT4_P12ihipStream_tbEUlT_E_NS1_11comp_targetILNS1_3genE5ELNS1_11target_archE942ELNS1_3gpuE9ELNS1_3repE0EEENS1_30default_config_static_selectorELNS0_4arch9wavefront6targetE1EEEvT1_.kd
    .uniform_work_group_size: 1
    .uses_dynamic_stack: false
    .vgpr_count:     0
    .vgpr_spill_count: 0
    .wavefront_size: 64
  - .agpr_count:     0
    .args:
      - .offset:         0
        .size:           56
        .value_kind:     by_value
    .group_segment_fixed_size: 2176
    .kernarg_segment_align: 8
    .kernarg_segment_size: 56
    .language:       OpenCL C
    .language_version:
      - 2
      - 0
    .max_flat_workgroup_size: 64
    .name:           _ZN7rocprim17ROCPRIM_400000_NS6detail17trampoline_kernelINS0_14default_configENS1_35adjacent_difference_config_selectorILb0EsEEZNS1_24adjacent_difference_implIS3_Lb0ELb0EPsS7_N6thrust23THRUST_200600_302600_NS4plusIsEEEE10hipError_tPvRmT2_T3_mT4_P12ihipStream_tbEUlT_E_NS1_11comp_targetILNS1_3genE4ELNS1_11target_archE910ELNS1_3gpuE8ELNS1_3repE0EEENS1_30default_config_static_selectorELNS0_4arch9wavefront6targetE1EEEvT1_
    .private_segment_fixed_size: 0
    .sgpr_count:     27
    .sgpr_spill_count: 0
    .symbol:         _ZN7rocprim17ROCPRIM_400000_NS6detail17trampoline_kernelINS0_14default_configENS1_35adjacent_difference_config_selectorILb0EsEEZNS1_24adjacent_difference_implIS3_Lb0ELb0EPsS7_N6thrust23THRUST_200600_302600_NS4plusIsEEEE10hipError_tPvRmT2_T3_mT4_P12ihipStream_tbEUlT_E_NS1_11comp_targetILNS1_3genE4ELNS1_11target_archE910ELNS1_3gpuE8ELNS1_3repE0EEENS1_30default_config_static_selectorELNS0_4arch9wavefront6targetE1EEEvT1_.kd
    .uniform_work_group_size: 1
    .uses_dynamic_stack: false
    .vgpr_count:     32
    .vgpr_spill_count: 0
    .wavefront_size: 64
  - .agpr_count:     0
    .args:
      - .offset:         0
        .size:           56
        .value_kind:     by_value
    .group_segment_fixed_size: 0
    .kernarg_segment_align: 8
    .kernarg_segment_size: 56
    .language:       OpenCL C
    .language_version:
      - 2
      - 0
    .max_flat_workgroup_size: 64
    .name:           _ZN7rocprim17ROCPRIM_400000_NS6detail17trampoline_kernelINS0_14default_configENS1_35adjacent_difference_config_selectorILb0EsEEZNS1_24adjacent_difference_implIS3_Lb0ELb0EPsS7_N6thrust23THRUST_200600_302600_NS4plusIsEEEE10hipError_tPvRmT2_T3_mT4_P12ihipStream_tbEUlT_E_NS1_11comp_targetILNS1_3genE3ELNS1_11target_archE908ELNS1_3gpuE7ELNS1_3repE0EEENS1_30default_config_static_selectorELNS0_4arch9wavefront6targetE1EEEvT1_
    .private_segment_fixed_size: 0
    .sgpr_count:     4
    .sgpr_spill_count: 0
    .symbol:         _ZN7rocprim17ROCPRIM_400000_NS6detail17trampoline_kernelINS0_14default_configENS1_35adjacent_difference_config_selectorILb0EsEEZNS1_24adjacent_difference_implIS3_Lb0ELb0EPsS7_N6thrust23THRUST_200600_302600_NS4plusIsEEEE10hipError_tPvRmT2_T3_mT4_P12ihipStream_tbEUlT_E_NS1_11comp_targetILNS1_3genE3ELNS1_11target_archE908ELNS1_3gpuE7ELNS1_3repE0EEENS1_30default_config_static_selectorELNS0_4arch9wavefront6targetE1EEEvT1_.kd
    .uniform_work_group_size: 1
    .uses_dynamic_stack: false
    .vgpr_count:     0
    .vgpr_spill_count: 0
    .wavefront_size: 64
  - .agpr_count:     0
    .args:
      - .offset:         0
        .size:           56
        .value_kind:     by_value
    .group_segment_fixed_size: 0
    .kernarg_segment_align: 8
    .kernarg_segment_size: 56
    .language:       OpenCL C
    .language_version:
      - 2
      - 0
    .max_flat_workgroup_size: 64
    .name:           _ZN7rocprim17ROCPRIM_400000_NS6detail17trampoline_kernelINS0_14default_configENS1_35adjacent_difference_config_selectorILb0EsEEZNS1_24adjacent_difference_implIS3_Lb0ELb0EPsS7_N6thrust23THRUST_200600_302600_NS4plusIsEEEE10hipError_tPvRmT2_T3_mT4_P12ihipStream_tbEUlT_E_NS1_11comp_targetILNS1_3genE2ELNS1_11target_archE906ELNS1_3gpuE6ELNS1_3repE0EEENS1_30default_config_static_selectorELNS0_4arch9wavefront6targetE1EEEvT1_
    .private_segment_fixed_size: 0
    .sgpr_count:     4
    .sgpr_spill_count: 0
    .symbol:         _ZN7rocprim17ROCPRIM_400000_NS6detail17trampoline_kernelINS0_14default_configENS1_35adjacent_difference_config_selectorILb0EsEEZNS1_24adjacent_difference_implIS3_Lb0ELb0EPsS7_N6thrust23THRUST_200600_302600_NS4plusIsEEEE10hipError_tPvRmT2_T3_mT4_P12ihipStream_tbEUlT_E_NS1_11comp_targetILNS1_3genE2ELNS1_11target_archE906ELNS1_3gpuE6ELNS1_3repE0EEENS1_30default_config_static_selectorELNS0_4arch9wavefront6targetE1EEEvT1_.kd
    .uniform_work_group_size: 1
    .uses_dynamic_stack: false
    .vgpr_count:     0
    .vgpr_spill_count: 0
    .wavefront_size: 64
  - .agpr_count:     0
    .args:
      - .offset:         0
        .size:           56
        .value_kind:     by_value
    .group_segment_fixed_size: 0
    .kernarg_segment_align: 8
    .kernarg_segment_size: 56
    .language:       OpenCL C
    .language_version:
      - 2
      - 0
    .max_flat_workgroup_size: 64
    .name:           _ZN7rocprim17ROCPRIM_400000_NS6detail17trampoline_kernelINS0_14default_configENS1_35adjacent_difference_config_selectorILb0EsEEZNS1_24adjacent_difference_implIS3_Lb0ELb0EPsS7_N6thrust23THRUST_200600_302600_NS4plusIsEEEE10hipError_tPvRmT2_T3_mT4_P12ihipStream_tbEUlT_E_NS1_11comp_targetILNS1_3genE9ELNS1_11target_archE1100ELNS1_3gpuE3ELNS1_3repE0EEENS1_30default_config_static_selectorELNS0_4arch9wavefront6targetE1EEEvT1_
    .private_segment_fixed_size: 0
    .sgpr_count:     4
    .sgpr_spill_count: 0
    .symbol:         _ZN7rocprim17ROCPRIM_400000_NS6detail17trampoline_kernelINS0_14default_configENS1_35adjacent_difference_config_selectorILb0EsEEZNS1_24adjacent_difference_implIS3_Lb0ELb0EPsS7_N6thrust23THRUST_200600_302600_NS4plusIsEEEE10hipError_tPvRmT2_T3_mT4_P12ihipStream_tbEUlT_E_NS1_11comp_targetILNS1_3genE9ELNS1_11target_archE1100ELNS1_3gpuE3ELNS1_3repE0EEENS1_30default_config_static_selectorELNS0_4arch9wavefront6targetE1EEEvT1_.kd
    .uniform_work_group_size: 1
    .uses_dynamic_stack: false
    .vgpr_count:     0
    .vgpr_spill_count: 0
    .wavefront_size: 64
  - .agpr_count:     0
    .args:
      - .offset:         0
        .size:           56
        .value_kind:     by_value
    .group_segment_fixed_size: 0
    .kernarg_segment_align: 8
    .kernarg_segment_size: 56
    .language:       OpenCL C
    .language_version:
      - 2
      - 0
    .max_flat_workgroup_size: 1024
    .name:           _ZN7rocprim17ROCPRIM_400000_NS6detail17trampoline_kernelINS0_14default_configENS1_35adjacent_difference_config_selectorILb0EsEEZNS1_24adjacent_difference_implIS3_Lb0ELb0EPsS7_N6thrust23THRUST_200600_302600_NS4plusIsEEEE10hipError_tPvRmT2_T3_mT4_P12ihipStream_tbEUlT_E_NS1_11comp_targetILNS1_3genE8ELNS1_11target_archE1030ELNS1_3gpuE2ELNS1_3repE0EEENS1_30default_config_static_selectorELNS0_4arch9wavefront6targetE1EEEvT1_
    .private_segment_fixed_size: 0
    .sgpr_count:     4
    .sgpr_spill_count: 0
    .symbol:         _ZN7rocprim17ROCPRIM_400000_NS6detail17trampoline_kernelINS0_14default_configENS1_35adjacent_difference_config_selectorILb0EsEEZNS1_24adjacent_difference_implIS3_Lb0ELb0EPsS7_N6thrust23THRUST_200600_302600_NS4plusIsEEEE10hipError_tPvRmT2_T3_mT4_P12ihipStream_tbEUlT_E_NS1_11comp_targetILNS1_3genE8ELNS1_11target_archE1030ELNS1_3gpuE2ELNS1_3repE0EEENS1_30default_config_static_selectorELNS0_4arch9wavefront6targetE1EEEvT1_.kd
    .uniform_work_group_size: 1
    .uses_dynamic_stack: false
    .vgpr_count:     0
    .vgpr_spill_count: 0
    .wavefront_size: 64
  - .agpr_count:     0
    .args:
      - .offset:         0
        .size:           56
        .value_kind:     by_value
    .group_segment_fixed_size: 0
    .kernarg_segment_align: 8
    .kernarg_segment_size: 56
    .language:       OpenCL C
    .language_version:
      - 2
      - 0
    .max_flat_workgroup_size: 128
    .name:           _ZN7rocprim17ROCPRIM_400000_NS6detail17trampoline_kernelINS0_14default_configENS1_25transform_config_selectorIsLb0EEEZNS1_14transform_implILb0ES3_S5_NS0_18transform_iteratorINS0_17counting_iteratorImlEEZNS1_24adjacent_difference_implIS3_Lb1ELb0EPsSB_N6thrust23THRUST_200600_302600_NS4plusIsEEEE10hipError_tPvRmT2_T3_mT4_P12ihipStream_tbEUlmE_sEESB_NS0_8identityIvEEEESG_SJ_SK_mSL_SN_bEUlT_E_NS1_11comp_targetILNS1_3genE0ELNS1_11target_archE4294967295ELNS1_3gpuE0ELNS1_3repE0EEENS1_30default_config_static_selectorELNS0_4arch9wavefront6targetE1EEEvT1_
    .private_segment_fixed_size: 0
    .sgpr_count:     4
    .sgpr_spill_count: 0
    .symbol:         _ZN7rocprim17ROCPRIM_400000_NS6detail17trampoline_kernelINS0_14default_configENS1_25transform_config_selectorIsLb0EEEZNS1_14transform_implILb0ES3_S5_NS0_18transform_iteratorINS0_17counting_iteratorImlEEZNS1_24adjacent_difference_implIS3_Lb1ELb0EPsSB_N6thrust23THRUST_200600_302600_NS4plusIsEEEE10hipError_tPvRmT2_T3_mT4_P12ihipStream_tbEUlmE_sEESB_NS0_8identityIvEEEESG_SJ_SK_mSL_SN_bEUlT_E_NS1_11comp_targetILNS1_3genE0ELNS1_11target_archE4294967295ELNS1_3gpuE0ELNS1_3repE0EEENS1_30default_config_static_selectorELNS0_4arch9wavefront6targetE1EEEvT1_.kd
    .uniform_work_group_size: 1
    .uses_dynamic_stack: false
    .vgpr_count:     0
    .vgpr_spill_count: 0
    .wavefront_size: 64
  - .agpr_count:     0
    .args:
      - .offset:         0
        .size:           56
        .value_kind:     by_value
    .group_segment_fixed_size: 0
    .kernarg_segment_align: 8
    .kernarg_segment_size: 56
    .language:       OpenCL C
    .language_version:
      - 2
      - 0
    .max_flat_workgroup_size: 256
    .name:           _ZN7rocprim17ROCPRIM_400000_NS6detail17trampoline_kernelINS0_14default_configENS1_25transform_config_selectorIsLb0EEEZNS1_14transform_implILb0ES3_S5_NS0_18transform_iteratorINS0_17counting_iteratorImlEEZNS1_24adjacent_difference_implIS3_Lb1ELb0EPsSB_N6thrust23THRUST_200600_302600_NS4plusIsEEEE10hipError_tPvRmT2_T3_mT4_P12ihipStream_tbEUlmE_sEESB_NS0_8identityIvEEEESG_SJ_SK_mSL_SN_bEUlT_E_NS1_11comp_targetILNS1_3genE5ELNS1_11target_archE942ELNS1_3gpuE9ELNS1_3repE0EEENS1_30default_config_static_selectorELNS0_4arch9wavefront6targetE1EEEvT1_
    .private_segment_fixed_size: 0
    .sgpr_count:     4
    .sgpr_spill_count: 0
    .symbol:         _ZN7rocprim17ROCPRIM_400000_NS6detail17trampoline_kernelINS0_14default_configENS1_25transform_config_selectorIsLb0EEEZNS1_14transform_implILb0ES3_S5_NS0_18transform_iteratorINS0_17counting_iteratorImlEEZNS1_24adjacent_difference_implIS3_Lb1ELb0EPsSB_N6thrust23THRUST_200600_302600_NS4plusIsEEEE10hipError_tPvRmT2_T3_mT4_P12ihipStream_tbEUlmE_sEESB_NS0_8identityIvEEEESG_SJ_SK_mSL_SN_bEUlT_E_NS1_11comp_targetILNS1_3genE5ELNS1_11target_archE942ELNS1_3gpuE9ELNS1_3repE0EEENS1_30default_config_static_selectorELNS0_4arch9wavefront6targetE1EEEvT1_.kd
    .uniform_work_group_size: 1
    .uses_dynamic_stack: false
    .vgpr_count:     0
    .vgpr_spill_count: 0
    .wavefront_size: 64
  - .agpr_count:     0
    .args:
      - .offset:         0
        .size:           56
        .value_kind:     by_value
      - .offset:         56
        .size:           4
        .value_kind:     hidden_block_count_x
      - .offset:         60
        .size:           4
        .value_kind:     hidden_block_count_y
      - .offset:         64
        .size:           4
        .value_kind:     hidden_block_count_z
      - .offset:         68
        .size:           2
        .value_kind:     hidden_group_size_x
      - .offset:         70
        .size:           2
        .value_kind:     hidden_group_size_y
      - .offset:         72
        .size:           2
        .value_kind:     hidden_group_size_z
      - .offset:         74
        .size:           2
        .value_kind:     hidden_remainder_x
      - .offset:         76
        .size:           2
        .value_kind:     hidden_remainder_y
      - .offset:         78
        .size:           2
        .value_kind:     hidden_remainder_z
      - .offset:         96
        .size:           8
        .value_kind:     hidden_global_offset_x
      - .offset:         104
        .size:           8
        .value_kind:     hidden_global_offset_y
      - .offset:         112
        .size:           8
        .value_kind:     hidden_global_offset_z
      - .offset:         120
        .size:           2
        .value_kind:     hidden_grid_dims
    .group_segment_fixed_size: 0
    .kernarg_segment_align: 8
    .kernarg_segment_size: 312
    .language:       OpenCL C
    .language_version:
      - 2
      - 0
    .max_flat_workgroup_size: 64
    .name:           _ZN7rocprim17ROCPRIM_400000_NS6detail17trampoline_kernelINS0_14default_configENS1_25transform_config_selectorIsLb0EEEZNS1_14transform_implILb0ES3_S5_NS0_18transform_iteratorINS0_17counting_iteratorImlEEZNS1_24adjacent_difference_implIS3_Lb1ELb0EPsSB_N6thrust23THRUST_200600_302600_NS4plusIsEEEE10hipError_tPvRmT2_T3_mT4_P12ihipStream_tbEUlmE_sEESB_NS0_8identityIvEEEESG_SJ_SK_mSL_SN_bEUlT_E_NS1_11comp_targetILNS1_3genE4ELNS1_11target_archE910ELNS1_3gpuE8ELNS1_3repE0EEENS1_30default_config_static_selectorELNS0_4arch9wavefront6targetE1EEEvT1_
    .private_segment_fixed_size: 0
    .sgpr_count:     34
    .sgpr_spill_count: 0
    .symbol:         _ZN7rocprim17ROCPRIM_400000_NS6detail17trampoline_kernelINS0_14default_configENS1_25transform_config_selectorIsLb0EEEZNS1_14transform_implILb0ES3_S5_NS0_18transform_iteratorINS0_17counting_iteratorImlEEZNS1_24adjacent_difference_implIS3_Lb1ELb0EPsSB_N6thrust23THRUST_200600_302600_NS4plusIsEEEE10hipError_tPvRmT2_T3_mT4_P12ihipStream_tbEUlmE_sEESB_NS0_8identityIvEEEESG_SJ_SK_mSL_SN_bEUlT_E_NS1_11comp_targetILNS1_3genE4ELNS1_11target_archE910ELNS1_3gpuE8ELNS1_3repE0EEENS1_30default_config_static_selectorELNS0_4arch9wavefront6targetE1EEEvT1_.kd
    .uniform_work_group_size: 1
    .uses_dynamic_stack: false
    .vgpr_count:     18
    .vgpr_spill_count: 0
    .wavefront_size: 64
  - .agpr_count:     0
    .args:
      - .offset:         0
        .size:           56
        .value_kind:     by_value
    .group_segment_fixed_size: 0
    .kernarg_segment_align: 8
    .kernarg_segment_size: 56
    .language:       OpenCL C
    .language_version:
      - 2
      - 0
    .max_flat_workgroup_size: 128
    .name:           _ZN7rocprim17ROCPRIM_400000_NS6detail17trampoline_kernelINS0_14default_configENS1_25transform_config_selectorIsLb0EEEZNS1_14transform_implILb0ES3_S5_NS0_18transform_iteratorINS0_17counting_iteratorImlEEZNS1_24adjacent_difference_implIS3_Lb1ELb0EPsSB_N6thrust23THRUST_200600_302600_NS4plusIsEEEE10hipError_tPvRmT2_T3_mT4_P12ihipStream_tbEUlmE_sEESB_NS0_8identityIvEEEESG_SJ_SK_mSL_SN_bEUlT_E_NS1_11comp_targetILNS1_3genE3ELNS1_11target_archE908ELNS1_3gpuE7ELNS1_3repE0EEENS1_30default_config_static_selectorELNS0_4arch9wavefront6targetE1EEEvT1_
    .private_segment_fixed_size: 0
    .sgpr_count:     4
    .sgpr_spill_count: 0
    .symbol:         _ZN7rocprim17ROCPRIM_400000_NS6detail17trampoline_kernelINS0_14default_configENS1_25transform_config_selectorIsLb0EEEZNS1_14transform_implILb0ES3_S5_NS0_18transform_iteratorINS0_17counting_iteratorImlEEZNS1_24adjacent_difference_implIS3_Lb1ELb0EPsSB_N6thrust23THRUST_200600_302600_NS4plusIsEEEE10hipError_tPvRmT2_T3_mT4_P12ihipStream_tbEUlmE_sEESB_NS0_8identityIvEEEESG_SJ_SK_mSL_SN_bEUlT_E_NS1_11comp_targetILNS1_3genE3ELNS1_11target_archE908ELNS1_3gpuE7ELNS1_3repE0EEENS1_30default_config_static_selectorELNS0_4arch9wavefront6targetE1EEEvT1_.kd
    .uniform_work_group_size: 1
    .uses_dynamic_stack: false
    .vgpr_count:     0
    .vgpr_spill_count: 0
    .wavefront_size: 64
  - .agpr_count:     0
    .args:
      - .offset:         0
        .size:           56
        .value_kind:     by_value
    .group_segment_fixed_size: 0
    .kernarg_segment_align: 8
    .kernarg_segment_size: 56
    .language:       OpenCL C
    .language_version:
      - 2
      - 0
    .max_flat_workgroup_size: 512
    .name:           _ZN7rocprim17ROCPRIM_400000_NS6detail17trampoline_kernelINS0_14default_configENS1_25transform_config_selectorIsLb0EEEZNS1_14transform_implILb0ES3_S5_NS0_18transform_iteratorINS0_17counting_iteratorImlEEZNS1_24adjacent_difference_implIS3_Lb1ELb0EPsSB_N6thrust23THRUST_200600_302600_NS4plusIsEEEE10hipError_tPvRmT2_T3_mT4_P12ihipStream_tbEUlmE_sEESB_NS0_8identityIvEEEESG_SJ_SK_mSL_SN_bEUlT_E_NS1_11comp_targetILNS1_3genE2ELNS1_11target_archE906ELNS1_3gpuE6ELNS1_3repE0EEENS1_30default_config_static_selectorELNS0_4arch9wavefront6targetE1EEEvT1_
    .private_segment_fixed_size: 0
    .sgpr_count:     4
    .sgpr_spill_count: 0
    .symbol:         _ZN7rocprim17ROCPRIM_400000_NS6detail17trampoline_kernelINS0_14default_configENS1_25transform_config_selectorIsLb0EEEZNS1_14transform_implILb0ES3_S5_NS0_18transform_iteratorINS0_17counting_iteratorImlEEZNS1_24adjacent_difference_implIS3_Lb1ELb0EPsSB_N6thrust23THRUST_200600_302600_NS4plusIsEEEE10hipError_tPvRmT2_T3_mT4_P12ihipStream_tbEUlmE_sEESB_NS0_8identityIvEEEESG_SJ_SK_mSL_SN_bEUlT_E_NS1_11comp_targetILNS1_3genE2ELNS1_11target_archE906ELNS1_3gpuE6ELNS1_3repE0EEENS1_30default_config_static_selectorELNS0_4arch9wavefront6targetE1EEEvT1_.kd
    .uniform_work_group_size: 1
    .uses_dynamic_stack: false
    .vgpr_count:     0
    .vgpr_spill_count: 0
    .wavefront_size: 64
  - .agpr_count:     0
    .args:
      - .offset:         0
        .size:           56
        .value_kind:     by_value
    .group_segment_fixed_size: 0
    .kernarg_segment_align: 8
    .kernarg_segment_size: 56
    .language:       OpenCL C
    .language_version:
      - 2
      - 0
    .max_flat_workgroup_size: 1024
    .name:           _ZN7rocprim17ROCPRIM_400000_NS6detail17trampoline_kernelINS0_14default_configENS1_25transform_config_selectorIsLb0EEEZNS1_14transform_implILb0ES3_S5_NS0_18transform_iteratorINS0_17counting_iteratorImlEEZNS1_24adjacent_difference_implIS3_Lb1ELb0EPsSB_N6thrust23THRUST_200600_302600_NS4plusIsEEEE10hipError_tPvRmT2_T3_mT4_P12ihipStream_tbEUlmE_sEESB_NS0_8identityIvEEEESG_SJ_SK_mSL_SN_bEUlT_E_NS1_11comp_targetILNS1_3genE10ELNS1_11target_archE1201ELNS1_3gpuE5ELNS1_3repE0EEENS1_30default_config_static_selectorELNS0_4arch9wavefront6targetE1EEEvT1_
    .private_segment_fixed_size: 0
    .sgpr_count:     4
    .sgpr_spill_count: 0
    .symbol:         _ZN7rocprim17ROCPRIM_400000_NS6detail17trampoline_kernelINS0_14default_configENS1_25transform_config_selectorIsLb0EEEZNS1_14transform_implILb0ES3_S5_NS0_18transform_iteratorINS0_17counting_iteratorImlEEZNS1_24adjacent_difference_implIS3_Lb1ELb0EPsSB_N6thrust23THRUST_200600_302600_NS4plusIsEEEE10hipError_tPvRmT2_T3_mT4_P12ihipStream_tbEUlmE_sEESB_NS0_8identityIvEEEESG_SJ_SK_mSL_SN_bEUlT_E_NS1_11comp_targetILNS1_3genE10ELNS1_11target_archE1201ELNS1_3gpuE5ELNS1_3repE0EEENS1_30default_config_static_selectorELNS0_4arch9wavefront6targetE1EEEvT1_.kd
    .uniform_work_group_size: 1
    .uses_dynamic_stack: false
    .vgpr_count:     0
    .vgpr_spill_count: 0
    .wavefront_size: 64
  - .agpr_count:     0
    .args:
      - .offset:         0
        .size:           56
        .value_kind:     by_value
    .group_segment_fixed_size: 0
    .kernarg_segment_align: 8
    .kernarg_segment_size: 56
    .language:       OpenCL C
    .language_version:
      - 2
      - 0
    .max_flat_workgroup_size: 512
    .name:           _ZN7rocprim17ROCPRIM_400000_NS6detail17trampoline_kernelINS0_14default_configENS1_25transform_config_selectorIsLb0EEEZNS1_14transform_implILb0ES3_S5_NS0_18transform_iteratorINS0_17counting_iteratorImlEEZNS1_24adjacent_difference_implIS3_Lb1ELb0EPsSB_N6thrust23THRUST_200600_302600_NS4plusIsEEEE10hipError_tPvRmT2_T3_mT4_P12ihipStream_tbEUlmE_sEESB_NS0_8identityIvEEEESG_SJ_SK_mSL_SN_bEUlT_E_NS1_11comp_targetILNS1_3genE10ELNS1_11target_archE1200ELNS1_3gpuE4ELNS1_3repE0EEENS1_30default_config_static_selectorELNS0_4arch9wavefront6targetE1EEEvT1_
    .private_segment_fixed_size: 0
    .sgpr_count:     4
    .sgpr_spill_count: 0
    .symbol:         _ZN7rocprim17ROCPRIM_400000_NS6detail17trampoline_kernelINS0_14default_configENS1_25transform_config_selectorIsLb0EEEZNS1_14transform_implILb0ES3_S5_NS0_18transform_iteratorINS0_17counting_iteratorImlEEZNS1_24adjacent_difference_implIS3_Lb1ELb0EPsSB_N6thrust23THRUST_200600_302600_NS4plusIsEEEE10hipError_tPvRmT2_T3_mT4_P12ihipStream_tbEUlmE_sEESB_NS0_8identityIvEEEESG_SJ_SK_mSL_SN_bEUlT_E_NS1_11comp_targetILNS1_3genE10ELNS1_11target_archE1200ELNS1_3gpuE4ELNS1_3repE0EEENS1_30default_config_static_selectorELNS0_4arch9wavefront6targetE1EEEvT1_.kd
    .uniform_work_group_size: 1
    .uses_dynamic_stack: false
    .vgpr_count:     0
    .vgpr_spill_count: 0
    .wavefront_size: 64
  - .agpr_count:     0
    .args:
      - .offset:         0
        .size:           56
        .value_kind:     by_value
    .group_segment_fixed_size: 0
    .kernarg_segment_align: 8
    .kernarg_segment_size: 56
    .language:       OpenCL C
    .language_version:
      - 2
      - 0
    .max_flat_workgroup_size: 1024
    .name:           _ZN7rocprim17ROCPRIM_400000_NS6detail17trampoline_kernelINS0_14default_configENS1_25transform_config_selectorIsLb0EEEZNS1_14transform_implILb0ES3_S5_NS0_18transform_iteratorINS0_17counting_iteratorImlEEZNS1_24adjacent_difference_implIS3_Lb1ELb0EPsSB_N6thrust23THRUST_200600_302600_NS4plusIsEEEE10hipError_tPvRmT2_T3_mT4_P12ihipStream_tbEUlmE_sEESB_NS0_8identityIvEEEESG_SJ_SK_mSL_SN_bEUlT_E_NS1_11comp_targetILNS1_3genE9ELNS1_11target_archE1100ELNS1_3gpuE3ELNS1_3repE0EEENS1_30default_config_static_selectorELNS0_4arch9wavefront6targetE1EEEvT1_
    .private_segment_fixed_size: 0
    .sgpr_count:     4
    .sgpr_spill_count: 0
    .symbol:         _ZN7rocprim17ROCPRIM_400000_NS6detail17trampoline_kernelINS0_14default_configENS1_25transform_config_selectorIsLb0EEEZNS1_14transform_implILb0ES3_S5_NS0_18transform_iteratorINS0_17counting_iteratorImlEEZNS1_24adjacent_difference_implIS3_Lb1ELb0EPsSB_N6thrust23THRUST_200600_302600_NS4plusIsEEEE10hipError_tPvRmT2_T3_mT4_P12ihipStream_tbEUlmE_sEESB_NS0_8identityIvEEEESG_SJ_SK_mSL_SN_bEUlT_E_NS1_11comp_targetILNS1_3genE9ELNS1_11target_archE1100ELNS1_3gpuE3ELNS1_3repE0EEENS1_30default_config_static_selectorELNS0_4arch9wavefront6targetE1EEEvT1_.kd
    .uniform_work_group_size: 1
    .uses_dynamic_stack: false
    .vgpr_count:     0
    .vgpr_spill_count: 0
    .wavefront_size: 64
  - .agpr_count:     0
    .args:
      - .offset:         0
        .size:           56
        .value_kind:     by_value
    .group_segment_fixed_size: 0
    .kernarg_segment_align: 8
    .kernarg_segment_size: 56
    .language:       OpenCL C
    .language_version:
      - 2
      - 0
    .max_flat_workgroup_size: 1024
    .name:           _ZN7rocprim17ROCPRIM_400000_NS6detail17trampoline_kernelINS0_14default_configENS1_25transform_config_selectorIsLb0EEEZNS1_14transform_implILb0ES3_S5_NS0_18transform_iteratorINS0_17counting_iteratorImlEEZNS1_24adjacent_difference_implIS3_Lb1ELb0EPsSB_N6thrust23THRUST_200600_302600_NS4plusIsEEEE10hipError_tPvRmT2_T3_mT4_P12ihipStream_tbEUlmE_sEESB_NS0_8identityIvEEEESG_SJ_SK_mSL_SN_bEUlT_E_NS1_11comp_targetILNS1_3genE8ELNS1_11target_archE1030ELNS1_3gpuE2ELNS1_3repE0EEENS1_30default_config_static_selectorELNS0_4arch9wavefront6targetE1EEEvT1_
    .private_segment_fixed_size: 0
    .sgpr_count:     4
    .sgpr_spill_count: 0
    .symbol:         _ZN7rocprim17ROCPRIM_400000_NS6detail17trampoline_kernelINS0_14default_configENS1_25transform_config_selectorIsLb0EEEZNS1_14transform_implILb0ES3_S5_NS0_18transform_iteratorINS0_17counting_iteratorImlEEZNS1_24adjacent_difference_implIS3_Lb1ELb0EPsSB_N6thrust23THRUST_200600_302600_NS4plusIsEEEE10hipError_tPvRmT2_T3_mT4_P12ihipStream_tbEUlmE_sEESB_NS0_8identityIvEEEESG_SJ_SK_mSL_SN_bEUlT_E_NS1_11comp_targetILNS1_3genE8ELNS1_11target_archE1030ELNS1_3gpuE2ELNS1_3repE0EEENS1_30default_config_static_selectorELNS0_4arch9wavefront6targetE1EEEvT1_.kd
    .uniform_work_group_size: 1
    .uses_dynamic_stack: false
    .vgpr_count:     0
    .vgpr_spill_count: 0
    .wavefront_size: 64
  - .agpr_count:     0
    .args:
      - .offset:         0
        .size:           56
        .value_kind:     by_value
    .group_segment_fixed_size: 0
    .kernarg_segment_align: 8
    .kernarg_segment_size: 56
    .language:       OpenCL C
    .language_version:
      - 2
      - 0
    .max_flat_workgroup_size: 32
    .name:           _ZN7rocprim17ROCPRIM_400000_NS6detail17trampoline_kernelINS0_14default_configENS1_35adjacent_difference_config_selectorILb1EsEEZNS1_24adjacent_difference_implIS3_Lb1ELb0EPsS7_N6thrust23THRUST_200600_302600_NS4plusIsEEEE10hipError_tPvRmT2_T3_mT4_P12ihipStream_tbEUlT_E_NS1_11comp_targetILNS1_3genE0ELNS1_11target_archE4294967295ELNS1_3gpuE0ELNS1_3repE0EEENS1_30default_config_static_selectorELNS0_4arch9wavefront6targetE1EEEvT1_
    .private_segment_fixed_size: 0
    .sgpr_count:     4
    .sgpr_spill_count: 0
    .symbol:         _ZN7rocprim17ROCPRIM_400000_NS6detail17trampoline_kernelINS0_14default_configENS1_35adjacent_difference_config_selectorILb1EsEEZNS1_24adjacent_difference_implIS3_Lb1ELb0EPsS7_N6thrust23THRUST_200600_302600_NS4plusIsEEEE10hipError_tPvRmT2_T3_mT4_P12ihipStream_tbEUlT_E_NS1_11comp_targetILNS1_3genE0ELNS1_11target_archE4294967295ELNS1_3gpuE0ELNS1_3repE0EEENS1_30default_config_static_selectorELNS0_4arch9wavefront6targetE1EEEvT1_.kd
    .uniform_work_group_size: 1
    .uses_dynamic_stack: false
    .vgpr_count:     0
    .vgpr_spill_count: 0
    .wavefront_size: 64
  - .agpr_count:     0
    .args:
      - .offset:         0
        .size:           56
        .value_kind:     by_value
    .group_segment_fixed_size: 0
    .kernarg_segment_align: 8
    .kernarg_segment_size: 56
    .language:       OpenCL C
    .language_version:
      - 2
      - 0
    .max_flat_workgroup_size: 512
    .name:           _ZN7rocprim17ROCPRIM_400000_NS6detail17trampoline_kernelINS0_14default_configENS1_35adjacent_difference_config_selectorILb1EsEEZNS1_24adjacent_difference_implIS3_Lb1ELb0EPsS7_N6thrust23THRUST_200600_302600_NS4plusIsEEEE10hipError_tPvRmT2_T3_mT4_P12ihipStream_tbEUlT_E_NS1_11comp_targetILNS1_3genE10ELNS1_11target_archE1201ELNS1_3gpuE5ELNS1_3repE0EEENS1_30default_config_static_selectorELNS0_4arch9wavefront6targetE1EEEvT1_
    .private_segment_fixed_size: 0
    .sgpr_count:     4
    .sgpr_spill_count: 0
    .symbol:         _ZN7rocprim17ROCPRIM_400000_NS6detail17trampoline_kernelINS0_14default_configENS1_35adjacent_difference_config_selectorILb1EsEEZNS1_24adjacent_difference_implIS3_Lb1ELb0EPsS7_N6thrust23THRUST_200600_302600_NS4plusIsEEEE10hipError_tPvRmT2_T3_mT4_P12ihipStream_tbEUlT_E_NS1_11comp_targetILNS1_3genE10ELNS1_11target_archE1201ELNS1_3gpuE5ELNS1_3repE0EEENS1_30default_config_static_selectorELNS0_4arch9wavefront6targetE1EEEvT1_.kd
    .uniform_work_group_size: 1
    .uses_dynamic_stack: false
    .vgpr_count:     0
    .vgpr_spill_count: 0
    .wavefront_size: 64
  - .agpr_count:     0
    .args:
      - .offset:         0
        .size:           56
        .value_kind:     by_value
    .group_segment_fixed_size: 0
    .kernarg_segment_align: 8
    .kernarg_segment_size: 56
    .language:       OpenCL C
    .language_version:
      - 2
      - 0
    .max_flat_workgroup_size: 64
    .name:           _ZN7rocprim17ROCPRIM_400000_NS6detail17trampoline_kernelINS0_14default_configENS1_35adjacent_difference_config_selectorILb1EsEEZNS1_24adjacent_difference_implIS3_Lb1ELb0EPsS7_N6thrust23THRUST_200600_302600_NS4plusIsEEEE10hipError_tPvRmT2_T3_mT4_P12ihipStream_tbEUlT_E_NS1_11comp_targetILNS1_3genE5ELNS1_11target_archE942ELNS1_3gpuE9ELNS1_3repE0EEENS1_30default_config_static_selectorELNS0_4arch9wavefront6targetE1EEEvT1_
    .private_segment_fixed_size: 0
    .sgpr_count:     4
    .sgpr_spill_count: 0
    .symbol:         _ZN7rocprim17ROCPRIM_400000_NS6detail17trampoline_kernelINS0_14default_configENS1_35adjacent_difference_config_selectorILb1EsEEZNS1_24adjacent_difference_implIS3_Lb1ELb0EPsS7_N6thrust23THRUST_200600_302600_NS4plusIsEEEE10hipError_tPvRmT2_T3_mT4_P12ihipStream_tbEUlT_E_NS1_11comp_targetILNS1_3genE5ELNS1_11target_archE942ELNS1_3gpuE9ELNS1_3repE0EEENS1_30default_config_static_selectorELNS0_4arch9wavefront6targetE1EEEvT1_.kd
    .uniform_work_group_size: 1
    .uses_dynamic_stack: false
    .vgpr_count:     0
    .vgpr_spill_count: 0
    .wavefront_size: 64
  - .agpr_count:     0
    .args:
      - .offset:         0
        .size:           56
        .value_kind:     by_value
    .group_segment_fixed_size: 2176
    .kernarg_segment_align: 8
    .kernarg_segment_size: 56
    .language:       OpenCL C
    .language_version:
      - 2
      - 0
    .max_flat_workgroup_size: 64
    .name:           _ZN7rocprim17ROCPRIM_400000_NS6detail17trampoline_kernelINS0_14default_configENS1_35adjacent_difference_config_selectorILb1EsEEZNS1_24adjacent_difference_implIS3_Lb1ELb0EPsS7_N6thrust23THRUST_200600_302600_NS4plusIsEEEE10hipError_tPvRmT2_T3_mT4_P12ihipStream_tbEUlT_E_NS1_11comp_targetILNS1_3genE4ELNS1_11target_archE910ELNS1_3gpuE8ELNS1_3repE0EEENS1_30default_config_static_selectorELNS0_4arch9wavefront6targetE1EEEvT1_
    .private_segment_fixed_size: 0
    .sgpr_count:     33
    .sgpr_spill_count: 0
    .symbol:         _ZN7rocprim17ROCPRIM_400000_NS6detail17trampoline_kernelINS0_14default_configENS1_35adjacent_difference_config_selectorILb1EsEEZNS1_24adjacent_difference_implIS3_Lb1ELb0EPsS7_N6thrust23THRUST_200600_302600_NS4plusIsEEEE10hipError_tPvRmT2_T3_mT4_P12ihipStream_tbEUlT_E_NS1_11comp_targetILNS1_3genE4ELNS1_11target_archE910ELNS1_3gpuE8ELNS1_3repE0EEENS1_30default_config_static_selectorELNS0_4arch9wavefront6targetE1EEEvT1_.kd
    .uniform_work_group_size: 1
    .uses_dynamic_stack: false
    .vgpr_count:     32
    .vgpr_spill_count: 0
    .wavefront_size: 64
  - .agpr_count:     0
    .args:
      - .offset:         0
        .size:           56
        .value_kind:     by_value
    .group_segment_fixed_size: 0
    .kernarg_segment_align: 8
    .kernarg_segment_size: 56
    .language:       OpenCL C
    .language_version:
      - 2
      - 0
    .max_flat_workgroup_size: 32
    .name:           _ZN7rocprim17ROCPRIM_400000_NS6detail17trampoline_kernelINS0_14default_configENS1_35adjacent_difference_config_selectorILb1EsEEZNS1_24adjacent_difference_implIS3_Lb1ELb0EPsS7_N6thrust23THRUST_200600_302600_NS4plusIsEEEE10hipError_tPvRmT2_T3_mT4_P12ihipStream_tbEUlT_E_NS1_11comp_targetILNS1_3genE3ELNS1_11target_archE908ELNS1_3gpuE7ELNS1_3repE0EEENS1_30default_config_static_selectorELNS0_4arch9wavefront6targetE1EEEvT1_
    .private_segment_fixed_size: 0
    .sgpr_count:     4
    .sgpr_spill_count: 0
    .symbol:         _ZN7rocprim17ROCPRIM_400000_NS6detail17trampoline_kernelINS0_14default_configENS1_35adjacent_difference_config_selectorILb1EsEEZNS1_24adjacent_difference_implIS3_Lb1ELb0EPsS7_N6thrust23THRUST_200600_302600_NS4plusIsEEEE10hipError_tPvRmT2_T3_mT4_P12ihipStream_tbEUlT_E_NS1_11comp_targetILNS1_3genE3ELNS1_11target_archE908ELNS1_3gpuE7ELNS1_3repE0EEENS1_30default_config_static_selectorELNS0_4arch9wavefront6targetE1EEEvT1_.kd
    .uniform_work_group_size: 1
    .uses_dynamic_stack: false
    .vgpr_count:     0
    .vgpr_spill_count: 0
    .wavefront_size: 64
  - .agpr_count:     0
    .args:
      - .offset:         0
        .size:           56
        .value_kind:     by_value
    .group_segment_fixed_size: 0
    .kernarg_segment_align: 8
    .kernarg_segment_size: 56
    .language:       OpenCL C
    .language_version:
      - 2
      - 0
    .max_flat_workgroup_size: 64
    .name:           _ZN7rocprim17ROCPRIM_400000_NS6detail17trampoline_kernelINS0_14default_configENS1_35adjacent_difference_config_selectorILb1EsEEZNS1_24adjacent_difference_implIS3_Lb1ELb0EPsS7_N6thrust23THRUST_200600_302600_NS4plusIsEEEE10hipError_tPvRmT2_T3_mT4_P12ihipStream_tbEUlT_E_NS1_11comp_targetILNS1_3genE2ELNS1_11target_archE906ELNS1_3gpuE6ELNS1_3repE0EEENS1_30default_config_static_selectorELNS0_4arch9wavefront6targetE1EEEvT1_
    .private_segment_fixed_size: 0
    .sgpr_count:     4
    .sgpr_spill_count: 0
    .symbol:         _ZN7rocprim17ROCPRIM_400000_NS6detail17trampoline_kernelINS0_14default_configENS1_35adjacent_difference_config_selectorILb1EsEEZNS1_24adjacent_difference_implIS3_Lb1ELb0EPsS7_N6thrust23THRUST_200600_302600_NS4plusIsEEEE10hipError_tPvRmT2_T3_mT4_P12ihipStream_tbEUlT_E_NS1_11comp_targetILNS1_3genE2ELNS1_11target_archE906ELNS1_3gpuE6ELNS1_3repE0EEENS1_30default_config_static_selectorELNS0_4arch9wavefront6targetE1EEEvT1_.kd
    .uniform_work_group_size: 1
    .uses_dynamic_stack: false
    .vgpr_count:     0
    .vgpr_spill_count: 0
    .wavefront_size: 64
  - .agpr_count:     0
    .args:
      - .offset:         0
        .size:           56
        .value_kind:     by_value
    .group_segment_fixed_size: 0
    .kernarg_segment_align: 8
    .kernarg_segment_size: 56
    .language:       OpenCL C
    .language_version:
      - 2
      - 0
    .max_flat_workgroup_size: 128
    .name:           _ZN7rocprim17ROCPRIM_400000_NS6detail17trampoline_kernelINS0_14default_configENS1_35adjacent_difference_config_selectorILb1EsEEZNS1_24adjacent_difference_implIS3_Lb1ELb0EPsS7_N6thrust23THRUST_200600_302600_NS4plusIsEEEE10hipError_tPvRmT2_T3_mT4_P12ihipStream_tbEUlT_E_NS1_11comp_targetILNS1_3genE9ELNS1_11target_archE1100ELNS1_3gpuE3ELNS1_3repE0EEENS1_30default_config_static_selectorELNS0_4arch9wavefront6targetE1EEEvT1_
    .private_segment_fixed_size: 0
    .sgpr_count:     4
    .sgpr_spill_count: 0
    .symbol:         _ZN7rocprim17ROCPRIM_400000_NS6detail17trampoline_kernelINS0_14default_configENS1_35adjacent_difference_config_selectorILb1EsEEZNS1_24adjacent_difference_implIS3_Lb1ELb0EPsS7_N6thrust23THRUST_200600_302600_NS4plusIsEEEE10hipError_tPvRmT2_T3_mT4_P12ihipStream_tbEUlT_E_NS1_11comp_targetILNS1_3genE9ELNS1_11target_archE1100ELNS1_3gpuE3ELNS1_3repE0EEENS1_30default_config_static_selectorELNS0_4arch9wavefront6targetE1EEEvT1_.kd
    .uniform_work_group_size: 1
    .uses_dynamic_stack: false
    .vgpr_count:     0
    .vgpr_spill_count: 0
    .wavefront_size: 64
  - .agpr_count:     0
    .args:
      - .offset:         0
        .size:           56
        .value_kind:     by_value
    .group_segment_fixed_size: 0
    .kernarg_segment_align: 8
    .kernarg_segment_size: 56
    .language:       OpenCL C
    .language_version:
      - 2
      - 0
    .max_flat_workgroup_size: 512
    .name:           _ZN7rocprim17ROCPRIM_400000_NS6detail17trampoline_kernelINS0_14default_configENS1_35adjacent_difference_config_selectorILb1EsEEZNS1_24adjacent_difference_implIS3_Lb1ELb0EPsS7_N6thrust23THRUST_200600_302600_NS4plusIsEEEE10hipError_tPvRmT2_T3_mT4_P12ihipStream_tbEUlT_E_NS1_11comp_targetILNS1_3genE8ELNS1_11target_archE1030ELNS1_3gpuE2ELNS1_3repE0EEENS1_30default_config_static_selectorELNS0_4arch9wavefront6targetE1EEEvT1_
    .private_segment_fixed_size: 0
    .sgpr_count:     4
    .sgpr_spill_count: 0
    .symbol:         _ZN7rocprim17ROCPRIM_400000_NS6detail17trampoline_kernelINS0_14default_configENS1_35adjacent_difference_config_selectorILb1EsEEZNS1_24adjacent_difference_implIS3_Lb1ELb0EPsS7_N6thrust23THRUST_200600_302600_NS4plusIsEEEE10hipError_tPvRmT2_T3_mT4_P12ihipStream_tbEUlT_E_NS1_11comp_targetILNS1_3genE8ELNS1_11target_archE1030ELNS1_3gpuE2ELNS1_3repE0EEENS1_30default_config_static_selectorELNS0_4arch9wavefront6targetE1EEEvT1_.kd
    .uniform_work_group_size: 1
    .uses_dynamic_stack: false
    .vgpr_count:     0
    .vgpr_spill_count: 0
    .wavefront_size: 64
  - .agpr_count:     0
    .args:
      - .offset:         0
        .size:           56
        .value_kind:     by_value
    .group_segment_fixed_size: 0
    .kernarg_segment_align: 8
    .kernarg_segment_size: 56
    .language:       OpenCL C
    .language_version:
      - 2
      - 0
    .max_flat_workgroup_size: 128
    .name:           _ZN7rocprim17ROCPRIM_400000_NS6detail17trampoline_kernelINS0_14default_configENS1_35adjacent_difference_config_selectorILb0EiEEZNS1_24adjacent_difference_implIS3_Lb0ELb0EPiS7_N6thrust23THRUST_200600_302600_NS5minusIiEEEE10hipError_tPvRmT2_T3_mT4_P12ihipStream_tbEUlT_E_NS1_11comp_targetILNS1_3genE0ELNS1_11target_archE4294967295ELNS1_3gpuE0ELNS1_3repE0EEENS1_30default_config_static_selectorELNS0_4arch9wavefront6targetE1EEEvT1_
    .private_segment_fixed_size: 0
    .sgpr_count:     4
    .sgpr_spill_count: 0
    .symbol:         _ZN7rocprim17ROCPRIM_400000_NS6detail17trampoline_kernelINS0_14default_configENS1_35adjacent_difference_config_selectorILb0EiEEZNS1_24adjacent_difference_implIS3_Lb0ELb0EPiS7_N6thrust23THRUST_200600_302600_NS5minusIiEEEE10hipError_tPvRmT2_T3_mT4_P12ihipStream_tbEUlT_E_NS1_11comp_targetILNS1_3genE0ELNS1_11target_archE4294967295ELNS1_3gpuE0ELNS1_3repE0EEENS1_30default_config_static_selectorELNS0_4arch9wavefront6targetE1EEEvT1_.kd
    .uniform_work_group_size: 1
    .uses_dynamic_stack: false
    .vgpr_count:     0
    .vgpr_spill_count: 0
    .wavefront_size: 64
  - .agpr_count:     0
    .args:
      - .offset:         0
        .size:           56
        .value_kind:     by_value
    .group_segment_fixed_size: 0
    .kernarg_segment_align: 8
    .kernarg_segment_size: 56
    .language:       OpenCL C
    .language_version:
      - 2
      - 0
    .max_flat_workgroup_size: 128
    .name:           _ZN7rocprim17ROCPRIM_400000_NS6detail17trampoline_kernelINS0_14default_configENS1_35adjacent_difference_config_selectorILb0EiEEZNS1_24adjacent_difference_implIS3_Lb0ELb0EPiS7_N6thrust23THRUST_200600_302600_NS5minusIiEEEE10hipError_tPvRmT2_T3_mT4_P12ihipStream_tbEUlT_E_NS1_11comp_targetILNS1_3genE10ELNS1_11target_archE1201ELNS1_3gpuE5ELNS1_3repE0EEENS1_30default_config_static_selectorELNS0_4arch9wavefront6targetE1EEEvT1_
    .private_segment_fixed_size: 0
    .sgpr_count:     4
    .sgpr_spill_count: 0
    .symbol:         _ZN7rocprim17ROCPRIM_400000_NS6detail17trampoline_kernelINS0_14default_configENS1_35adjacent_difference_config_selectorILb0EiEEZNS1_24adjacent_difference_implIS3_Lb0ELb0EPiS7_N6thrust23THRUST_200600_302600_NS5minusIiEEEE10hipError_tPvRmT2_T3_mT4_P12ihipStream_tbEUlT_E_NS1_11comp_targetILNS1_3genE10ELNS1_11target_archE1201ELNS1_3gpuE5ELNS1_3repE0EEENS1_30default_config_static_selectorELNS0_4arch9wavefront6targetE1EEEvT1_.kd
    .uniform_work_group_size: 1
    .uses_dynamic_stack: false
    .vgpr_count:     0
    .vgpr_spill_count: 0
    .wavefront_size: 64
  - .agpr_count:     0
    .args:
      - .offset:         0
        .size:           56
        .value_kind:     by_value
    .group_segment_fixed_size: 0
    .kernarg_segment_align: 8
    .kernarg_segment_size: 56
    .language:       OpenCL C
    .language_version:
      - 2
      - 0
    .max_flat_workgroup_size: 64
    .name:           _ZN7rocprim17ROCPRIM_400000_NS6detail17trampoline_kernelINS0_14default_configENS1_35adjacent_difference_config_selectorILb0EiEEZNS1_24adjacent_difference_implIS3_Lb0ELb0EPiS7_N6thrust23THRUST_200600_302600_NS5minusIiEEEE10hipError_tPvRmT2_T3_mT4_P12ihipStream_tbEUlT_E_NS1_11comp_targetILNS1_3genE5ELNS1_11target_archE942ELNS1_3gpuE9ELNS1_3repE0EEENS1_30default_config_static_selectorELNS0_4arch9wavefront6targetE1EEEvT1_
    .private_segment_fixed_size: 0
    .sgpr_count:     4
    .sgpr_spill_count: 0
    .symbol:         _ZN7rocprim17ROCPRIM_400000_NS6detail17trampoline_kernelINS0_14default_configENS1_35adjacent_difference_config_selectorILb0EiEEZNS1_24adjacent_difference_implIS3_Lb0ELb0EPiS7_N6thrust23THRUST_200600_302600_NS5minusIiEEEE10hipError_tPvRmT2_T3_mT4_P12ihipStream_tbEUlT_E_NS1_11comp_targetILNS1_3genE5ELNS1_11target_archE942ELNS1_3gpuE9ELNS1_3repE0EEENS1_30default_config_static_selectorELNS0_4arch9wavefront6targetE1EEEvT1_.kd
    .uniform_work_group_size: 1
    .uses_dynamic_stack: false
    .vgpr_count:     0
    .vgpr_spill_count: 0
    .wavefront_size: 64
  - .agpr_count:     0
    .args:
      - .offset:         0
        .size:           56
        .value_kind:     by_value
    .group_segment_fixed_size: 10240
    .kernarg_segment_align: 8
    .kernarg_segment_size: 56
    .language:       OpenCL C
    .language_version:
      - 2
      - 0
    .max_flat_workgroup_size: 512
    .name:           _ZN7rocprim17ROCPRIM_400000_NS6detail17trampoline_kernelINS0_14default_configENS1_35adjacent_difference_config_selectorILb0EiEEZNS1_24adjacent_difference_implIS3_Lb0ELb0EPiS7_N6thrust23THRUST_200600_302600_NS5minusIiEEEE10hipError_tPvRmT2_T3_mT4_P12ihipStream_tbEUlT_E_NS1_11comp_targetILNS1_3genE4ELNS1_11target_archE910ELNS1_3gpuE8ELNS1_3repE0EEENS1_30default_config_static_selectorELNS0_4arch9wavefront6targetE1EEEvT1_
    .private_segment_fixed_size: 0
    .sgpr_count:     27
    .sgpr_spill_count: 0
    .symbol:         _ZN7rocprim17ROCPRIM_400000_NS6detail17trampoline_kernelINS0_14default_configENS1_35adjacent_difference_config_selectorILb0EiEEZNS1_24adjacent_difference_implIS3_Lb0ELb0EPiS7_N6thrust23THRUST_200600_302600_NS5minusIiEEEE10hipError_tPvRmT2_T3_mT4_P12ihipStream_tbEUlT_E_NS1_11comp_targetILNS1_3genE4ELNS1_11target_archE910ELNS1_3gpuE8ELNS1_3repE0EEENS1_30default_config_static_selectorELNS0_4arch9wavefront6targetE1EEEvT1_.kd
    .uniform_work_group_size: 1
    .uses_dynamic_stack: false
    .vgpr_count:     24
    .vgpr_spill_count: 0
    .wavefront_size: 64
  - .agpr_count:     0
    .args:
      - .offset:         0
        .size:           56
        .value_kind:     by_value
    .group_segment_fixed_size: 0
    .kernarg_segment_align: 8
    .kernarg_segment_size: 56
    .language:       OpenCL C
    .language_version:
      - 2
      - 0
    .max_flat_workgroup_size: 128
    .name:           _ZN7rocprim17ROCPRIM_400000_NS6detail17trampoline_kernelINS0_14default_configENS1_35adjacent_difference_config_selectorILb0EiEEZNS1_24adjacent_difference_implIS3_Lb0ELb0EPiS7_N6thrust23THRUST_200600_302600_NS5minusIiEEEE10hipError_tPvRmT2_T3_mT4_P12ihipStream_tbEUlT_E_NS1_11comp_targetILNS1_3genE3ELNS1_11target_archE908ELNS1_3gpuE7ELNS1_3repE0EEENS1_30default_config_static_selectorELNS0_4arch9wavefront6targetE1EEEvT1_
    .private_segment_fixed_size: 0
    .sgpr_count:     4
    .sgpr_spill_count: 0
    .symbol:         _ZN7rocprim17ROCPRIM_400000_NS6detail17trampoline_kernelINS0_14default_configENS1_35adjacent_difference_config_selectorILb0EiEEZNS1_24adjacent_difference_implIS3_Lb0ELb0EPiS7_N6thrust23THRUST_200600_302600_NS5minusIiEEEE10hipError_tPvRmT2_T3_mT4_P12ihipStream_tbEUlT_E_NS1_11comp_targetILNS1_3genE3ELNS1_11target_archE908ELNS1_3gpuE7ELNS1_3repE0EEENS1_30default_config_static_selectorELNS0_4arch9wavefront6targetE1EEEvT1_.kd
    .uniform_work_group_size: 1
    .uses_dynamic_stack: false
    .vgpr_count:     0
    .vgpr_spill_count: 0
    .wavefront_size: 64
  - .agpr_count:     0
    .args:
      - .offset:         0
        .size:           56
        .value_kind:     by_value
    .group_segment_fixed_size: 0
    .kernarg_segment_align: 8
    .kernarg_segment_size: 56
    .language:       OpenCL C
    .language_version:
      - 2
      - 0
    .max_flat_workgroup_size: 1024
    .name:           _ZN7rocprim17ROCPRIM_400000_NS6detail17trampoline_kernelINS0_14default_configENS1_35adjacent_difference_config_selectorILb0EiEEZNS1_24adjacent_difference_implIS3_Lb0ELb0EPiS7_N6thrust23THRUST_200600_302600_NS5minusIiEEEE10hipError_tPvRmT2_T3_mT4_P12ihipStream_tbEUlT_E_NS1_11comp_targetILNS1_3genE2ELNS1_11target_archE906ELNS1_3gpuE6ELNS1_3repE0EEENS1_30default_config_static_selectorELNS0_4arch9wavefront6targetE1EEEvT1_
    .private_segment_fixed_size: 0
    .sgpr_count:     4
    .sgpr_spill_count: 0
    .symbol:         _ZN7rocprim17ROCPRIM_400000_NS6detail17trampoline_kernelINS0_14default_configENS1_35adjacent_difference_config_selectorILb0EiEEZNS1_24adjacent_difference_implIS3_Lb0ELb0EPiS7_N6thrust23THRUST_200600_302600_NS5minusIiEEEE10hipError_tPvRmT2_T3_mT4_P12ihipStream_tbEUlT_E_NS1_11comp_targetILNS1_3genE2ELNS1_11target_archE906ELNS1_3gpuE6ELNS1_3repE0EEENS1_30default_config_static_selectorELNS0_4arch9wavefront6targetE1EEEvT1_.kd
    .uniform_work_group_size: 1
    .uses_dynamic_stack: false
    .vgpr_count:     0
    .vgpr_spill_count: 0
    .wavefront_size: 64
  - .agpr_count:     0
    .args:
      - .offset:         0
        .size:           56
        .value_kind:     by_value
    .group_segment_fixed_size: 0
    .kernarg_segment_align: 8
    .kernarg_segment_size: 56
    .language:       OpenCL C
    .language_version:
      - 2
      - 0
    .max_flat_workgroup_size: 1024
    .name:           _ZN7rocprim17ROCPRIM_400000_NS6detail17trampoline_kernelINS0_14default_configENS1_35adjacent_difference_config_selectorILb0EiEEZNS1_24adjacent_difference_implIS3_Lb0ELb0EPiS7_N6thrust23THRUST_200600_302600_NS5minusIiEEEE10hipError_tPvRmT2_T3_mT4_P12ihipStream_tbEUlT_E_NS1_11comp_targetILNS1_3genE9ELNS1_11target_archE1100ELNS1_3gpuE3ELNS1_3repE0EEENS1_30default_config_static_selectorELNS0_4arch9wavefront6targetE1EEEvT1_
    .private_segment_fixed_size: 0
    .sgpr_count:     4
    .sgpr_spill_count: 0
    .symbol:         _ZN7rocprim17ROCPRIM_400000_NS6detail17trampoline_kernelINS0_14default_configENS1_35adjacent_difference_config_selectorILb0EiEEZNS1_24adjacent_difference_implIS3_Lb0ELb0EPiS7_N6thrust23THRUST_200600_302600_NS5minusIiEEEE10hipError_tPvRmT2_T3_mT4_P12ihipStream_tbEUlT_E_NS1_11comp_targetILNS1_3genE9ELNS1_11target_archE1100ELNS1_3gpuE3ELNS1_3repE0EEENS1_30default_config_static_selectorELNS0_4arch9wavefront6targetE1EEEvT1_.kd
    .uniform_work_group_size: 1
    .uses_dynamic_stack: false
    .vgpr_count:     0
    .vgpr_spill_count: 0
    .wavefront_size: 64
  - .agpr_count:     0
    .args:
      - .offset:         0
        .size:           56
        .value_kind:     by_value
    .group_segment_fixed_size: 0
    .kernarg_segment_align: 8
    .kernarg_segment_size: 56
    .language:       OpenCL C
    .language_version:
      - 2
      - 0
    .max_flat_workgroup_size: 1024
    .name:           _ZN7rocprim17ROCPRIM_400000_NS6detail17trampoline_kernelINS0_14default_configENS1_35adjacent_difference_config_selectorILb0EiEEZNS1_24adjacent_difference_implIS3_Lb0ELb0EPiS7_N6thrust23THRUST_200600_302600_NS5minusIiEEEE10hipError_tPvRmT2_T3_mT4_P12ihipStream_tbEUlT_E_NS1_11comp_targetILNS1_3genE8ELNS1_11target_archE1030ELNS1_3gpuE2ELNS1_3repE0EEENS1_30default_config_static_selectorELNS0_4arch9wavefront6targetE1EEEvT1_
    .private_segment_fixed_size: 0
    .sgpr_count:     4
    .sgpr_spill_count: 0
    .symbol:         _ZN7rocprim17ROCPRIM_400000_NS6detail17trampoline_kernelINS0_14default_configENS1_35adjacent_difference_config_selectorILb0EiEEZNS1_24adjacent_difference_implIS3_Lb0ELb0EPiS7_N6thrust23THRUST_200600_302600_NS5minusIiEEEE10hipError_tPvRmT2_T3_mT4_P12ihipStream_tbEUlT_E_NS1_11comp_targetILNS1_3genE8ELNS1_11target_archE1030ELNS1_3gpuE2ELNS1_3repE0EEENS1_30default_config_static_selectorELNS0_4arch9wavefront6targetE1EEEvT1_.kd
    .uniform_work_group_size: 1
    .uses_dynamic_stack: false
    .vgpr_count:     0
    .vgpr_spill_count: 0
    .wavefront_size: 64
  - .agpr_count:     0
    .args:
      - .offset:         0
        .size:           56
        .value_kind:     by_value
    .group_segment_fixed_size: 0
    .kernarg_segment_align: 8
    .kernarg_segment_size: 56
    .language:       OpenCL C
    .language_version:
      - 2
      - 0
    .max_flat_workgroup_size: 128
    .name:           _ZN7rocprim17ROCPRIM_400000_NS6detail17trampoline_kernelINS0_14default_configENS1_25transform_config_selectorIiLb0EEEZNS1_14transform_implILb0ES3_S5_NS0_18transform_iteratorINS0_17counting_iteratorImlEEZNS1_24adjacent_difference_implIS3_Lb1ELb0EPiSB_N6thrust23THRUST_200600_302600_NS5minusIiEEEE10hipError_tPvRmT2_T3_mT4_P12ihipStream_tbEUlmE_iEESB_NS0_8identityIvEEEESG_SJ_SK_mSL_SN_bEUlT_E_NS1_11comp_targetILNS1_3genE0ELNS1_11target_archE4294967295ELNS1_3gpuE0ELNS1_3repE0EEENS1_30default_config_static_selectorELNS0_4arch9wavefront6targetE1EEEvT1_
    .private_segment_fixed_size: 0
    .sgpr_count:     4
    .sgpr_spill_count: 0
    .symbol:         _ZN7rocprim17ROCPRIM_400000_NS6detail17trampoline_kernelINS0_14default_configENS1_25transform_config_selectorIiLb0EEEZNS1_14transform_implILb0ES3_S5_NS0_18transform_iteratorINS0_17counting_iteratorImlEEZNS1_24adjacent_difference_implIS3_Lb1ELb0EPiSB_N6thrust23THRUST_200600_302600_NS5minusIiEEEE10hipError_tPvRmT2_T3_mT4_P12ihipStream_tbEUlmE_iEESB_NS0_8identityIvEEEESG_SJ_SK_mSL_SN_bEUlT_E_NS1_11comp_targetILNS1_3genE0ELNS1_11target_archE4294967295ELNS1_3gpuE0ELNS1_3repE0EEENS1_30default_config_static_selectorELNS0_4arch9wavefront6targetE1EEEvT1_.kd
    .uniform_work_group_size: 1
    .uses_dynamic_stack: false
    .vgpr_count:     0
    .vgpr_spill_count: 0
    .wavefront_size: 64
  - .agpr_count:     0
    .args:
      - .offset:         0
        .size:           56
        .value_kind:     by_value
    .group_segment_fixed_size: 0
    .kernarg_segment_align: 8
    .kernarg_segment_size: 56
    .language:       OpenCL C
    .language_version:
      - 2
      - 0
    .max_flat_workgroup_size: 512
    .name:           _ZN7rocprim17ROCPRIM_400000_NS6detail17trampoline_kernelINS0_14default_configENS1_25transform_config_selectorIiLb0EEEZNS1_14transform_implILb0ES3_S5_NS0_18transform_iteratorINS0_17counting_iteratorImlEEZNS1_24adjacent_difference_implIS3_Lb1ELb0EPiSB_N6thrust23THRUST_200600_302600_NS5minusIiEEEE10hipError_tPvRmT2_T3_mT4_P12ihipStream_tbEUlmE_iEESB_NS0_8identityIvEEEESG_SJ_SK_mSL_SN_bEUlT_E_NS1_11comp_targetILNS1_3genE5ELNS1_11target_archE942ELNS1_3gpuE9ELNS1_3repE0EEENS1_30default_config_static_selectorELNS0_4arch9wavefront6targetE1EEEvT1_
    .private_segment_fixed_size: 0
    .sgpr_count:     4
    .sgpr_spill_count: 0
    .symbol:         _ZN7rocprim17ROCPRIM_400000_NS6detail17trampoline_kernelINS0_14default_configENS1_25transform_config_selectorIiLb0EEEZNS1_14transform_implILb0ES3_S5_NS0_18transform_iteratorINS0_17counting_iteratorImlEEZNS1_24adjacent_difference_implIS3_Lb1ELb0EPiSB_N6thrust23THRUST_200600_302600_NS5minusIiEEEE10hipError_tPvRmT2_T3_mT4_P12ihipStream_tbEUlmE_iEESB_NS0_8identityIvEEEESG_SJ_SK_mSL_SN_bEUlT_E_NS1_11comp_targetILNS1_3genE5ELNS1_11target_archE942ELNS1_3gpuE9ELNS1_3repE0EEENS1_30default_config_static_selectorELNS0_4arch9wavefront6targetE1EEEvT1_.kd
    .uniform_work_group_size: 1
    .uses_dynamic_stack: false
    .vgpr_count:     0
    .vgpr_spill_count: 0
    .wavefront_size: 64
  - .agpr_count:     0
    .args:
      - .offset:         0
        .size:           56
        .value_kind:     by_value
      - .offset:         56
        .size:           4
        .value_kind:     hidden_block_count_x
      - .offset:         60
        .size:           4
        .value_kind:     hidden_block_count_y
      - .offset:         64
        .size:           4
        .value_kind:     hidden_block_count_z
      - .offset:         68
        .size:           2
        .value_kind:     hidden_group_size_x
      - .offset:         70
        .size:           2
        .value_kind:     hidden_group_size_y
      - .offset:         72
        .size:           2
        .value_kind:     hidden_group_size_z
      - .offset:         74
        .size:           2
        .value_kind:     hidden_remainder_x
      - .offset:         76
        .size:           2
        .value_kind:     hidden_remainder_y
      - .offset:         78
        .size:           2
        .value_kind:     hidden_remainder_z
      - .offset:         96
        .size:           8
        .value_kind:     hidden_global_offset_x
      - .offset:         104
        .size:           8
        .value_kind:     hidden_global_offset_y
      - .offset:         112
        .size:           8
        .value_kind:     hidden_global_offset_z
      - .offset:         120
        .size:           2
        .value_kind:     hidden_grid_dims
    .group_segment_fixed_size: 0
    .kernarg_segment_align: 8
    .kernarg_segment_size: 312
    .language:       OpenCL C
    .language_version:
      - 2
      - 0
    .max_flat_workgroup_size: 1024
    .name:           _ZN7rocprim17ROCPRIM_400000_NS6detail17trampoline_kernelINS0_14default_configENS1_25transform_config_selectorIiLb0EEEZNS1_14transform_implILb0ES3_S5_NS0_18transform_iteratorINS0_17counting_iteratorImlEEZNS1_24adjacent_difference_implIS3_Lb1ELb0EPiSB_N6thrust23THRUST_200600_302600_NS5minusIiEEEE10hipError_tPvRmT2_T3_mT4_P12ihipStream_tbEUlmE_iEESB_NS0_8identityIvEEEESG_SJ_SK_mSL_SN_bEUlT_E_NS1_11comp_targetILNS1_3genE4ELNS1_11target_archE910ELNS1_3gpuE8ELNS1_3repE0EEENS1_30default_config_static_selectorELNS0_4arch9wavefront6targetE1EEEvT1_
    .private_segment_fixed_size: 0
    .sgpr_count:     22
    .sgpr_spill_count: 0
    .symbol:         _ZN7rocprim17ROCPRIM_400000_NS6detail17trampoline_kernelINS0_14default_configENS1_25transform_config_selectorIiLb0EEEZNS1_14transform_implILb0ES3_S5_NS0_18transform_iteratorINS0_17counting_iteratorImlEEZNS1_24adjacent_difference_implIS3_Lb1ELb0EPiSB_N6thrust23THRUST_200600_302600_NS5minusIiEEEE10hipError_tPvRmT2_T3_mT4_P12ihipStream_tbEUlmE_iEESB_NS0_8identityIvEEEESG_SJ_SK_mSL_SN_bEUlT_E_NS1_11comp_targetILNS1_3genE4ELNS1_11target_archE910ELNS1_3gpuE8ELNS1_3repE0EEENS1_30default_config_static_selectorELNS0_4arch9wavefront6targetE1EEEvT1_.kd
    .uniform_work_group_size: 1
    .uses_dynamic_stack: false
    .vgpr_count:     8
    .vgpr_spill_count: 0
    .wavefront_size: 64
  - .agpr_count:     0
    .args:
      - .offset:         0
        .size:           56
        .value_kind:     by_value
    .group_segment_fixed_size: 0
    .kernarg_segment_align: 8
    .kernarg_segment_size: 56
    .language:       OpenCL C
    .language_version:
      - 2
      - 0
    .max_flat_workgroup_size: 128
    .name:           _ZN7rocprim17ROCPRIM_400000_NS6detail17trampoline_kernelINS0_14default_configENS1_25transform_config_selectorIiLb0EEEZNS1_14transform_implILb0ES3_S5_NS0_18transform_iteratorINS0_17counting_iteratorImlEEZNS1_24adjacent_difference_implIS3_Lb1ELb0EPiSB_N6thrust23THRUST_200600_302600_NS5minusIiEEEE10hipError_tPvRmT2_T3_mT4_P12ihipStream_tbEUlmE_iEESB_NS0_8identityIvEEEESG_SJ_SK_mSL_SN_bEUlT_E_NS1_11comp_targetILNS1_3genE3ELNS1_11target_archE908ELNS1_3gpuE7ELNS1_3repE0EEENS1_30default_config_static_selectorELNS0_4arch9wavefront6targetE1EEEvT1_
    .private_segment_fixed_size: 0
    .sgpr_count:     4
    .sgpr_spill_count: 0
    .symbol:         _ZN7rocprim17ROCPRIM_400000_NS6detail17trampoline_kernelINS0_14default_configENS1_25transform_config_selectorIiLb0EEEZNS1_14transform_implILb0ES3_S5_NS0_18transform_iteratorINS0_17counting_iteratorImlEEZNS1_24adjacent_difference_implIS3_Lb1ELb0EPiSB_N6thrust23THRUST_200600_302600_NS5minusIiEEEE10hipError_tPvRmT2_T3_mT4_P12ihipStream_tbEUlmE_iEESB_NS0_8identityIvEEEESG_SJ_SK_mSL_SN_bEUlT_E_NS1_11comp_targetILNS1_3genE3ELNS1_11target_archE908ELNS1_3gpuE7ELNS1_3repE0EEENS1_30default_config_static_selectorELNS0_4arch9wavefront6targetE1EEEvT1_.kd
    .uniform_work_group_size: 1
    .uses_dynamic_stack: false
    .vgpr_count:     0
    .vgpr_spill_count: 0
    .wavefront_size: 64
  - .agpr_count:     0
    .args:
      - .offset:         0
        .size:           56
        .value_kind:     by_value
    .group_segment_fixed_size: 0
    .kernarg_segment_align: 8
    .kernarg_segment_size: 56
    .language:       OpenCL C
    .language_version:
      - 2
      - 0
    .max_flat_workgroup_size: 1024
    .name:           _ZN7rocprim17ROCPRIM_400000_NS6detail17trampoline_kernelINS0_14default_configENS1_25transform_config_selectorIiLb0EEEZNS1_14transform_implILb0ES3_S5_NS0_18transform_iteratorINS0_17counting_iteratorImlEEZNS1_24adjacent_difference_implIS3_Lb1ELb0EPiSB_N6thrust23THRUST_200600_302600_NS5minusIiEEEE10hipError_tPvRmT2_T3_mT4_P12ihipStream_tbEUlmE_iEESB_NS0_8identityIvEEEESG_SJ_SK_mSL_SN_bEUlT_E_NS1_11comp_targetILNS1_3genE2ELNS1_11target_archE906ELNS1_3gpuE6ELNS1_3repE0EEENS1_30default_config_static_selectorELNS0_4arch9wavefront6targetE1EEEvT1_
    .private_segment_fixed_size: 0
    .sgpr_count:     4
    .sgpr_spill_count: 0
    .symbol:         _ZN7rocprim17ROCPRIM_400000_NS6detail17trampoline_kernelINS0_14default_configENS1_25transform_config_selectorIiLb0EEEZNS1_14transform_implILb0ES3_S5_NS0_18transform_iteratorINS0_17counting_iteratorImlEEZNS1_24adjacent_difference_implIS3_Lb1ELb0EPiSB_N6thrust23THRUST_200600_302600_NS5minusIiEEEE10hipError_tPvRmT2_T3_mT4_P12ihipStream_tbEUlmE_iEESB_NS0_8identityIvEEEESG_SJ_SK_mSL_SN_bEUlT_E_NS1_11comp_targetILNS1_3genE2ELNS1_11target_archE906ELNS1_3gpuE6ELNS1_3repE0EEENS1_30default_config_static_selectorELNS0_4arch9wavefront6targetE1EEEvT1_.kd
    .uniform_work_group_size: 1
    .uses_dynamic_stack: false
    .vgpr_count:     0
    .vgpr_spill_count: 0
    .wavefront_size: 64
  - .agpr_count:     0
    .args:
      - .offset:         0
        .size:           56
        .value_kind:     by_value
    .group_segment_fixed_size: 0
    .kernarg_segment_align: 8
    .kernarg_segment_size: 56
    .language:       OpenCL C
    .language_version:
      - 2
      - 0
    .max_flat_workgroup_size: 1024
    .name:           _ZN7rocprim17ROCPRIM_400000_NS6detail17trampoline_kernelINS0_14default_configENS1_25transform_config_selectorIiLb0EEEZNS1_14transform_implILb0ES3_S5_NS0_18transform_iteratorINS0_17counting_iteratorImlEEZNS1_24adjacent_difference_implIS3_Lb1ELb0EPiSB_N6thrust23THRUST_200600_302600_NS5minusIiEEEE10hipError_tPvRmT2_T3_mT4_P12ihipStream_tbEUlmE_iEESB_NS0_8identityIvEEEESG_SJ_SK_mSL_SN_bEUlT_E_NS1_11comp_targetILNS1_3genE10ELNS1_11target_archE1201ELNS1_3gpuE5ELNS1_3repE0EEENS1_30default_config_static_selectorELNS0_4arch9wavefront6targetE1EEEvT1_
    .private_segment_fixed_size: 0
    .sgpr_count:     4
    .sgpr_spill_count: 0
    .symbol:         _ZN7rocprim17ROCPRIM_400000_NS6detail17trampoline_kernelINS0_14default_configENS1_25transform_config_selectorIiLb0EEEZNS1_14transform_implILb0ES3_S5_NS0_18transform_iteratorINS0_17counting_iteratorImlEEZNS1_24adjacent_difference_implIS3_Lb1ELb0EPiSB_N6thrust23THRUST_200600_302600_NS5minusIiEEEE10hipError_tPvRmT2_T3_mT4_P12ihipStream_tbEUlmE_iEESB_NS0_8identityIvEEEESG_SJ_SK_mSL_SN_bEUlT_E_NS1_11comp_targetILNS1_3genE10ELNS1_11target_archE1201ELNS1_3gpuE5ELNS1_3repE0EEENS1_30default_config_static_selectorELNS0_4arch9wavefront6targetE1EEEvT1_.kd
    .uniform_work_group_size: 1
    .uses_dynamic_stack: false
    .vgpr_count:     0
    .vgpr_spill_count: 0
    .wavefront_size: 64
  - .agpr_count:     0
    .args:
      - .offset:         0
        .size:           56
        .value_kind:     by_value
    .group_segment_fixed_size: 0
    .kernarg_segment_align: 8
    .kernarg_segment_size: 56
    .language:       OpenCL C
    .language_version:
      - 2
      - 0
    .max_flat_workgroup_size: 512
    .name:           _ZN7rocprim17ROCPRIM_400000_NS6detail17trampoline_kernelINS0_14default_configENS1_25transform_config_selectorIiLb0EEEZNS1_14transform_implILb0ES3_S5_NS0_18transform_iteratorINS0_17counting_iteratorImlEEZNS1_24adjacent_difference_implIS3_Lb1ELb0EPiSB_N6thrust23THRUST_200600_302600_NS5minusIiEEEE10hipError_tPvRmT2_T3_mT4_P12ihipStream_tbEUlmE_iEESB_NS0_8identityIvEEEESG_SJ_SK_mSL_SN_bEUlT_E_NS1_11comp_targetILNS1_3genE10ELNS1_11target_archE1200ELNS1_3gpuE4ELNS1_3repE0EEENS1_30default_config_static_selectorELNS0_4arch9wavefront6targetE1EEEvT1_
    .private_segment_fixed_size: 0
    .sgpr_count:     4
    .sgpr_spill_count: 0
    .symbol:         _ZN7rocprim17ROCPRIM_400000_NS6detail17trampoline_kernelINS0_14default_configENS1_25transform_config_selectorIiLb0EEEZNS1_14transform_implILb0ES3_S5_NS0_18transform_iteratorINS0_17counting_iteratorImlEEZNS1_24adjacent_difference_implIS3_Lb1ELb0EPiSB_N6thrust23THRUST_200600_302600_NS5minusIiEEEE10hipError_tPvRmT2_T3_mT4_P12ihipStream_tbEUlmE_iEESB_NS0_8identityIvEEEESG_SJ_SK_mSL_SN_bEUlT_E_NS1_11comp_targetILNS1_3genE10ELNS1_11target_archE1200ELNS1_3gpuE4ELNS1_3repE0EEENS1_30default_config_static_selectorELNS0_4arch9wavefront6targetE1EEEvT1_.kd
    .uniform_work_group_size: 1
    .uses_dynamic_stack: false
    .vgpr_count:     0
    .vgpr_spill_count: 0
    .wavefront_size: 64
  - .agpr_count:     0
    .args:
      - .offset:         0
        .size:           56
        .value_kind:     by_value
    .group_segment_fixed_size: 0
    .kernarg_segment_align: 8
    .kernarg_segment_size: 56
    .language:       OpenCL C
    .language_version:
      - 2
      - 0
    .max_flat_workgroup_size: 64
    .name:           _ZN7rocprim17ROCPRIM_400000_NS6detail17trampoline_kernelINS0_14default_configENS1_25transform_config_selectorIiLb0EEEZNS1_14transform_implILb0ES3_S5_NS0_18transform_iteratorINS0_17counting_iteratorImlEEZNS1_24adjacent_difference_implIS3_Lb1ELb0EPiSB_N6thrust23THRUST_200600_302600_NS5minusIiEEEE10hipError_tPvRmT2_T3_mT4_P12ihipStream_tbEUlmE_iEESB_NS0_8identityIvEEEESG_SJ_SK_mSL_SN_bEUlT_E_NS1_11comp_targetILNS1_3genE9ELNS1_11target_archE1100ELNS1_3gpuE3ELNS1_3repE0EEENS1_30default_config_static_selectorELNS0_4arch9wavefront6targetE1EEEvT1_
    .private_segment_fixed_size: 0
    .sgpr_count:     4
    .sgpr_spill_count: 0
    .symbol:         _ZN7rocprim17ROCPRIM_400000_NS6detail17trampoline_kernelINS0_14default_configENS1_25transform_config_selectorIiLb0EEEZNS1_14transform_implILb0ES3_S5_NS0_18transform_iteratorINS0_17counting_iteratorImlEEZNS1_24adjacent_difference_implIS3_Lb1ELb0EPiSB_N6thrust23THRUST_200600_302600_NS5minusIiEEEE10hipError_tPvRmT2_T3_mT4_P12ihipStream_tbEUlmE_iEESB_NS0_8identityIvEEEESG_SJ_SK_mSL_SN_bEUlT_E_NS1_11comp_targetILNS1_3genE9ELNS1_11target_archE1100ELNS1_3gpuE3ELNS1_3repE0EEENS1_30default_config_static_selectorELNS0_4arch9wavefront6targetE1EEEvT1_.kd
    .uniform_work_group_size: 1
    .uses_dynamic_stack: false
    .vgpr_count:     0
    .vgpr_spill_count: 0
    .wavefront_size: 64
  - .agpr_count:     0
    .args:
      - .offset:         0
        .size:           56
        .value_kind:     by_value
    .group_segment_fixed_size: 0
    .kernarg_segment_align: 8
    .kernarg_segment_size: 56
    .language:       OpenCL C
    .language_version:
      - 2
      - 0
    .max_flat_workgroup_size: 256
    .name:           _ZN7rocprim17ROCPRIM_400000_NS6detail17trampoline_kernelINS0_14default_configENS1_25transform_config_selectorIiLb0EEEZNS1_14transform_implILb0ES3_S5_NS0_18transform_iteratorINS0_17counting_iteratorImlEEZNS1_24adjacent_difference_implIS3_Lb1ELb0EPiSB_N6thrust23THRUST_200600_302600_NS5minusIiEEEE10hipError_tPvRmT2_T3_mT4_P12ihipStream_tbEUlmE_iEESB_NS0_8identityIvEEEESG_SJ_SK_mSL_SN_bEUlT_E_NS1_11comp_targetILNS1_3genE8ELNS1_11target_archE1030ELNS1_3gpuE2ELNS1_3repE0EEENS1_30default_config_static_selectorELNS0_4arch9wavefront6targetE1EEEvT1_
    .private_segment_fixed_size: 0
    .sgpr_count:     4
    .sgpr_spill_count: 0
    .symbol:         _ZN7rocprim17ROCPRIM_400000_NS6detail17trampoline_kernelINS0_14default_configENS1_25transform_config_selectorIiLb0EEEZNS1_14transform_implILb0ES3_S5_NS0_18transform_iteratorINS0_17counting_iteratorImlEEZNS1_24adjacent_difference_implIS3_Lb1ELb0EPiSB_N6thrust23THRUST_200600_302600_NS5minusIiEEEE10hipError_tPvRmT2_T3_mT4_P12ihipStream_tbEUlmE_iEESB_NS0_8identityIvEEEESG_SJ_SK_mSL_SN_bEUlT_E_NS1_11comp_targetILNS1_3genE8ELNS1_11target_archE1030ELNS1_3gpuE2ELNS1_3repE0EEENS1_30default_config_static_selectorELNS0_4arch9wavefront6targetE1EEEvT1_.kd
    .uniform_work_group_size: 1
    .uses_dynamic_stack: false
    .vgpr_count:     0
    .vgpr_spill_count: 0
    .wavefront_size: 64
  - .agpr_count:     0
    .args:
      - .offset:         0
        .size:           56
        .value_kind:     by_value
    .group_segment_fixed_size: 0
    .kernarg_segment_align: 8
    .kernarg_segment_size: 56
    .language:       OpenCL C
    .language_version:
      - 2
      - 0
    .max_flat_workgroup_size: 1024
    .name:           _ZN7rocprim17ROCPRIM_400000_NS6detail17trampoline_kernelINS0_14default_configENS1_35adjacent_difference_config_selectorILb1EiEEZNS1_24adjacent_difference_implIS3_Lb1ELb0EPiS7_N6thrust23THRUST_200600_302600_NS5minusIiEEEE10hipError_tPvRmT2_T3_mT4_P12ihipStream_tbEUlT_E_NS1_11comp_targetILNS1_3genE0ELNS1_11target_archE4294967295ELNS1_3gpuE0ELNS1_3repE0EEENS1_30default_config_static_selectorELNS0_4arch9wavefront6targetE1EEEvT1_
    .private_segment_fixed_size: 0
    .sgpr_count:     4
    .sgpr_spill_count: 0
    .symbol:         _ZN7rocprim17ROCPRIM_400000_NS6detail17trampoline_kernelINS0_14default_configENS1_35adjacent_difference_config_selectorILb1EiEEZNS1_24adjacent_difference_implIS3_Lb1ELb0EPiS7_N6thrust23THRUST_200600_302600_NS5minusIiEEEE10hipError_tPvRmT2_T3_mT4_P12ihipStream_tbEUlT_E_NS1_11comp_targetILNS1_3genE0ELNS1_11target_archE4294967295ELNS1_3gpuE0ELNS1_3repE0EEENS1_30default_config_static_selectorELNS0_4arch9wavefront6targetE1EEEvT1_.kd
    .uniform_work_group_size: 1
    .uses_dynamic_stack: false
    .vgpr_count:     0
    .vgpr_spill_count: 0
    .wavefront_size: 64
  - .agpr_count:     0
    .args:
      - .offset:         0
        .size:           56
        .value_kind:     by_value
    .group_segment_fixed_size: 0
    .kernarg_segment_align: 8
    .kernarg_segment_size: 56
    .language:       OpenCL C
    .language_version:
      - 2
      - 0
    .max_flat_workgroup_size: 32
    .name:           _ZN7rocprim17ROCPRIM_400000_NS6detail17trampoline_kernelINS0_14default_configENS1_35adjacent_difference_config_selectorILb1EiEEZNS1_24adjacent_difference_implIS3_Lb1ELb0EPiS7_N6thrust23THRUST_200600_302600_NS5minusIiEEEE10hipError_tPvRmT2_T3_mT4_P12ihipStream_tbEUlT_E_NS1_11comp_targetILNS1_3genE10ELNS1_11target_archE1201ELNS1_3gpuE5ELNS1_3repE0EEENS1_30default_config_static_selectorELNS0_4arch9wavefront6targetE1EEEvT1_
    .private_segment_fixed_size: 0
    .sgpr_count:     4
    .sgpr_spill_count: 0
    .symbol:         _ZN7rocprim17ROCPRIM_400000_NS6detail17trampoline_kernelINS0_14default_configENS1_35adjacent_difference_config_selectorILb1EiEEZNS1_24adjacent_difference_implIS3_Lb1ELb0EPiS7_N6thrust23THRUST_200600_302600_NS5minusIiEEEE10hipError_tPvRmT2_T3_mT4_P12ihipStream_tbEUlT_E_NS1_11comp_targetILNS1_3genE10ELNS1_11target_archE1201ELNS1_3gpuE5ELNS1_3repE0EEENS1_30default_config_static_selectorELNS0_4arch9wavefront6targetE1EEEvT1_.kd
    .uniform_work_group_size: 1
    .uses_dynamic_stack: false
    .vgpr_count:     0
    .vgpr_spill_count: 0
    .wavefront_size: 64
  - .agpr_count:     0
    .args:
      - .offset:         0
        .size:           56
        .value_kind:     by_value
    .group_segment_fixed_size: 0
    .kernarg_segment_align: 8
    .kernarg_segment_size: 56
    .language:       OpenCL C
    .language_version:
      - 2
      - 0
    .max_flat_workgroup_size: 512
    .name:           _ZN7rocprim17ROCPRIM_400000_NS6detail17trampoline_kernelINS0_14default_configENS1_35adjacent_difference_config_selectorILb1EiEEZNS1_24adjacent_difference_implIS3_Lb1ELb0EPiS7_N6thrust23THRUST_200600_302600_NS5minusIiEEEE10hipError_tPvRmT2_T3_mT4_P12ihipStream_tbEUlT_E_NS1_11comp_targetILNS1_3genE5ELNS1_11target_archE942ELNS1_3gpuE9ELNS1_3repE0EEENS1_30default_config_static_selectorELNS0_4arch9wavefront6targetE1EEEvT1_
    .private_segment_fixed_size: 0
    .sgpr_count:     4
    .sgpr_spill_count: 0
    .symbol:         _ZN7rocprim17ROCPRIM_400000_NS6detail17trampoline_kernelINS0_14default_configENS1_35adjacent_difference_config_selectorILb1EiEEZNS1_24adjacent_difference_implIS3_Lb1ELb0EPiS7_N6thrust23THRUST_200600_302600_NS5minusIiEEEE10hipError_tPvRmT2_T3_mT4_P12ihipStream_tbEUlT_E_NS1_11comp_targetILNS1_3genE5ELNS1_11target_archE942ELNS1_3gpuE9ELNS1_3repE0EEENS1_30default_config_static_selectorELNS0_4arch9wavefront6targetE1EEEvT1_.kd
    .uniform_work_group_size: 1
    .uses_dynamic_stack: false
    .vgpr_count:     0
    .vgpr_spill_count: 0
    .wavefront_size: 64
  - .agpr_count:     0
    .args:
      - .offset:         0
        .size:           56
        .value_kind:     by_value
    .group_segment_fixed_size: 10240
    .kernarg_segment_align: 8
    .kernarg_segment_size: 56
    .language:       OpenCL C
    .language_version:
      - 2
      - 0
    .max_flat_workgroup_size: 512
    .name:           _ZN7rocprim17ROCPRIM_400000_NS6detail17trampoline_kernelINS0_14default_configENS1_35adjacent_difference_config_selectorILb1EiEEZNS1_24adjacent_difference_implIS3_Lb1ELb0EPiS7_N6thrust23THRUST_200600_302600_NS5minusIiEEEE10hipError_tPvRmT2_T3_mT4_P12ihipStream_tbEUlT_E_NS1_11comp_targetILNS1_3genE4ELNS1_11target_archE910ELNS1_3gpuE8ELNS1_3repE0EEENS1_30default_config_static_selectorELNS0_4arch9wavefront6targetE1EEEvT1_
    .private_segment_fixed_size: 0
    .sgpr_count:     33
    .sgpr_spill_count: 0
    .symbol:         _ZN7rocprim17ROCPRIM_400000_NS6detail17trampoline_kernelINS0_14default_configENS1_35adjacent_difference_config_selectorILb1EiEEZNS1_24adjacent_difference_implIS3_Lb1ELb0EPiS7_N6thrust23THRUST_200600_302600_NS5minusIiEEEE10hipError_tPvRmT2_T3_mT4_P12ihipStream_tbEUlT_E_NS1_11comp_targetILNS1_3genE4ELNS1_11target_archE910ELNS1_3gpuE8ELNS1_3repE0EEENS1_30default_config_static_selectorELNS0_4arch9wavefront6targetE1EEEvT1_.kd
    .uniform_work_group_size: 1
    .uses_dynamic_stack: false
    .vgpr_count:     24
    .vgpr_spill_count: 0
    .wavefront_size: 64
  - .agpr_count:     0
    .args:
      - .offset:         0
        .size:           56
        .value_kind:     by_value
    .group_segment_fixed_size: 0
    .kernarg_segment_align: 8
    .kernarg_segment_size: 56
    .language:       OpenCL C
    .language_version:
      - 2
      - 0
    .max_flat_workgroup_size: 1024
    .name:           _ZN7rocprim17ROCPRIM_400000_NS6detail17trampoline_kernelINS0_14default_configENS1_35adjacent_difference_config_selectorILb1EiEEZNS1_24adjacent_difference_implIS3_Lb1ELb0EPiS7_N6thrust23THRUST_200600_302600_NS5minusIiEEEE10hipError_tPvRmT2_T3_mT4_P12ihipStream_tbEUlT_E_NS1_11comp_targetILNS1_3genE3ELNS1_11target_archE908ELNS1_3gpuE7ELNS1_3repE0EEENS1_30default_config_static_selectorELNS0_4arch9wavefront6targetE1EEEvT1_
    .private_segment_fixed_size: 0
    .sgpr_count:     4
    .sgpr_spill_count: 0
    .symbol:         _ZN7rocprim17ROCPRIM_400000_NS6detail17trampoline_kernelINS0_14default_configENS1_35adjacent_difference_config_selectorILb1EiEEZNS1_24adjacent_difference_implIS3_Lb1ELb0EPiS7_N6thrust23THRUST_200600_302600_NS5minusIiEEEE10hipError_tPvRmT2_T3_mT4_P12ihipStream_tbEUlT_E_NS1_11comp_targetILNS1_3genE3ELNS1_11target_archE908ELNS1_3gpuE7ELNS1_3repE0EEENS1_30default_config_static_selectorELNS0_4arch9wavefront6targetE1EEEvT1_.kd
    .uniform_work_group_size: 1
    .uses_dynamic_stack: false
    .vgpr_count:     0
    .vgpr_spill_count: 0
    .wavefront_size: 64
  - .agpr_count:     0
    .args:
      - .offset:         0
        .size:           56
        .value_kind:     by_value
    .group_segment_fixed_size: 0
    .kernarg_segment_align: 8
    .kernarg_segment_size: 56
    .language:       OpenCL C
    .language_version:
      - 2
      - 0
    .max_flat_workgroup_size: 256
    .name:           _ZN7rocprim17ROCPRIM_400000_NS6detail17trampoline_kernelINS0_14default_configENS1_35adjacent_difference_config_selectorILb1EiEEZNS1_24adjacent_difference_implIS3_Lb1ELb0EPiS7_N6thrust23THRUST_200600_302600_NS5minusIiEEEE10hipError_tPvRmT2_T3_mT4_P12ihipStream_tbEUlT_E_NS1_11comp_targetILNS1_3genE2ELNS1_11target_archE906ELNS1_3gpuE6ELNS1_3repE0EEENS1_30default_config_static_selectorELNS0_4arch9wavefront6targetE1EEEvT1_
    .private_segment_fixed_size: 0
    .sgpr_count:     4
    .sgpr_spill_count: 0
    .symbol:         _ZN7rocprim17ROCPRIM_400000_NS6detail17trampoline_kernelINS0_14default_configENS1_35adjacent_difference_config_selectorILb1EiEEZNS1_24adjacent_difference_implIS3_Lb1ELb0EPiS7_N6thrust23THRUST_200600_302600_NS5minusIiEEEE10hipError_tPvRmT2_T3_mT4_P12ihipStream_tbEUlT_E_NS1_11comp_targetILNS1_3genE2ELNS1_11target_archE906ELNS1_3gpuE6ELNS1_3repE0EEENS1_30default_config_static_selectorELNS0_4arch9wavefront6targetE1EEEvT1_.kd
    .uniform_work_group_size: 1
    .uses_dynamic_stack: false
    .vgpr_count:     0
    .vgpr_spill_count: 0
    .wavefront_size: 64
  - .agpr_count:     0
    .args:
      - .offset:         0
        .size:           56
        .value_kind:     by_value
    .group_segment_fixed_size: 0
    .kernarg_segment_align: 8
    .kernarg_segment_size: 56
    .language:       OpenCL C
    .language_version:
      - 2
      - 0
    .max_flat_workgroup_size: 128
    .name:           _ZN7rocprim17ROCPRIM_400000_NS6detail17trampoline_kernelINS0_14default_configENS1_35adjacent_difference_config_selectorILb1EiEEZNS1_24adjacent_difference_implIS3_Lb1ELb0EPiS7_N6thrust23THRUST_200600_302600_NS5minusIiEEEE10hipError_tPvRmT2_T3_mT4_P12ihipStream_tbEUlT_E_NS1_11comp_targetILNS1_3genE9ELNS1_11target_archE1100ELNS1_3gpuE3ELNS1_3repE0EEENS1_30default_config_static_selectorELNS0_4arch9wavefront6targetE1EEEvT1_
    .private_segment_fixed_size: 0
    .sgpr_count:     4
    .sgpr_spill_count: 0
    .symbol:         _ZN7rocprim17ROCPRIM_400000_NS6detail17trampoline_kernelINS0_14default_configENS1_35adjacent_difference_config_selectorILb1EiEEZNS1_24adjacent_difference_implIS3_Lb1ELb0EPiS7_N6thrust23THRUST_200600_302600_NS5minusIiEEEE10hipError_tPvRmT2_T3_mT4_P12ihipStream_tbEUlT_E_NS1_11comp_targetILNS1_3genE9ELNS1_11target_archE1100ELNS1_3gpuE3ELNS1_3repE0EEENS1_30default_config_static_selectorELNS0_4arch9wavefront6targetE1EEEvT1_.kd
    .uniform_work_group_size: 1
    .uses_dynamic_stack: false
    .vgpr_count:     0
    .vgpr_spill_count: 0
    .wavefront_size: 64
  - .agpr_count:     0
    .args:
      - .offset:         0
        .size:           56
        .value_kind:     by_value
    .group_segment_fixed_size: 0
    .kernarg_segment_align: 8
    .kernarg_segment_size: 56
    .language:       OpenCL C
    .language_version:
      - 2
      - 0
    .max_flat_workgroup_size: 32
    .name:           _ZN7rocprim17ROCPRIM_400000_NS6detail17trampoline_kernelINS0_14default_configENS1_35adjacent_difference_config_selectorILb1EiEEZNS1_24adjacent_difference_implIS3_Lb1ELb0EPiS7_N6thrust23THRUST_200600_302600_NS5minusIiEEEE10hipError_tPvRmT2_T3_mT4_P12ihipStream_tbEUlT_E_NS1_11comp_targetILNS1_3genE8ELNS1_11target_archE1030ELNS1_3gpuE2ELNS1_3repE0EEENS1_30default_config_static_selectorELNS0_4arch9wavefront6targetE1EEEvT1_
    .private_segment_fixed_size: 0
    .sgpr_count:     4
    .sgpr_spill_count: 0
    .symbol:         _ZN7rocprim17ROCPRIM_400000_NS6detail17trampoline_kernelINS0_14default_configENS1_35adjacent_difference_config_selectorILb1EiEEZNS1_24adjacent_difference_implIS3_Lb1ELb0EPiS7_N6thrust23THRUST_200600_302600_NS5minusIiEEEE10hipError_tPvRmT2_T3_mT4_P12ihipStream_tbEUlT_E_NS1_11comp_targetILNS1_3genE8ELNS1_11target_archE1030ELNS1_3gpuE2ELNS1_3repE0EEENS1_30default_config_static_selectorELNS0_4arch9wavefront6targetE1EEEvT1_.kd
    .uniform_work_group_size: 1
    .uses_dynamic_stack: false
    .vgpr_count:     0
    .vgpr_spill_count: 0
    .wavefront_size: 64
  - .agpr_count:     0
    .args:
      - .offset:         0
        .size:           56
        .value_kind:     by_value
    .group_segment_fixed_size: 0
    .kernarg_segment_align: 8
    .kernarg_segment_size: 56
    .language:       OpenCL C
    .language_version:
      - 2
      - 0
    .max_flat_workgroup_size: 128
    .name:           _ZN7rocprim17ROCPRIM_400000_NS6detail17trampoline_kernelINS0_14default_configENS1_35adjacent_difference_config_selectorILb0EiEEZNS1_24adjacent_difference_implIS3_Lb0ELb0EPiS7_N6thrust23THRUST_200600_302600_NS4plusIiEEEE10hipError_tPvRmT2_T3_mT4_P12ihipStream_tbEUlT_E_NS1_11comp_targetILNS1_3genE0ELNS1_11target_archE4294967295ELNS1_3gpuE0ELNS1_3repE0EEENS1_30default_config_static_selectorELNS0_4arch9wavefront6targetE1EEEvT1_
    .private_segment_fixed_size: 0
    .sgpr_count:     4
    .sgpr_spill_count: 0
    .symbol:         _ZN7rocprim17ROCPRIM_400000_NS6detail17trampoline_kernelINS0_14default_configENS1_35adjacent_difference_config_selectorILb0EiEEZNS1_24adjacent_difference_implIS3_Lb0ELb0EPiS7_N6thrust23THRUST_200600_302600_NS4plusIiEEEE10hipError_tPvRmT2_T3_mT4_P12ihipStream_tbEUlT_E_NS1_11comp_targetILNS1_3genE0ELNS1_11target_archE4294967295ELNS1_3gpuE0ELNS1_3repE0EEENS1_30default_config_static_selectorELNS0_4arch9wavefront6targetE1EEEvT1_.kd
    .uniform_work_group_size: 1
    .uses_dynamic_stack: false
    .vgpr_count:     0
    .vgpr_spill_count: 0
    .wavefront_size: 64
  - .agpr_count:     0
    .args:
      - .offset:         0
        .size:           56
        .value_kind:     by_value
    .group_segment_fixed_size: 0
    .kernarg_segment_align: 8
    .kernarg_segment_size: 56
    .language:       OpenCL C
    .language_version:
      - 2
      - 0
    .max_flat_workgroup_size: 128
    .name:           _ZN7rocprim17ROCPRIM_400000_NS6detail17trampoline_kernelINS0_14default_configENS1_35adjacent_difference_config_selectorILb0EiEEZNS1_24adjacent_difference_implIS3_Lb0ELb0EPiS7_N6thrust23THRUST_200600_302600_NS4plusIiEEEE10hipError_tPvRmT2_T3_mT4_P12ihipStream_tbEUlT_E_NS1_11comp_targetILNS1_3genE10ELNS1_11target_archE1201ELNS1_3gpuE5ELNS1_3repE0EEENS1_30default_config_static_selectorELNS0_4arch9wavefront6targetE1EEEvT1_
    .private_segment_fixed_size: 0
    .sgpr_count:     4
    .sgpr_spill_count: 0
    .symbol:         _ZN7rocprim17ROCPRIM_400000_NS6detail17trampoline_kernelINS0_14default_configENS1_35adjacent_difference_config_selectorILb0EiEEZNS1_24adjacent_difference_implIS3_Lb0ELb0EPiS7_N6thrust23THRUST_200600_302600_NS4plusIiEEEE10hipError_tPvRmT2_T3_mT4_P12ihipStream_tbEUlT_E_NS1_11comp_targetILNS1_3genE10ELNS1_11target_archE1201ELNS1_3gpuE5ELNS1_3repE0EEENS1_30default_config_static_selectorELNS0_4arch9wavefront6targetE1EEEvT1_.kd
    .uniform_work_group_size: 1
    .uses_dynamic_stack: false
    .vgpr_count:     0
    .vgpr_spill_count: 0
    .wavefront_size: 64
  - .agpr_count:     0
    .args:
      - .offset:         0
        .size:           56
        .value_kind:     by_value
    .group_segment_fixed_size: 0
    .kernarg_segment_align: 8
    .kernarg_segment_size: 56
    .language:       OpenCL C
    .language_version:
      - 2
      - 0
    .max_flat_workgroup_size: 64
    .name:           _ZN7rocprim17ROCPRIM_400000_NS6detail17trampoline_kernelINS0_14default_configENS1_35adjacent_difference_config_selectorILb0EiEEZNS1_24adjacent_difference_implIS3_Lb0ELb0EPiS7_N6thrust23THRUST_200600_302600_NS4plusIiEEEE10hipError_tPvRmT2_T3_mT4_P12ihipStream_tbEUlT_E_NS1_11comp_targetILNS1_3genE5ELNS1_11target_archE942ELNS1_3gpuE9ELNS1_3repE0EEENS1_30default_config_static_selectorELNS0_4arch9wavefront6targetE1EEEvT1_
    .private_segment_fixed_size: 0
    .sgpr_count:     4
    .sgpr_spill_count: 0
    .symbol:         _ZN7rocprim17ROCPRIM_400000_NS6detail17trampoline_kernelINS0_14default_configENS1_35adjacent_difference_config_selectorILb0EiEEZNS1_24adjacent_difference_implIS3_Lb0ELb0EPiS7_N6thrust23THRUST_200600_302600_NS4plusIiEEEE10hipError_tPvRmT2_T3_mT4_P12ihipStream_tbEUlT_E_NS1_11comp_targetILNS1_3genE5ELNS1_11target_archE942ELNS1_3gpuE9ELNS1_3repE0EEENS1_30default_config_static_selectorELNS0_4arch9wavefront6targetE1EEEvT1_.kd
    .uniform_work_group_size: 1
    .uses_dynamic_stack: false
    .vgpr_count:     0
    .vgpr_spill_count: 0
    .wavefront_size: 64
  - .agpr_count:     0
    .args:
      - .offset:         0
        .size:           56
        .value_kind:     by_value
    .group_segment_fixed_size: 10240
    .kernarg_segment_align: 8
    .kernarg_segment_size: 56
    .language:       OpenCL C
    .language_version:
      - 2
      - 0
    .max_flat_workgroup_size: 512
    .name:           _ZN7rocprim17ROCPRIM_400000_NS6detail17trampoline_kernelINS0_14default_configENS1_35adjacent_difference_config_selectorILb0EiEEZNS1_24adjacent_difference_implIS3_Lb0ELb0EPiS7_N6thrust23THRUST_200600_302600_NS4plusIiEEEE10hipError_tPvRmT2_T3_mT4_P12ihipStream_tbEUlT_E_NS1_11comp_targetILNS1_3genE4ELNS1_11target_archE910ELNS1_3gpuE8ELNS1_3repE0EEENS1_30default_config_static_selectorELNS0_4arch9wavefront6targetE1EEEvT1_
    .private_segment_fixed_size: 0
    .sgpr_count:     27
    .sgpr_spill_count: 0
    .symbol:         _ZN7rocprim17ROCPRIM_400000_NS6detail17trampoline_kernelINS0_14default_configENS1_35adjacent_difference_config_selectorILb0EiEEZNS1_24adjacent_difference_implIS3_Lb0ELb0EPiS7_N6thrust23THRUST_200600_302600_NS4plusIiEEEE10hipError_tPvRmT2_T3_mT4_P12ihipStream_tbEUlT_E_NS1_11comp_targetILNS1_3genE4ELNS1_11target_archE910ELNS1_3gpuE8ELNS1_3repE0EEENS1_30default_config_static_selectorELNS0_4arch9wavefront6targetE1EEEvT1_.kd
    .uniform_work_group_size: 1
    .uses_dynamic_stack: false
    .vgpr_count:     24
    .vgpr_spill_count: 0
    .wavefront_size: 64
  - .agpr_count:     0
    .args:
      - .offset:         0
        .size:           56
        .value_kind:     by_value
    .group_segment_fixed_size: 0
    .kernarg_segment_align: 8
    .kernarg_segment_size: 56
    .language:       OpenCL C
    .language_version:
      - 2
      - 0
    .max_flat_workgroup_size: 128
    .name:           _ZN7rocprim17ROCPRIM_400000_NS6detail17trampoline_kernelINS0_14default_configENS1_35adjacent_difference_config_selectorILb0EiEEZNS1_24adjacent_difference_implIS3_Lb0ELb0EPiS7_N6thrust23THRUST_200600_302600_NS4plusIiEEEE10hipError_tPvRmT2_T3_mT4_P12ihipStream_tbEUlT_E_NS1_11comp_targetILNS1_3genE3ELNS1_11target_archE908ELNS1_3gpuE7ELNS1_3repE0EEENS1_30default_config_static_selectorELNS0_4arch9wavefront6targetE1EEEvT1_
    .private_segment_fixed_size: 0
    .sgpr_count:     4
    .sgpr_spill_count: 0
    .symbol:         _ZN7rocprim17ROCPRIM_400000_NS6detail17trampoline_kernelINS0_14default_configENS1_35adjacent_difference_config_selectorILb0EiEEZNS1_24adjacent_difference_implIS3_Lb0ELb0EPiS7_N6thrust23THRUST_200600_302600_NS4plusIiEEEE10hipError_tPvRmT2_T3_mT4_P12ihipStream_tbEUlT_E_NS1_11comp_targetILNS1_3genE3ELNS1_11target_archE908ELNS1_3gpuE7ELNS1_3repE0EEENS1_30default_config_static_selectorELNS0_4arch9wavefront6targetE1EEEvT1_.kd
    .uniform_work_group_size: 1
    .uses_dynamic_stack: false
    .vgpr_count:     0
    .vgpr_spill_count: 0
    .wavefront_size: 64
  - .agpr_count:     0
    .args:
      - .offset:         0
        .size:           56
        .value_kind:     by_value
    .group_segment_fixed_size: 0
    .kernarg_segment_align: 8
    .kernarg_segment_size: 56
    .language:       OpenCL C
    .language_version:
      - 2
      - 0
    .max_flat_workgroup_size: 1024
    .name:           _ZN7rocprim17ROCPRIM_400000_NS6detail17trampoline_kernelINS0_14default_configENS1_35adjacent_difference_config_selectorILb0EiEEZNS1_24adjacent_difference_implIS3_Lb0ELb0EPiS7_N6thrust23THRUST_200600_302600_NS4plusIiEEEE10hipError_tPvRmT2_T3_mT4_P12ihipStream_tbEUlT_E_NS1_11comp_targetILNS1_3genE2ELNS1_11target_archE906ELNS1_3gpuE6ELNS1_3repE0EEENS1_30default_config_static_selectorELNS0_4arch9wavefront6targetE1EEEvT1_
    .private_segment_fixed_size: 0
    .sgpr_count:     4
    .sgpr_spill_count: 0
    .symbol:         _ZN7rocprim17ROCPRIM_400000_NS6detail17trampoline_kernelINS0_14default_configENS1_35adjacent_difference_config_selectorILb0EiEEZNS1_24adjacent_difference_implIS3_Lb0ELb0EPiS7_N6thrust23THRUST_200600_302600_NS4plusIiEEEE10hipError_tPvRmT2_T3_mT4_P12ihipStream_tbEUlT_E_NS1_11comp_targetILNS1_3genE2ELNS1_11target_archE906ELNS1_3gpuE6ELNS1_3repE0EEENS1_30default_config_static_selectorELNS0_4arch9wavefront6targetE1EEEvT1_.kd
    .uniform_work_group_size: 1
    .uses_dynamic_stack: false
    .vgpr_count:     0
    .vgpr_spill_count: 0
    .wavefront_size: 64
  - .agpr_count:     0
    .args:
      - .offset:         0
        .size:           56
        .value_kind:     by_value
    .group_segment_fixed_size: 0
    .kernarg_segment_align: 8
    .kernarg_segment_size: 56
    .language:       OpenCL C
    .language_version:
      - 2
      - 0
    .max_flat_workgroup_size: 1024
    .name:           _ZN7rocprim17ROCPRIM_400000_NS6detail17trampoline_kernelINS0_14default_configENS1_35adjacent_difference_config_selectorILb0EiEEZNS1_24adjacent_difference_implIS3_Lb0ELb0EPiS7_N6thrust23THRUST_200600_302600_NS4plusIiEEEE10hipError_tPvRmT2_T3_mT4_P12ihipStream_tbEUlT_E_NS1_11comp_targetILNS1_3genE9ELNS1_11target_archE1100ELNS1_3gpuE3ELNS1_3repE0EEENS1_30default_config_static_selectorELNS0_4arch9wavefront6targetE1EEEvT1_
    .private_segment_fixed_size: 0
    .sgpr_count:     4
    .sgpr_spill_count: 0
    .symbol:         _ZN7rocprim17ROCPRIM_400000_NS6detail17trampoline_kernelINS0_14default_configENS1_35adjacent_difference_config_selectorILb0EiEEZNS1_24adjacent_difference_implIS3_Lb0ELb0EPiS7_N6thrust23THRUST_200600_302600_NS4plusIiEEEE10hipError_tPvRmT2_T3_mT4_P12ihipStream_tbEUlT_E_NS1_11comp_targetILNS1_3genE9ELNS1_11target_archE1100ELNS1_3gpuE3ELNS1_3repE0EEENS1_30default_config_static_selectorELNS0_4arch9wavefront6targetE1EEEvT1_.kd
    .uniform_work_group_size: 1
    .uses_dynamic_stack: false
    .vgpr_count:     0
    .vgpr_spill_count: 0
    .wavefront_size: 64
  - .agpr_count:     0
    .args:
      - .offset:         0
        .size:           56
        .value_kind:     by_value
    .group_segment_fixed_size: 0
    .kernarg_segment_align: 8
    .kernarg_segment_size: 56
    .language:       OpenCL C
    .language_version:
      - 2
      - 0
    .max_flat_workgroup_size: 1024
    .name:           _ZN7rocprim17ROCPRIM_400000_NS6detail17trampoline_kernelINS0_14default_configENS1_35adjacent_difference_config_selectorILb0EiEEZNS1_24adjacent_difference_implIS3_Lb0ELb0EPiS7_N6thrust23THRUST_200600_302600_NS4plusIiEEEE10hipError_tPvRmT2_T3_mT4_P12ihipStream_tbEUlT_E_NS1_11comp_targetILNS1_3genE8ELNS1_11target_archE1030ELNS1_3gpuE2ELNS1_3repE0EEENS1_30default_config_static_selectorELNS0_4arch9wavefront6targetE1EEEvT1_
    .private_segment_fixed_size: 0
    .sgpr_count:     4
    .sgpr_spill_count: 0
    .symbol:         _ZN7rocprim17ROCPRIM_400000_NS6detail17trampoline_kernelINS0_14default_configENS1_35adjacent_difference_config_selectorILb0EiEEZNS1_24adjacent_difference_implIS3_Lb0ELb0EPiS7_N6thrust23THRUST_200600_302600_NS4plusIiEEEE10hipError_tPvRmT2_T3_mT4_P12ihipStream_tbEUlT_E_NS1_11comp_targetILNS1_3genE8ELNS1_11target_archE1030ELNS1_3gpuE2ELNS1_3repE0EEENS1_30default_config_static_selectorELNS0_4arch9wavefront6targetE1EEEvT1_.kd
    .uniform_work_group_size: 1
    .uses_dynamic_stack: false
    .vgpr_count:     0
    .vgpr_spill_count: 0
    .wavefront_size: 64
  - .agpr_count:     0
    .args:
      - .offset:         0
        .size:           56
        .value_kind:     by_value
    .group_segment_fixed_size: 0
    .kernarg_segment_align: 8
    .kernarg_segment_size: 56
    .language:       OpenCL C
    .language_version:
      - 2
      - 0
    .max_flat_workgroup_size: 128
    .name:           _ZN7rocprim17ROCPRIM_400000_NS6detail17trampoline_kernelINS0_14default_configENS1_25transform_config_selectorIiLb0EEEZNS1_14transform_implILb0ES3_S5_NS0_18transform_iteratorINS0_17counting_iteratorImlEEZNS1_24adjacent_difference_implIS3_Lb1ELb0EPiSB_N6thrust23THRUST_200600_302600_NS4plusIiEEEE10hipError_tPvRmT2_T3_mT4_P12ihipStream_tbEUlmE_iEESB_NS0_8identityIvEEEESG_SJ_SK_mSL_SN_bEUlT_E_NS1_11comp_targetILNS1_3genE0ELNS1_11target_archE4294967295ELNS1_3gpuE0ELNS1_3repE0EEENS1_30default_config_static_selectorELNS0_4arch9wavefront6targetE1EEEvT1_
    .private_segment_fixed_size: 0
    .sgpr_count:     4
    .sgpr_spill_count: 0
    .symbol:         _ZN7rocprim17ROCPRIM_400000_NS6detail17trampoline_kernelINS0_14default_configENS1_25transform_config_selectorIiLb0EEEZNS1_14transform_implILb0ES3_S5_NS0_18transform_iteratorINS0_17counting_iteratorImlEEZNS1_24adjacent_difference_implIS3_Lb1ELb0EPiSB_N6thrust23THRUST_200600_302600_NS4plusIiEEEE10hipError_tPvRmT2_T3_mT4_P12ihipStream_tbEUlmE_iEESB_NS0_8identityIvEEEESG_SJ_SK_mSL_SN_bEUlT_E_NS1_11comp_targetILNS1_3genE0ELNS1_11target_archE4294967295ELNS1_3gpuE0ELNS1_3repE0EEENS1_30default_config_static_selectorELNS0_4arch9wavefront6targetE1EEEvT1_.kd
    .uniform_work_group_size: 1
    .uses_dynamic_stack: false
    .vgpr_count:     0
    .vgpr_spill_count: 0
    .wavefront_size: 64
  - .agpr_count:     0
    .args:
      - .offset:         0
        .size:           56
        .value_kind:     by_value
    .group_segment_fixed_size: 0
    .kernarg_segment_align: 8
    .kernarg_segment_size: 56
    .language:       OpenCL C
    .language_version:
      - 2
      - 0
    .max_flat_workgroup_size: 512
    .name:           _ZN7rocprim17ROCPRIM_400000_NS6detail17trampoline_kernelINS0_14default_configENS1_25transform_config_selectorIiLb0EEEZNS1_14transform_implILb0ES3_S5_NS0_18transform_iteratorINS0_17counting_iteratorImlEEZNS1_24adjacent_difference_implIS3_Lb1ELb0EPiSB_N6thrust23THRUST_200600_302600_NS4plusIiEEEE10hipError_tPvRmT2_T3_mT4_P12ihipStream_tbEUlmE_iEESB_NS0_8identityIvEEEESG_SJ_SK_mSL_SN_bEUlT_E_NS1_11comp_targetILNS1_3genE5ELNS1_11target_archE942ELNS1_3gpuE9ELNS1_3repE0EEENS1_30default_config_static_selectorELNS0_4arch9wavefront6targetE1EEEvT1_
    .private_segment_fixed_size: 0
    .sgpr_count:     4
    .sgpr_spill_count: 0
    .symbol:         _ZN7rocprim17ROCPRIM_400000_NS6detail17trampoline_kernelINS0_14default_configENS1_25transform_config_selectorIiLb0EEEZNS1_14transform_implILb0ES3_S5_NS0_18transform_iteratorINS0_17counting_iteratorImlEEZNS1_24adjacent_difference_implIS3_Lb1ELb0EPiSB_N6thrust23THRUST_200600_302600_NS4plusIiEEEE10hipError_tPvRmT2_T3_mT4_P12ihipStream_tbEUlmE_iEESB_NS0_8identityIvEEEESG_SJ_SK_mSL_SN_bEUlT_E_NS1_11comp_targetILNS1_3genE5ELNS1_11target_archE942ELNS1_3gpuE9ELNS1_3repE0EEENS1_30default_config_static_selectorELNS0_4arch9wavefront6targetE1EEEvT1_.kd
    .uniform_work_group_size: 1
    .uses_dynamic_stack: false
    .vgpr_count:     0
    .vgpr_spill_count: 0
    .wavefront_size: 64
  - .agpr_count:     0
    .args:
      - .offset:         0
        .size:           56
        .value_kind:     by_value
      - .offset:         56
        .size:           4
        .value_kind:     hidden_block_count_x
      - .offset:         60
        .size:           4
        .value_kind:     hidden_block_count_y
      - .offset:         64
        .size:           4
        .value_kind:     hidden_block_count_z
      - .offset:         68
        .size:           2
        .value_kind:     hidden_group_size_x
      - .offset:         70
        .size:           2
        .value_kind:     hidden_group_size_y
      - .offset:         72
        .size:           2
        .value_kind:     hidden_group_size_z
      - .offset:         74
        .size:           2
        .value_kind:     hidden_remainder_x
      - .offset:         76
        .size:           2
        .value_kind:     hidden_remainder_y
      - .offset:         78
        .size:           2
        .value_kind:     hidden_remainder_z
      - .offset:         96
        .size:           8
        .value_kind:     hidden_global_offset_x
      - .offset:         104
        .size:           8
        .value_kind:     hidden_global_offset_y
      - .offset:         112
        .size:           8
        .value_kind:     hidden_global_offset_z
      - .offset:         120
        .size:           2
        .value_kind:     hidden_grid_dims
    .group_segment_fixed_size: 0
    .kernarg_segment_align: 8
    .kernarg_segment_size: 312
    .language:       OpenCL C
    .language_version:
      - 2
      - 0
    .max_flat_workgroup_size: 1024
    .name:           _ZN7rocprim17ROCPRIM_400000_NS6detail17trampoline_kernelINS0_14default_configENS1_25transform_config_selectorIiLb0EEEZNS1_14transform_implILb0ES3_S5_NS0_18transform_iteratorINS0_17counting_iteratorImlEEZNS1_24adjacent_difference_implIS3_Lb1ELb0EPiSB_N6thrust23THRUST_200600_302600_NS4plusIiEEEE10hipError_tPvRmT2_T3_mT4_P12ihipStream_tbEUlmE_iEESB_NS0_8identityIvEEEESG_SJ_SK_mSL_SN_bEUlT_E_NS1_11comp_targetILNS1_3genE4ELNS1_11target_archE910ELNS1_3gpuE8ELNS1_3repE0EEENS1_30default_config_static_selectorELNS0_4arch9wavefront6targetE1EEEvT1_
    .private_segment_fixed_size: 0
    .sgpr_count:     22
    .sgpr_spill_count: 0
    .symbol:         _ZN7rocprim17ROCPRIM_400000_NS6detail17trampoline_kernelINS0_14default_configENS1_25transform_config_selectorIiLb0EEEZNS1_14transform_implILb0ES3_S5_NS0_18transform_iteratorINS0_17counting_iteratorImlEEZNS1_24adjacent_difference_implIS3_Lb1ELb0EPiSB_N6thrust23THRUST_200600_302600_NS4plusIiEEEE10hipError_tPvRmT2_T3_mT4_P12ihipStream_tbEUlmE_iEESB_NS0_8identityIvEEEESG_SJ_SK_mSL_SN_bEUlT_E_NS1_11comp_targetILNS1_3genE4ELNS1_11target_archE910ELNS1_3gpuE8ELNS1_3repE0EEENS1_30default_config_static_selectorELNS0_4arch9wavefront6targetE1EEEvT1_.kd
    .uniform_work_group_size: 1
    .uses_dynamic_stack: false
    .vgpr_count:     8
    .vgpr_spill_count: 0
    .wavefront_size: 64
  - .agpr_count:     0
    .args:
      - .offset:         0
        .size:           56
        .value_kind:     by_value
    .group_segment_fixed_size: 0
    .kernarg_segment_align: 8
    .kernarg_segment_size: 56
    .language:       OpenCL C
    .language_version:
      - 2
      - 0
    .max_flat_workgroup_size: 128
    .name:           _ZN7rocprim17ROCPRIM_400000_NS6detail17trampoline_kernelINS0_14default_configENS1_25transform_config_selectorIiLb0EEEZNS1_14transform_implILb0ES3_S5_NS0_18transform_iteratorINS0_17counting_iteratorImlEEZNS1_24adjacent_difference_implIS3_Lb1ELb0EPiSB_N6thrust23THRUST_200600_302600_NS4plusIiEEEE10hipError_tPvRmT2_T3_mT4_P12ihipStream_tbEUlmE_iEESB_NS0_8identityIvEEEESG_SJ_SK_mSL_SN_bEUlT_E_NS1_11comp_targetILNS1_3genE3ELNS1_11target_archE908ELNS1_3gpuE7ELNS1_3repE0EEENS1_30default_config_static_selectorELNS0_4arch9wavefront6targetE1EEEvT1_
    .private_segment_fixed_size: 0
    .sgpr_count:     4
    .sgpr_spill_count: 0
    .symbol:         _ZN7rocprim17ROCPRIM_400000_NS6detail17trampoline_kernelINS0_14default_configENS1_25transform_config_selectorIiLb0EEEZNS1_14transform_implILb0ES3_S5_NS0_18transform_iteratorINS0_17counting_iteratorImlEEZNS1_24adjacent_difference_implIS3_Lb1ELb0EPiSB_N6thrust23THRUST_200600_302600_NS4plusIiEEEE10hipError_tPvRmT2_T3_mT4_P12ihipStream_tbEUlmE_iEESB_NS0_8identityIvEEEESG_SJ_SK_mSL_SN_bEUlT_E_NS1_11comp_targetILNS1_3genE3ELNS1_11target_archE908ELNS1_3gpuE7ELNS1_3repE0EEENS1_30default_config_static_selectorELNS0_4arch9wavefront6targetE1EEEvT1_.kd
    .uniform_work_group_size: 1
    .uses_dynamic_stack: false
    .vgpr_count:     0
    .vgpr_spill_count: 0
    .wavefront_size: 64
  - .agpr_count:     0
    .args:
      - .offset:         0
        .size:           56
        .value_kind:     by_value
    .group_segment_fixed_size: 0
    .kernarg_segment_align: 8
    .kernarg_segment_size: 56
    .language:       OpenCL C
    .language_version:
      - 2
      - 0
    .max_flat_workgroup_size: 1024
    .name:           _ZN7rocprim17ROCPRIM_400000_NS6detail17trampoline_kernelINS0_14default_configENS1_25transform_config_selectorIiLb0EEEZNS1_14transform_implILb0ES3_S5_NS0_18transform_iteratorINS0_17counting_iteratorImlEEZNS1_24adjacent_difference_implIS3_Lb1ELb0EPiSB_N6thrust23THRUST_200600_302600_NS4plusIiEEEE10hipError_tPvRmT2_T3_mT4_P12ihipStream_tbEUlmE_iEESB_NS0_8identityIvEEEESG_SJ_SK_mSL_SN_bEUlT_E_NS1_11comp_targetILNS1_3genE2ELNS1_11target_archE906ELNS1_3gpuE6ELNS1_3repE0EEENS1_30default_config_static_selectorELNS0_4arch9wavefront6targetE1EEEvT1_
    .private_segment_fixed_size: 0
    .sgpr_count:     4
    .sgpr_spill_count: 0
    .symbol:         _ZN7rocprim17ROCPRIM_400000_NS6detail17trampoline_kernelINS0_14default_configENS1_25transform_config_selectorIiLb0EEEZNS1_14transform_implILb0ES3_S5_NS0_18transform_iteratorINS0_17counting_iteratorImlEEZNS1_24adjacent_difference_implIS3_Lb1ELb0EPiSB_N6thrust23THRUST_200600_302600_NS4plusIiEEEE10hipError_tPvRmT2_T3_mT4_P12ihipStream_tbEUlmE_iEESB_NS0_8identityIvEEEESG_SJ_SK_mSL_SN_bEUlT_E_NS1_11comp_targetILNS1_3genE2ELNS1_11target_archE906ELNS1_3gpuE6ELNS1_3repE0EEENS1_30default_config_static_selectorELNS0_4arch9wavefront6targetE1EEEvT1_.kd
    .uniform_work_group_size: 1
    .uses_dynamic_stack: false
    .vgpr_count:     0
    .vgpr_spill_count: 0
    .wavefront_size: 64
  - .agpr_count:     0
    .args:
      - .offset:         0
        .size:           56
        .value_kind:     by_value
    .group_segment_fixed_size: 0
    .kernarg_segment_align: 8
    .kernarg_segment_size: 56
    .language:       OpenCL C
    .language_version:
      - 2
      - 0
    .max_flat_workgroup_size: 1024
    .name:           _ZN7rocprim17ROCPRIM_400000_NS6detail17trampoline_kernelINS0_14default_configENS1_25transform_config_selectorIiLb0EEEZNS1_14transform_implILb0ES3_S5_NS0_18transform_iteratorINS0_17counting_iteratorImlEEZNS1_24adjacent_difference_implIS3_Lb1ELb0EPiSB_N6thrust23THRUST_200600_302600_NS4plusIiEEEE10hipError_tPvRmT2_T3_mT4_P12ihipStream_tbEUlmE_iEESB_NS0_8identityIvEEEESG_SJ_SK_mSL_SN_bEUlT_E_NS1_11comp_targetILNS1_3genE10ELNS1_11target_archE1201ELNS1_3gpuE5ELNS1_3repE0EEENS1_30default_config_static_selectorELNS0_4arch9wavefront6targetE1EEEvT1_
    .private_segment_fixed_size: 0
    .sgpr_count:     4
    .sgpr_spill_count: 0
    .symbol:         _ZN7rocprim17ROCPRIM_400000_NS6detail17trampoline_kernelINS0_14default_configENS1_25transform_config_selectorIiLb0EEEZNS1_14transform_implILb0ES3_S5_NS0_18transform_iteratorINS0_17counting_iteratorImlEEZNS1_24adjacent_difference_implIS3_Lb1ELb0EPiSB_N6thrust23THRUST_200600_302600_NS4plusIiEEEE10hipError_tPvRmT2_T3_mT4_P12ihipStream_tbEUlmE_iEESB_NS0_8identityIvEEEESG_SJ_SK_mSL_SN_bEUlT_E_NS1_11comp_targetILNS1_3genE10ELNS1_11target_archE1201ELNS1_3gpuE5ELNS1_3repE0EEENS1_30default_config_static_selectorELNS0_4arch9wavefront6targetE1EEEvT1_.kd
    .uniform_work_group_size: 1
    .uses_dynamic_stack: false
    .vgpr_count:     0
    .vgpr_spill_count: 0
    .wavefront_size: 64
  - .agpr_count:     0
    .args:
      - .offset:         0
        .size:           56
        .value_kind:     by_value
    .group_segment_fixed_size: 0
    .kernarg_segment_align: 8
    .kernarg_segment_size: 56
    .language:       OpenCL C
    .language_version:
      - 2
      - 0
    .max_flat_workgroup_size: 512
    .name:           _ZN7rocprim17ROCPRIM_400000_NS6detail17trampoline_kernelINS0_14default_configENS1_25transform_config_selectorIiLb0EEEZNS1_14transform_implILb0ES3_S5_NS0_18transform_iteratorINS0_17counting_iteratorImlEEZNS1_24adjacent_difference_implIS3_Lb1ELb0EPiSB_N6thrust23THRUST_200600_302600_NS4plusIiEEEE10hipError_tPvRmT2_T3_mT4_P12ihipStream_tbEUlmE_iEESB_NS0_8identityIvEEEESG_SJ_SK_mSL_SN_bEUlT_E_NS1_11comp_targetILNS1_3genE10ELNS1_11target_archE1200ELNS1_3gpuE4ELNS1_3repE0EEENS1_30default_config_static_selectorELNS0_4arch9wavefront6targetE1EEEvT1_
    .private_segment_fixed_size: 0
    .sgpr_count:     4
    .sgpr_spill_count: 0
    .symbol:         _ZN7rocprim17ROCPRIM_400000_NS6detail17trampoline_kernelINS0_14default_configENS1_25transform_config_selectorIiLb0EEEZNS1_14transform_implILb0ES3_S5_NS0_18transform_iteratorINS0_17counting_iteratorImlEEZNS1_24adjacent_difference_implIS3_Lb1ELb0EPiSB_N6thrust23THRUST_200600_302600_NS4plusIiEEEE10hipError_tPvRmT2_T3_mT4_P12ihipStream_tbEUlmE_iEESB_NS0_8identityIvEEEESG_SJ_SK_mSL_SN_bEUlT_E_NS1_11comp_targetILNS1_3genE10ELNS1_11target_archE1200ELNS1_3gpuE4ELNS1_3repE0EEENS1_30default_config_static_selectorELNS0_4arch9wavefront6targetE1EEEvT1_.kd
    .uniform_work_group_size: 1
    .uses_dynamic_stack: false
    .vgpr_count:     0
    .vgpr_spill_count: 0
    .wavefront_size: 64
  - .agpr_count:     0
    .args:
      - .offset:         0
        .size:           56
        .value_kind:     by_value
    .group_segment_fixed_size: 0
    .kernarg_segment_align: 8
    .kernarg_segment_size: 56
    .language:       OpenCL C
    .language_version:
      - 2
      - 0
    .max_flat_workgroup_size: 64
    .name:           _ZN7rocprim17ROCPRIM_400000_NS6detail17trampoline_kernelINS0_14default_configENS1_25transform_config_selectorIiLb0EEEZNS1_14transform_implILb0ES3_S5_NS0_18transform_iteratorINS0_17counting_iteratorImlEEZNS1_24adjacent_difference_implIS3_Lb1ELb0EPiSB_N6thrust23THRUST_200600_302600_NS4plusIiEEEE10hipError_tPvRmT2_T3_mT4_P12ihipStream_tbEUlmE_iEESB_NS0_8identityIvEEEESG_SJ_SK_mSL_SN_bEUlT_E_NS1_11comp_targetILNS1_3genE9ELNS1_11target_archE1100ELNS1_3gpuE3ELNS1_3repE0EEENS1_30default_config_static_selectorELNS0_4arch9wavefront6targetE1EEEvT1_
    .private_segment_fixed_size: 0
    .sgpr_count:     4
    .sgpr_spill_count: 0
    .symbol:         _ZN7rocprim17ROCPRIM_400000_NS6detail17trampoline_kernelINS0_14default_configENS1_25transform_config_selectorIiLb0EEEZNS1_14transform_implILb0ES3_S5_NS0_18transform_iteratorINS0_17counting_iteratorImlEEZNS1_24adjacent_difference_implIS3_Lb1ELb0EPiSB_N6thrust23THRUST_200600_302600_NS4plusIiEEEE10hipError_tPvRmT2_T3_mT4_P12ihipStream_tbEUlmE_iEESB_NS0_8identityIvEEEESG_SJ_SK_mSL_SN_bEUlT_E_NS1_11comp_targetILNS1_3genE9ELNS1_11target_archE1100ELNS1_3gpuE3ELNS1_3repE0EEENS1_30default_config_static_selectorELNS0_4arch9wavefront6targetE1EEEvT1_.kd
    .uniform_work_group_size: 1
    .uses_dynamic_stack: false
    .vgpr_count:     0
    .vgpr_spill_count: 0
    .wavefront_size: 64
  - .agpr_count:     0
    .args:
      - .offset:         0
        .size:           56
        .value_kind:     by_value
    .group_segment_fixed_size: 0
    .kernarg_segment_align: 8
    .kernarg_segment_size: 56
    .language:       OpenCL C
    .language_version:
      - 2
      - 0
    .max_flat_workgroup_size: 256
    .name:           _ZN7rocprim17ROCPRIM_400000_NS6detail17trampoline_kernelINS0_14default_configENS1_25transform_config_selectorIiLb0EEEZNS1_14transform_implILb0ES3_S5_NS0_18transform_iteratorINS0_17counting_iteratorImlEEZNS1_24adjacent_difference_implIS3_Lb1ELb0EPiSB_N6thrust23THRUST_200600_302600_NS4plusIiEEEE10hipError_tPvRmT2_T3_mT4_P12ihipStream_tbEUlmE_iEESB_NS0_8identityIvEEEESG_SJ_SK_mSL_SN_bEUlT_E_NS1_11comp_targetILNS1_3genE8ELNS1_11target_archE1030ELNS1_3gpuE2ELNS1_3repE0EEENS1_30default_config_static_selectorELNS0_4arch9wavefront6targetE1EEEvT1_
    .private_segment_fixed_size: 0
    .sgpr_count:     4
    .sgpr_spill_count: 0
    .symbol:         _ZN7rocprim17ROCPRIM_400000_NS6detail17trampoline_kernelINS0_14default_configENS1_25transform_config_selectorIiLb0EEEZNS1_14transform_implILb0ES3_S5_NS0_18transform_iteratorINS0_17counting_iteratorImlEEZNS1_24adjacent_difference_implIS3_Lb1ELb0EPiSB_N6thrust23THRUST_200600_302600_NS4plusIiEEEE10hipError_tPvRmT2_T3_mT4_P12ihipStream_tbEUlmE_iEESB_NS0_8identityIvEEEESG_SJ_SK_mSL_SN_bEUlT_E_NS1_11comp_targetILNS1_3genE8ELNS1_11target_archE1030ELNS1_3gpuE2ELNS1_3repE0EEENS1_30default_config_static_selectorELNS0_4arch9wavefront6targetE1EEEvT1_.kd
    .uniform_work_group_size: 1
    .uses_dynamic_stack: false
    .vgpr_count:     0
    .vgpr_spill_count: 0
    .wavefront_size: 64
  - .agpr_count:     0
    .args:
      - .offset:         0
        .size:           56
        .value_kind:     by_value
    .group_segment_fixed_size: 0
    .kernarg_segment_align: 8
    .kernarg_segment_size: 56
    .language:       OpenCL C
    .language_version:
      - 2
      - 0
    .max_flat_workgroup_size: 1024
    .name:           _ZN7rocprim17ROCPRIM_400000_NS6detail17trampoline_kernelINS0_14default_configENS1_35adjacent_difference_config_selectorILb1EiEEZNS1_24adjacent_difference_implIS3_Lb1ELb0EPiS7_N6thrust23THRUST_200600_302600_NS4plusIiEEEE10hipError_tPvRmT2_T3_mT4_P12ihipStream_tbEUlT_E_NS1_11comp_targetILNS1_3genE0ELNS1_11target_archE4294967295ELNS1_3gpuE0ELNS1_3repE0EEENS1_30default_config_static_selectorELNS0_4arch9wavefront6targetE1EEEvT1_
    .private_segment_fixed_size: 0
    .sgpr_count:     4
    .sgpr_spill_count: 0
    .symbol:         _ZN7rocprim17ROCPRIM_400000_NS6detail17trampoline_kernelINS0_14default_configENS1_35adjacent_difference_config_selectorILb1EiEEZNS1_24adjacent_difference_implIS3_Lb1ELb0EPiS7_N6thrust23THRUST_200600_302600_NS4plusIiEEEE10hipError_tPvRmT2_T3_mT4_P12ihipStream_tbEUlT_E_NS1_11comp_targetILNS1_3genE0ELNS1_11target_archE4294967295ELNS1_3gpuE0ELNS1_3repE0EEENS1_30default_config_static_selectorELNS0_4arch9wavefront6targetE1EEEvT1_.kd
    .uniform_work_group_size: 1
    .uses_dynamic_stack: false
    .vgpr_count:     0
    .vgpr_spill_count: 0
    .wavefront_size: 64
  - .agpr_count:     0
    .args:
      - .offset:         0
        .size:           56
        .value_kind:     by_value
    .group_segment_fixed_size: 0
    .kernarg_segment_align: 8
    .kernarg_segment_size: 56
    .language:       OpenCL C
    .language_version:
      - 2
      - 0
    .max_flat_workgroup_size: 32
    .name:           _ZN7rocprim17ROCPRIM_400000_NS6detail17trampoline_kernelINS0_14default_configENS1_35adjacent_difference_config_selectorILb1EiEEZNS1_24adjacent_difference_implIS3_Lb1ELb0EPiS7_N6thrust23THRUST_200600_302600_NS4plusIiEEEE10hipError_tPvRmT2_T3_mT4_P12ihipStream_tbEUlT_E_NS1_11comp_targetILNS1_3genE10ELNS1_11target_archE1201ELNS1_3gpuE5ELNS1_3repE0EEENS1_30default_config_static_selectorELNS0_4arch9wavefront6targetE1EEEvT1_
    .private_segment_fixed_size: 0
    .sgpr_count:     4
    .sgpr_spill_count: 0
    .symbol:         _ZN7rocprim17ROCPRIM_400000_NS6detail17trampoline_kernelINS0_14default_configENS1_35adjacent_difference_config_selectorILb1EiEEZNS1_24adjacent_difference_implIS3_Lb1ELb0EPiS7_N6thrust23THRUST_200600_302600_NS4plusIiEEEE10hipError_tPvRmT2_T3_mT4_P12ihipStream_tbEUlT_E_NS1_11comp_targetILNS1_3genE10ELNS1_11target_archE1201ELNS1_3gpuE5ELNS1_3repE0EEENS1_30default_config_static_selectorELNS0_4arch9wavefront6targetE1EEEvT1_.kd
    .uniform_work_group_size: 1
    .uses_dynamic_stack: false
    .vgpr_count:     0
    .vgpr_spill_count: 0
    .wavefront_size: 64
  - .agpr_count:     0
    .args:
      - .offset:         0
        .size:           56
        .value_kind:     by_value
    .group_segment_fixed_size: 0
    .kernarg_segment_align: 8
    .kernarg_segment_size: 56
    .language:       OpenCL C
    .language_version:
      - 2
      - 0
    .max_flat_workgroup_size: 512
    .name:           _ZN7rocprim17ROCPRIM_400000_NS6detail17trampoline_kernelINS0_14default_configENS1_35adjacent_difference_config_selectorILb1EiEEZNS1_24adjacent_difference_implIS3_Lb1ELb0EPiS7_N6thrust23THRUST_200600_302600_NS4plusIiEEEE10hipError_tPvRmT2_T3_mT4_P12ihipStream_tbEUlT_E_NS1_11comp_targetILNS1_3genE5ELNS1_11target_archE942ELNS1_3gpuE9ELNS1_3repE0EEENS1_30default_config_static_selectorELNS0_4arch9wavefront6targetE1EEEvT1_
    .private_segment_fixed_size: 0
    .sgpr_count:     4
    .sgpr_spill_count: 0
    .symbol:         _ZN7rocprim17ROCPRIM_400000_NS6detail17trampoline_kernelINS0_14default_configENS1_35adjacent_difference_config_selectorILb1EiEEZNS1_24adjacent_difference_implIS3_Lb1ELb0EPiS7_N6thrust23THRUST_200600_302600_NS4plusIiEEEE10hipError_tPvRmT2_T3_mT4_P12ihipStream_tbEUlT_E_NS1_11comp_targetILNS1_3genE5ELNS1_11target_archE942ELNS1_3gpuE9ELNS1_3repE0EEENS1_30default_config_static_selectorELNS0_4arch9wavefront6targetE1EEEvT1_.kd
    .uniform_work_group_size: 1
    .uses_dynamic_stack: false
    .vgpr_count:     0
    .vgpr_spill_count: 0
    .wavefront_size: 64
  - .agpr_count:     0
    .args:
      - .offset:         0
        .size:           56
        .value_kind:     by_value
    .group_segment_fixed_size: 10240
    .kernarg_segment_align: 8
    .kernarg_segment_size: 56
    .language:       OpenCL C
    .language_version:
      - 2
      - 0
    .max_flat_workgroup_size: 512
    .name:           _ZN7rocprim17ROCPRIM_400000_NS6detail17trampoline_kernelINS0_14default_configENS1_35adjacent_difference_config_selectorILb1EiEEZNS1_24adjacent_difference_implIS3_Lb1ELb0EPiS7_N6thrust23THRUST_200600_302600_NS4plusIiEEEE10hipError_tPvRmT2_T3_mT4_P12ihipStream_tbEUlT_E_NS1_11comp_targetILNS1_3genE4ELNS1_11target_archE910ELNS1_3gpuE8ELNS1_3repE0EEENS1_30default_config_static_selectorELNS0_4arch9wavefront6targetE1EEEvT1_
    .private_segment_fixed_size: 0
    .sgpr_count:     33
    .sgpr_spill_count: 0
    .symbol:         _ZN7rocprim17ROCPRIM_400000_NS6detail17trampoline_kernelINS0_14default_configENS1_35adjacent_difference_config_selectorILb1EiEEZNS1_24adjacent_difference_implIS3_Lb1ELb0EPiS7_N6thrust23THRUST_200600_302600_NS4plusIiEEEE10hipError_tPvRmT2_T3_mT4_P12ihipStream_tbEUlT_E_NS1_11comp_targetILNS1_3genE4ELNS1_11target_archE910ELNS1_3gpuE8ELNS1_3repE0EEENS1_30default_config_static_selectorELNS0_4arch9wavefront6targetE1EEEvT1_.kd
    .uniform_work_group_size: 1
    .uses_dynamic_stack: false
    .vgpr_count:     24
    .vgpr_spill_count: 0
    .wavefront_size: 64
  - .agpr_count:     0
    .args:
      - .offset:         0
        .size:           56
        .value_kind:     by_value
    .group_segment_fixed_size: 0
    .kernarg_segment_align: 8
    .kernarg_segment_size: 56
    .language:       OpenCL C
    .language_version:
      - 2
      - 0
    .max_flat_workgroup_size: 1024
    .name:           _ZN7rocprim17ROCPRIM_400000_NS6detail17trampoline_kernelINS0_14default_configENS1_35adjacent_difference_config_selectorILb1EiEEZNS1_24adjacent_difference_implIS3_Lb1ELb0EPiS7_N6thrust23THRUST_200600_302600_NS4plusIiEEEE10hipError_tPvRmT2_T3_mT4_P12ihipStream_tbEUlT_E_NS1_11comp_targetILNS1_3genE3ELNS1_11target_archE908ELNS1_3gpuE7ELNS1_3repE0EEENS1_30default_config_static_selectorELNS0_4arch9wavefront6targetE1EEEvT1_
    .private_segment_fixed_size: 0
    .sgpr_count:     4
    .sgpr_spill_count: 0
    .symbol:         _ZN7rocprim17ROCPRIM_400000_NS6detail17trampoline_kernelINS0_14default_configENS1_35adjacent_difference_config_selectorILb1EiEEZNS1_24adjacent_difference_implIS3_Lb1ELb0EPiS7_N6thrust23THRUST_200600_302600_NS4plusIiEEEE10hipError_tPvRmT2_T3_mT4_P12ihipStream_tbEUlT_E_NS1_11comp_targetILNS1_3genE3ELNS1_11target_archE908ELNS1_3gpuE7ELNS1_3repE0EEENS1_30default_config_static_selectorELNS0_4arch9wavefront6targetE1EEEvT1_.kd
    .uniform_work_group_size: 1
    .uses_dynamic_stack: false
    .vgpr_count:     0
    .vgpr_spill_count: 0
    .wavefront_size: 64
  - .agpr_count:     0
    .args:
      - .offset:         0
        .size:           56
        .value_kind:     by_value
    .group_segment_fixed_size: 0
    .kernarg_segment_align: 8
    .kernarg_segment_size: 56
    .language:       OpenCL C
    .language_version:
      - 2
      - 0
    .max_flat_workgroup_size: 256
    .name:           _ZN7rocprim17ROCPRIM_400000_NS6detail17trampoline_kernelINS0_14default_configENS1_35adjacent_difference_config_selectorILb1EiEEZNS1_24adjacent_difference_implIS3_Lb1ELb0EPiS7_N6thrust23THRUST_200600_302600_NS4plusIiEEEE10hipError_tPvRmT2_T3_mT4_P12ihipStream_tbEUlT_E_NS1_11comp_targetILNS1_3genE2ELNS1_11target_archE906ELNS1_3gpuE6ELNS1_3repE0EEENS1_30default_config_static_selectorELNS0_4arch9wavefront6targetE1EEEvT1_
    .private_segment_fixed_size: 0
    .sgpr_count:     4
    .sgpr_spill_count: 0
    .symbol:         _ZN7rocprim17ROCPRIM_400000_NS6detail17trampoline_kernelINS0_14default_configENS1_35adjacent_difference_config_selectorILb1EiEEZNS1_24adjacent_difference_implIS3_Lb1ELb0EPiS7_N6thrust23THRUST_200600_302600_NS4plusIiEEEE10hipError_tPvRmT2_T3_mT4_P12ihipStream_tbEUlT_E_NS1_11comp_targetILNS1_3genE2ELNS1_11target_archE906ELNS1_3gpuE6ELNS1_3repE0EEENS1_30default_config_static_selectorELNS0_4arch9wavefront6targetE1EEEvT1_.kd
    .uniform_work_group_size: 1
    .uses_dynamic_stack: false
    .vgpr_count:     0
    .vgpr_spill_count: 0
    .wavefront_size: 64
  - .agpr_count:     0
    .args:
      - .offset:         0
        .size:           56
        .value_kind:     by_value
    .group_segment_fixed_size: 0
    .kernarg_segment_align: 8
    .kernarg_segment_size: 56
    .language:       OpenCL C
    .language_version:
      - 2
      - 0
    .max_flat_workgroup_size: 128
    .name:           _ZN7rocprim17ROCPRIM_400000_NS6detail17trampoline_kernelINS0_14default_configENS1_35adjacent_difference_config_selectorILb1EiEEZNS1_24adjacent_difference_implIS3_Lb1ELb0EPiS7_N6thrust23THRUST_200600_302600_NS4plusIiEEEE10hipError_tPvRmT2_T3_mT4_P12ihipStream_tbEUlT_E_NS1_11comp_targetILNS1_3genE9ELNS1_11target_archE1100ELNS1_3gpuE3ELNS1_3repE0EEENS1_30default_config_static_selectorELNS0_4arch9wavefront6targetE1EEEvT1_
    .private_segment_fixed_size: 0
    .sgpr_count:     4
    .sgpr_spill_count: 0
    .symbol:         _ZN7rocprim17ROCPRIM_400000_NS6detail17trampoline_kernelINS0_14default_configENS1_35adjacent_difference_config_selectorILb1EiEEZNS1_24adjacent_difference_implIS3_Lb1ELb0EPiS7_N6thrust23THRUST_200600_302600_NS4plusIiEEEE10hipError_tPvRmT2_T3_mT4_P12ihipStream_tbEUlT_E_NS1_11comp_targetILNS1_3genE9ELNS1_11target_archE1100ELNS1_3gpuE3ELNS1_3repE0EEENS1_30default_config_static_selectorELNS0_4arch9wavefront6targetE1EEEvT1_.kd
    .uniform_work_group_size: 1
    .uses_dynamic_stack: false
    .vgpr_count:     0
    .vgpr_spill_count: 0
    .wavefront_size: 64
  - .agpr_count:     0
    .args:
      - .offset:         0
        .size:           56
        .value_kind:     by_value
    .group_segment_fixed_size: 0
    .kernarg_segment_align: 8
    .kernarg_segment_size: 56
    .language:       OpenCL C
    .language_version:
      - 2
      - 0
    .max_flat_workgroup_size: 32
    .name:           _ZN7rocprim17ROCPRIM_400000_NS6detail17trampoline_kernelINS0_14default_configENS1_35adjacent_difference_config_selectorILb1EiEEZNS1_24adjacent_difference_implIS3_Lb1ELb0EPiS7_N6thrust23THRUST_200600_302600_NS4plusIiEEEE10hipError_tPvRmT2_T3_mT4_P12ihipStream_tbEUlT_E_NS1_11comp_targetILNS1_3genE8ELNS1_11target_archE1030ELNS1_3gpuE2ELNS1_3repE0EEENS1_30default_config_static_selectorELNS0_4arch9wavefront6targetE1EEEvT1_
    .private_segment_fixed_size: 0
    .sgpr_count:     4
    .sgpr_spill_count: 0
    .symbol:         _ZN7rocprim17ROCPRIM_400000_NS6detail17trampoline_kernelINS0_14default_configENS1_35adjacent_difference_config_selectorILb1EiEEZNS1_24adjacent_difference_implIS3_Lb1ELb0EPiS7_N6thrust23THRUST_200600_302600_NS4plusIiEEEE10hipError_tPvRmT2_T3_mT4_P12ihipStream_tbEUlT_E_NS1_11comp_targetILNS1_3genE8ELNS1_11target_archE1030ELNS1_3gpuE2ELNS1_3repE0EEENS1_30default_config_static_selectorELNS0_4arch9wavefront6targetE1EEEvT1_.kd
    .uniform_work_group_size: 1
    .uses_dynamic_stack: false
    .vgpr_count:     0
    .vgpr_spill_count: 0
    .wavefront_size: 64
  - .agpr_count:     0
    .args:
      - .offset:         0
        .size:           16
        .value_kind:     by_value
      - .offset:         16
        .size:           8
        .value_kind:     by_value
      - .offset:         24
        .size:           8
        .value_kind:     by_value
    .group_segment_fixed_size: 0
    .kernarg_segment_align: 8
    .kernarg_segment_size: 32
    .language:       OpenCL C
    .language_version:
      - 2
      - 0
    .max_flat_workgroup_size: 256
    .name:           _ZN6thrust23THRUST_200600_302600_NS11hip_rocprim14__parallel_for6kernelILj256ENS1_20__uninitialized_fill7functorINS0_10device_ptrIfEEfEEmLj1EEEvT0_T1_SA_
    .private_segment_fixed_size: 0
    .sgpr_count:     16
    .sgpr_spill_count: 0
    .symbol:         _ZN6thrust23THRUST_200600_302600_NS11hip_rocprim14__parallel_for6kernelILj256ENS1_20__uninitialized_fill7functorINS0_10device_ptrIfEEfEEmLj1EEEvT0_T1_SA_.kd
    .uniform_work_group_size: 1
    .uses_dynamic_stack: false
    .vgpr_count:     4
    .vgpr_spill_count: 0
    .wavefront_size: 64
  - .agpr_count:     0
    .args:
      - .offset:         0
        .size:           56
        .value_kind:     by_value
    .group_segment_fixed_size: 0
    .kernarg_segment_align: 8
    .kernarg_segment_size: 56
    .language:       OpenCL C
    .language_version:
      - 2
      - 0
    .max_flat_workgroup_size: 128
    .name:           _ZN7rocprim17ROCPRIM_400000_NS6detail17trampoline_kernelINS0_14default_configENS1_35adjacent_difference_config_selectorILb0EfEEZNS1_24adjacent_difference_implIS3_Lb0ELb0EPfS7_N6thrust23THRUST_200600_302600_NS5minusIfEEEE10hipError_tPvRmT2_T3_mT4_P12ihipStream_tbEUlT_E_NS1_11comp_targetILNS1_3genE0ELNS1_11target_archE4294967295ELNS1_3gpuE0ELNS1_3repE0EEENS1_30default_config_static_selectorELNS0_4arch9wavefront6targetE1EEEvT1_
    .private_segment_fixed_size: 0
    .sgpr_count:     4
    .sgpr_spill_count: 0
    .symbol:         _ZN7rocprim17ROCPRIM_400000_NS6detail17trampoline_kernelINS0_14default_configENS1_35adjacent_difference_config_selectorILb0EfEEZNS1_24adjacent_difference_implIS3_Lb0ELb0EPfS7_N6thrust23THRUST_200600_302600_NS5minusIfEEEE10hipError_tPvRmT2_T3_mT4_P12ihipStream_tbEUlT_E_NS1_11comp_targetILNS1_3genE0ELNS1_11target_archE4294967295ELNS1_3gpuE0ELNS1_3repE0EEENS1_30default_config_static_selectorELNS0_4arch9wavefront6targetE1EEEvT1_.kd
    .uniform_work_group_size: 1
    .uses_dynamic_stack: false
    .vgpr_count:     0
    .vgpr_spill_count: 0
    .wavefront_size: 64
  - .agpr_count:     0
    .args:
      - .offset:         0
        .size:           56
        .value_kind:     by_value
    .group_segment_fixed_size: 0
    .kernarg_segment_align: 8
    .kernarg_segment_size: 56
    .language:       OpenCL C
    .language_version:
      - 2
      - 0
    .max_flat_workgroup_size: 1024
    .name:           _ZN7rocprim17ROCPRIM_400000_NS6detail17trampoline_kernelINS0_14default_configENS1_35adjacent_difference_config_selectorILb0EfEEZNS1_24adjacent_difference_implIS3_Lb0ELb0EPfS7_N6thrust23THRUST_200600_302600_NS5minusIfEEEE10hipError_tPvRmT2_T3_mT4_P12ihipStream_tbEUlT_E_NS1_11comp_targetILNS1_3genE10ELNS1_11target_archE1201ELNS1_3gpuE5ELNS1_3repE0EEENS1_30default_config_static_selectorELNS0_4arch9wavefront6targetE1EEEvT1_
    .private_segment_fixed_size: 0
    .sgpr_count:     4
    .sgpr_spill_count: 0
    .symbol:         _ZN7rocprim17ROCPRIM_400000_NS6detail17trampoline_kernelINS0_14default_configENS1_35adjacent_difference_config_selectorILb0EfEEZNS1_24adjacent_difference_implIS3_Lb0ELb0EPfS7_N6thrust23THRUST_200600_302600_NS5minusIfEEEE10hipError_tPvRmT2_T3_mT4_P12ihipStream_tbEUlT_E_NS1_11comp_targetILNS1_3genE10ELNS1_11target_archE1201ELNS1_3gpuE5ELNS1_3repE0EEENS1_30default_config_static_selectorELNS0_4arch9wavefront6targetE1EEEvT1_.kd
    .uniform_work_group_size: 1
    .uses_dynamic_stack: false
    .vgpr_count:     0
    .vgpr_spill_count: 0
    .wavefront_size: 64
  - .agpr_count:     0
    .args:
      - .offset:         0
        .size:           56
        .value_kind:     by_value
    .group_segment_fixed_size: 0
    .kernarg_segment_align: 8
    .kernarg_segment_size: 56
    .language:       OpenCL C
    .language_version:
      - 2
      - 0
    .max_flat_workgroup_size: 64
    .name:           _ZN7rocprim17ROCPRIM_400000_NS6detail17trampoline_kernelINS0_14default_configENS1_35adjacent_difference_config_selectorILb0EfEEZNS1_24adjacent_difference_implIS3_Lb0ELb0EPfS7_N6thrust23THRUST_200600_302600_NS5minusIfEEEE10hipError_tPvRmT2_T3_mT4_P12ihipStream_tbEUlT_E_NS1_11comp_targetILNS1_3genE5ELNS1_11target_archE942ELNS1_3gpuE9ELNS1_3repE0EEENS1_30default_config_static_selectorELNS0_4arch9wavefront6targetE1EEEvT1_
    .private_segment_fixed_size: 0
    .sgpr_count:     4
    .sgpr_spill_count: 0
    .symbol:         _ZN7rocprim17ROCPRIM_400000_NS6detail17trampoline_kernelINS0_14default_configENS1_35adjacent_difference_config_selectorILb0EfEEZNS1_24adjacent_difference_implIS3_Lb0ELb0EPfS7_N6thrust23THRUST_200600_302600_NS5minusIfEEEE10hipError_tPvRmT2_T3_mT4_P12ihipStream_tbEUlT_E_NS1_11comp_targetILNS1_3genE5ELNS1_11target_archE942ELNS1_3gpuE9ELNS1_3repE0EEENS1_30default_config_static_selectorELNS0_4arch9wavefront6targetE1EEEvT1_.kd
    .uniform_work_group_size: 1
    .uses_dynamic_stack: false
    .vgpr_count:     0
    .vgpr_spill_count: 0
    .wavefront_size: 64
  - .agpr_count:     0
    .args:
      - .offset:         0
        .size:           56
        .value_kind:     by_value
    .group_segment_fixed_size: 10240
    .kernarg_segment_align: 8
    .kernarg_segment_size: 56
    .language:       OpenCL C
    .language_version:
      - 2
      - 0
    .max_flat_workgroup_size: 512
    .name:           _ZN7rocprim17ROCPRIM_400000_NS6detail17trampoline_kernelINS0_14default_configENS1_35adjacent_difference_config_selectorILb0EfEEZNS1_24adjacent_difference_implIS3_Lb0ELb0EPfS7_N6thrust23THRUST_200600_302600_NS5minusIfEEEE10hipError_tPvRmT2_T3_mT4_P12ihipStream_tbEUlT_E_NS1_11comp_targetILNS1_3genE4ELNS1_11target_archE910ELNS1_3gpuE8ELNS1_3repE0EEENS1_30default_config_static_selectorELNS0_4arch9wavefront6targetE1EEEvT1_
    .private_segment_fixed_size: 0
    .sgpr_count:     27
    .sgpr_spill_count: 0
    .symbol:         _ZN7rocprim17ROCPRIM_400000_NS6detail17trampoline_kernelINS0_14default_configENS1_35adjacent_difference_config_selectorILb0EfEEZNS1_24adjacent_difference_implIS3_Lb0ELb0EPfS7_N6thrust23THRUST_200600_302600_NS5minusIfEEEE10hipError_tPvRmT2_T3_mT4_P12ihipStream_tbEUlT_E_NS1_11comp_targetILNS1_3genE4ELNS1_11target_archE910ELNS1_3gpuE8ELNS1_3repE0EEENS1_30default_config_static_selectorELNS0_4arch9wavefront6targetE1EEEvT1_.kd
    .uniform_work_group_size: 1
    .uses_dynamic_stack: false
    .vgpr_count:     18
    .vgpr_spill_count: 0
    .wavefront_size: 64
  - .agpr_count:     0
    .args:
      - .offset:         0
        .size:           56
        .value_kind:     by_value
    .group_segment_fixed_size: 0
    .kernarg_segment_align: 8
    .kernarg_segment_size: 56
    .language:       OpenCL C
    .language_version:
      - 2
      - 0
    .max_flat_workgroup_size: 128
    .name:           _ZN7rocprim17ROCPRIM_400000_NS6detail17trampoline_kernelINS0_14default_configENS1_35adjacent_difference_config_selectorILb0EfEEZNS1_24adjacent_difference_implIS3_Lb0ELb0EPfS7_N6thrust23THRUST_200600_302600_NS5minusIfEEEE10hipError_tPvRmT2_T3_mT4_P12ihipStream_tbEUlT_E_NS1_11comp_targetILNS1_3genE3ELNS1_11target_archE908ELNS1_3gpuE7ELNS1_3repE0EEENS1_30default_config_static_selectorELNS0_4arch9wavefront6targetE1EEEvT1_
    .private_segment_fixed_size: 0
    .sgpr_count:     4
    .sgpr_spill_count: 0
    .symbol:         _ZN7rocprim17ROCPRIM_400000_NS6detail17trampoline_kernelINS0_14default_configENS1_35adjacent_difference_config_selectorILb0EfEEZNS1_24adjacent_difference_implIS3_Lb0ELb0EPfS7_N6thrust23THRUST_200600_302600_NS5minusIfEEEE10hipError_tPvRmT2_T3_mT4_P12ihipStream_tbEUlT_E_NS1_11comp_targetILNS1_3genE3ELNS1_11target_archE908ELNS1_3gpuE7ELNS1_3repE0EEENS1_30default_config_static_selectorELNS0_4arch9wavefront6targetE1EEEvT1_.kd
    .uniform_work_group_size: 1
    .uses_dynamic_stack: false
    .vgpr_count:     0
    .vgpr_spill_count: 0
    .wavefront_size: 64
  - .agpr_count:     0
    .args:
      - .offset:         0
        .size:           56
        .value_kind:     by_value
    .group_segment_fixed_size: 0
    .kernarg_segment_align: 8
    .kernarg_segment_size: 56
    .language:       OpenCL C
    .language_version:
      - 2
      - 0
    .max_flat_workgroup_size: 1024
    .name:           _ZN7rocprim17ROCPRIM_400000_NS6detail17trampoline_kernelINS0_14default_configENS1_35adjacent_difference_config_selectorILb0EfEEZNS1_24adjacent_difference_implIS3_Lb0ELb0EPfS7_N6thrust23THRUST_200600_302600_NS5minusIfEEEE10hipError_tPvRmT2_T3_mT4_P12ihipStream_tbEUlT_E_NS1_11comp_targetILNS1_3genE2ELNS1_11target_archE906ELNS1_3gpuE6ELNS1_3repE0EEENS1_30default_config_static_selectorELNS0_4arch9wavefront6targetE1EEEvT1_
    .private_segment_fixed_size: 0
    .sgpr_count:     4
    .sgpr_spill_count: 0
    .symbol:         _ZN7rocprim17ROCPRIM_400000_NS6detail17trampoline_kernelINS0_14default_configENS1_35adjacent_difference_config_selectorILb0EfEEZNS1_24adjacent_difference_implIS3_Lb0ELb0EPfS7_N6thrust23THRUST_200600_302600_NS5minusIfEEEE10hipError_tPvRmT2_T3_mT4_P12ihipStream_tbEUlT_E_NS1_11comp_targetILNS1_3genE2ELNS1_11target_archE906ELNS1_3gpuE6ELNS1_3repE0EEENS1_30default_config_static_selectorELNS0_4arch9wavefront6targetE1EEEvT1_.kd
    .uniform_work_group_size: 1
    .uses_dynamic_stack: false
    .vgpr_count:     0
    .vgpr_spill_count: 0
    .wavefront_size: 64
  - .agpr_count:     0
    .args:
      - .offset:         0
        .size:           56
        .value_kind:     by_value
    .group_segment_fixed_size: 0
    .kernarg_segment_align: 8
    .kernarg_segment_size: 56
    .language:       OpenCL C
    .language_version:
      - 2
      - 0
    .max_flat_workgroup_size: 1024
    .name:           _ZN7rocprim17ROCPRIM_400000_NS6detail17trampoline_kernelINS0_14default_configENS1_35adjacent_difference_config_selectorILb0EfEEZNS1_24adjacent_difference_implIS3_Lb0ELb0EPfS7_N6thrust23THRUST_200600_302600_NS5minusIfEEEE10hipError_tPvRmT2_T3_mT4_P12ihipStream_tbEUlT_E_NS1_11comp_targetILNS1_3genE9ELNS1_11target_archE1100ELNS1_3gpuE3ELNS1_3repE0EEENS1_30default_config_static_selectorELNS0_4arch9wavefront6targetE1EEEvT1_
    .private_segment_fixed_size: 0
    .sgpr_count:     4
    .sgpr_spill_count: 0
    .symbol:         _ZN7rocprim17ROCPRIM_400000_NS6detail17trampoline_kernelINS0_14default_configENS1_35adjacent_difference_config_selectorILb0EfEEZNS1_24adjacent_difference_implIS3_Lb0ELb0EPfS7_N6thrust23THRUST_200600_302600_NS5minusIfEEEE10hipError_tPvRmT2_T3_mT4_P12ihipStream_tbEUlT_E_NS1_11comp_targetILNS1_3genE9ELNS1_11target_archE1100ELNS1_3gpuE3ELNS1_3repE0EEENS1_30default_config_static_selectorELNS0_4arch9wavefront6targetE1EEEvT1_.kd
    .uniform_work_group_size: 1
    .uses_dynamic_stack: false
    .vgpr_count:     0
    .vgpr_spill_count: 0
    .wavefront_size: 64
  - .agpr_count:     0
    .args:
      - .offset:         0
        .size:           56
        .value_kind:     by_value
    .group_segment_fixed_size: 0
    .kernarg_segment_align: 8
    .kernarg_segment_size: 56
    .language:       OpenCL C
    .language_version:
      - 2
      - 0
    .max_flat_workgroup_size: 1024
    .name:           _ZN7rocprim17ROCPRIM_400000_NS6detail17trampoline_kernelINS0_14default_configENS1_35adjacent_difference_config_selectorILb0EfEEZNS1_24adjacent_difference_implIS3_Lb0ELb0EPfS7_N6thrust23THRUST_200600_302600_NS5minusIfEEEE10hipError_tPvRmT2_T3_mT4_P12ihipStream_tbEUlT_E_NS1_11comp_targetILNS1_3genE8ELNS1_11target_archE1030ELNS1_3gpuE2ELNS1_3repE0EEENS1_30default_config_static_selectorELNS0_4arch9wavefront6targetE1EEEvT1_
    .private_segment_fixed_size: 0
    .sgpr_count:     4
    .sgpr_spill_count: 0
    .symbol:         _ZN7rocprim17ROCPRIM_400000_NS6detail17trampoline_kernelINS0_14default_configENS1_35adjacent_difference_config_selectorILb0EfEEZNS1_24adjacent_difference_implIS3_Lb0ELb0EPfS7_N6thrust23THRUST_200600_302600_NS5minusIfEEEE10hipError_tPvRmT2_T3_mT4_P12ihipStream_tbEUlT_E_NS1_11comp_targetILNS1_3genE8ELNS1_11target_archE1030ELNS1_3gpuE2ELNS1_3repE0EEENS1_30default_config_static_selectorELNS0_4arch9wavefront6targetE1EEEvT1_.kd
    .uniform_work_group_size: 1
    .uses_dynamic_stack: false
    .vgpr_count:     0
    .vgpr_spill_count: 0
    .wavefront_size: 64
  - .agpr_count:     0
    .args:
      - .offset:         0
        .size:           56
        .value_kind:     by_value
    .group_segment_fixed_size: 0
    .kernarg_segment_align: 8
    .kernarg_segment_size: 56
    .language:       OpenCL C
    .language_version:
      - 2
      - 0
    .max_flat_workgroup_size: 128
    .name:           _ZN7rocprim17ROCPRIM_400000_NS6detail17trampoline_kernelINS0_14default_configENS1_25transform_config_selectorIfLb0EEEZNS1_14transform_implILb0ES3_S5_NS0_18transform_iteratorINS0_17counting_iteratorImlEEZNS1_24adjacent_difference_implIS3_Lb1ELb0EPfSB_N6thrust23THRUST_200600_302600_NS5minusIfEEEE10hipError_tPvRmT2_T3_mT4_P12ihipStream_tbEUlmE_fEESB_NS0_8identityIvEEEESG_SJ_SK_mSL_SN_bEUlT_E_NS1_11comp_targetILNS1_3genE0ELNS1_11target_archE4294967295ELNS1_3gpuE0ELNS1_3repE0EEENS1_30default_config_static_selectorELNS0_4arch9wavefront6targetE1EEEvT1_
    .private_segment_fixed_size: 0
    .sgpr_count:     4
    .sgpr_spill_count: 0
    .symbol:         _ZN7rocprim17ROCPRIM_400000_NS6detail17trampoline_kernelINS0_14default_configENS1_25transform_config_selectorIfLb0EEEZNS1_14transform_implILb0ES3_S5_NS0_18transform_iteratorINS0_17counting_iteratorImlEEZNS1_24adjacent_difference_implIS3_Lb1ELb0EPfSB_N6thrust23THRUST_200600_302600_NS5minusIfEEEE10hipError_tPvRmT2_T3_mT4_P12ihipStream_tbEUlmE_fEESB_NS0_8identityIvEEEESG_SJ_SK_mSL_SN_bEUlT_E_NS1_11comp_targetILNS1_3genE0ELNS1_11target_archE4294967295ELNS1_3gpuE0ELNS1_3repE0EEENS1_30default_config_static_selectorELNS0_4arch9wavefront6targetE1EEEvT1_.kd
    .uniform_work_group_size: 1
    .uses_dynamic_stack: false
    .vgpr_count:     0
    .vgpr_spill_count: 0
    .wavefront_size: 64
  - .agpr_count:     0
    .args:
      - .offset:         0
        .size:           56
        .value_kind:     by_value
    .group_segment_fixed_size: 0
    .kernarg_segment_align: 8
    .kernarg_segment_size: 56
    .language:       OpenCL C
    .language_version:
      - 2
      - 0
    .max_flat_workgroup_size: 256
    .name:           _ZN7rocprim17ROCPRIM_400000_NS6detail17trampoline_kernelINS0_14default_configENS1_25transform_config_selectorIfLb0EEEZNS1_14transform_implILb0ES3_S5_NS0_18transform_iteratorINS0_17counting_iteratorImlEEZNS1_24adjacent_difference_implIS3_Lb1ELb0EPfSB_N6thrust23THRUST_200600_302600_NS5minusIfEEEE10hipError_tPvRmT2_T3_mT4_P12ihipStream_tbEUlmE_fEESB_NS0_8identityIvEEEESG_SJ_SK_mSL_SN_bEUlT_E_NS1_11comp_targetILNS1_3genE5ELNS1_11target_archE942ELNS1_3gpuE9ELNS1_3repE0EEENS1_30default_config_static_selectorELNS0_4arch9wavefront6targetE1EEEvT1_
    .private_segment_fixed_size: 0
    .sgpr_count:     4
    .sgpr_spill_count: 0
    .symbol:         _ZN7rocprim17ROCPRIM_400000_NS6detail17trampoline_kernelINS0_14default_configENS1_25transform_config_selectorIfLb0EEEZNS1_14transform_implILb0ES3_S5_NS0_18transform_iteratorINS0_17counting_iteratorImlEEZNS1_24adjacent_difference_implIS3_Lb1ELb0EPfSB_N6thrust23THRUST_200600_302600_NS5minusIfEEEE10hipError_tPvRmT2_T3_mT4_P12ihipStream_tbEUlmE_fEESB_NS0_8identityIvEEEESG_SJ_SK_mSL_SN_bEUlT_E_NS1_11comp_targetILNS1_3genE5ELNS1_11target_archE942ELNS1_3gpuE9ELNS1_3repE0EEENS1_30default_config_static_selectorELNS0_4arch9wavefront6targetE1EEEvT1_.kd
    .uniform_work_group_size: 1
    .uses_dynamic_stack: false
    .vgpr_count:     0
    .vgpr_spill_count: 0
    .wavefront_size: 64
  - .agpr_count:     0
    .args:
      - .offset:         0
        .size:           56
        .value_kind:     by_value
      - .offset:         56
        .size:           4
        .value_kind:     hidden_block_count_x
      - .offset:         60
        .size:           4
        .value_kind:     hidden_block_count_y
      - .offset:         64
        .size:           4
        .value_kind:     hidden_block_count_z
      - .offset:         68
        .size:           2
        .value_kind:     hidden_group_size_x
      - .offset:         70
        .size:           2
        .value_kind:     hidden_group_size_y
      - .offset:         72
        .size:           2
        .value_kind:     hidden_group_size_z
      - .offset:         74
        .size:           2
        .value_kind:     hidden_remainder_x
      - .offset:         76
        .size:           2
        .value_kind:     hidden_remainder_y
      - .offset:         78
        .size:           2
        .value_kind:     hidden_remainder_z
      - .offset:         96
        .size:           8
        .value_kind:     hidden_global_offset_x
      - .offset:         104
        .size:           8
        .value_kind:     hidden_global_offset_y
      - .offset:         112
        .size:           8
        .value_kind:     hidden_global_offset_z
      - .offset:         120
        .size:           2
        .value_kind:     hidden_grid_dims
    .group_segment_fixed_size: 0
    .kernarg_segment_align: 8
    .kernarg_segment_size: 312
    .language:       OpenCL C
    .language_version:
      - 2
      - 0
    .max_flat_workgroup_size: 1024
    .name:           _ZN7rocprim17ROCPRIM_400000_NS6detail17trampoline_kernelINS0_14default_configENS1_25transform_config_selectorIfLb0EEEZNS1_14transform_implILb0ES3_S5_NS0_18transform_iteratorINS0_17counting_iteratorImlEEZNS1_24adjacent_difference_implIS3_Lb1ELb0EPfSB_N6thrust23THRUST_200600_302600_NS5minusIfEEEE10hipError_tPvRmT2_T3_mT4_P12ihipStream_tbEUlmE_fEESB_NS0_8identityIvEEEESG_SJ_SK_mSL_SN_bEUlT_E_NS1_11comp_targetILNS1_3genE4ELNS1_11target_archE910ELNS1_3gpuE8ELNS1_3repE0EEENS1_30default_config_static_selectorELNS0_4arch9wavefront6targetE1EEEvT1_
    .private_segment_fixed_size: 0
    .sgpr_count:     22
    .sgpr_spill_count: 0
    .symbol:         _ZN7rocprim17ROCPRIM_400000_NS6detail17trampoline_kernelINS0_14default_configENS1_25transform_config_selectorIfLb0EEEZNS1_14transform_implILb0ES3_S5_NS0_18transform_iteratorINS0_17counting_iteratorImlEEZNS1_24adjacent_difference_implIS3_Lb1ELb0EPfSB_N6thrust23THRUST_200600_302600_NS5minusIfEEEE10hipError_tPvRmT2_T3_mT4_P12ihipStream_tbEUlmE_fEESB_NS0_8identityIvEEEESG_SJ_SK_mSL_SN_bEUlT_E_NS1_11comp_targetILNS1_3genE4ELNS1_11target_archE910ELNS1_3gpuE8ELNS1_3repE0EEENS1_30default_config_static_selectorELNS0_4arch9wavefront6targetE1EEEvT1_.kd
    .uniform_work_group_size: 1
    .uses_dynamic_stack: false
    .vgpr_count:     8
    .vgpr_spill_count: 0
    .wavefront_size: 64
  - .agpr_count:     0
    .args:
      - .offset:         0
        .size:           56
        .value_kind:     by_value
    .group_segment_fixed_size: 0
    .kernarg_segment_align: 8
    .kernarg_segment_size: 56
    .language:       OpenCL C
    .language_version:
      - 2
      - 0
    .max_flat_workgroup_size: 128
    .name:           _ZN7rocprim17ROCPRIM_400000_NS6detail17trampoline_kernelINS0_14default_configENS1_25transform_config_selectorIfLb0EEEZNS1_14transform_implILb0ES3_S5_NS0_18transform_iteratorINS0_17counting_iteratorImlEEZNS1_24adjacent_difference_implIS3_Lb1ELb0EPfSB_N6thrust23THRUST_200600_302600_NS5minusIfEEEE10hipError_tPvRmT2_T3_mT4_P12ihipStream_tbEUlmE_fEESB_NS0_8identityIvEEEESG_SJ_SK_mSL_SN_bEUlT_E_NS1_11comp_targetILNS1_3genE3ELNS1_11target_archE908ELNS1_3gpuE7ELNS1_3repE0EEENS1_30default_config_static_selectorELNS0_4arch9wavefront6targetE1EEEvT1_
    .private_segment_fixed_size: 0
    .sgpr_count:     4
    .sgpr_spill_count: 0
    .symbol:         _ZN7rocprim17ROCPRIM_400000_NS6detail17trampoline_kernelINS0_14default_configENS1_25transform_config_selectorIfLb0EEEZNS1_14transform_implILb0ES3_S5_NS0_18transform_iteratorINS0_17counting_iteratorImlEEZNS1_24adjacent_difference_implIS3_Lb1ELb0EPfSB_N6thrust23THRUST_200600_302600_NS5minusIfEEEE10hipError_tPvRmT2_T3_mT4_P12ihipStream_tbEUlmE_fEESB_NS0_8identityIvEEEESG_SJ_SK_mSL_SN_bEUlT_E_NS1_11comp_targetILNS1_3genE3ELNS1_11target_archE908ELNS1_3gpuE7ELNS1_3repE0EEENS1_30default_config_static_selectorELNS0_4arch9wavefront6targetE1EEEvT1_.kd
    .uniform_work_group_size: 1
    .uses_dynamic_stack: false
    .vgpr_count:     0
    .vgpr_spill_count: 0
    .wavefront_size: 64
  - .agpr_count:     0
    .args:
      - .offset:         0
        .size:           56
        .value_kind:     by_value
    .group_segment_fixed_size: 0
    .kernarg_segment_align: 8
    .kernarg_segment_size: 56
    .language:       OpenCL C
    .language_version:
      - 2
      - 0
    .max_flat_workgroup_size: 1024
    .name:           _ZN7rocprim17ROCPRIM_400000_NS6detail17trampoline_kernelINS0_14default_configENS1_25transform_config_selectorIfLb0EEEZNS1_14transform_implILb0ES3_S5_NS0_18transform_iteratorINS0_17counting_iteratorImlEEZNS1_24adjacent_difference_implIS3_Lb1ELb0EPfSB_N6thrust23THRUST_200600_302600_NS5minusIfEEEE10hipError_tPvRmT2_T3_mT4_P12ihipStream_tbEUlmE_fEESB_NS0_8identityIvEEEESG_SJ_SK_mSL_SN_bEUlT_E_NS1_11comp_targetILNS1_3genE2ELNS1_11target_archE906ELNS1_3gpuE6ELNS1_3repE0EEENS1_30default_config_static_selectorELNS0_4arch9wavefront6targetE1EEEvT1_
    .private_segment_fixed_size: 0
    .sgpr_count:     4
    .sgpr_spill_count: 0
    .symbol:         _ZN7rocprim17ROCPRIM_400000_NS6detail17trampoline_kernelINS0_14default_configENS1_25transform_config_selectorIfLb0EEEZNS1_14transform_implILb0ES3_S5_NS0_18transform_iteratorINS0_17counting_iteratorImlEEZNS1_24adjacent_difference_implIS3_Lb1ELb0EPfSB_N6thrust23THRUST_200600_302600_NS5minusIfEEEE10hipError_tPvRmT2_T3_mT4_P12ihipStream_tbEUlmE_fEESB_NS0_8identityIvEEEESG_SJ_SK_mSL_SN_bEUlT_E_NS1_11comp_targetILNS1_3genE2ELNS1_11target_archE906ELNS1_3gpuE6ELNS1_3repE0EEENS1_30default_config_static_selectorELNS0_4arch9wavefront6targetE1EEEvT1_.kd
    .uniform_work_group_size: 1
    .uses_dynamic_stack: false
    .vgpr_count:     0
    .vgpr_spill_count: 0
    .wavefront_size: 64
  - .agpr_count:     0
    .args:
      - .offset:         0
        .size:           56
        .value_kind:     by_value
    .group_segment_fixed_size: 0
    .kernarg_segment_align: 8
    .kernarg_segment_size: 56
    .language:       OpenCL C
    .language_version:
      - 2
      - 0
    .max_flat_workgroup_size: 512
    .name:           _ZN7rocprim17ROCPRIM_400000_NS6detail17trampoline_kernelINS0_14default_configENS1_25transform_config_selectorIfLb0EEEZNS1_14transform_implILb0ES3_S5_NS0_18transform_iteratorINS0_17counting_iteratorImlEEZNS1_24adjacent_difference_implIS3_Lb1ELb0EPfSB_N6thrust23THRUST_200600_302600_NS5minusIfEEEE10hipError_tPvRmT2_T3_mT4_P12ihipStream_tbEUlmE_fEESB_NS0_8identityIvEEEESG_SJ_SK_mSL_SN_bEUlT_E_NS1_11comp_targetILNS1_3genE10ELNS1_11target_archE1201ELNS1_3gpuE5ELNS1_3repE0EEENS1_30default_config_static_selectorELNS0_4arch9wavefront6targetE1EEEvT1_
    .private_segment_fixed_size: 0
    .sgpr_count:     4
    .sgpr_spill_count: 0
    .symbol:         _ZN7rocprim17ROCPRIM_400000_NS6detail17trampoline_kernelINS0_14default_configENS1_25transform_config_selectorIfLb0EEEZNS1_14transform_implILb0ES3_S5_NS0_18transform_iteratorINS0_17counting_iteratorImlEEZNS1_24adjacent_difference_implIS3_Lb1ELb0EPfSB_N6thrust23THRUST_200600_302600_NS5minusIfEEEE10hipError_tPvRmT2_T3_mT4_P12ihipStream_tbEUlmE_fEESB_NS0_8identityIvEEEESG_SJ_SK_mSL_SN_bEUlT_E_NS1_11comp_targetILNS1_3genE10ELNS1_11target_archE1201ELNS1_3gpuE5ELNS1_3repE0EEENS1_30default_config_static_selectorELNS0_4arch9wavefront6targetE1EEEvT1_.kd
    .uniform_work_group_size: 1
    .uses_dynamic_stack: false
    .vgpr_count:     0
    .vgpr_spill_count: 0
    .wavefront_size: 64
  - .agpr_count:     0
    .args:
      - .offset:         0
        .size:           56
        .value_kind:     by_value
    .group_segment_fixed_size: 0
    .kernarg_segment_align: 8
    .kernarg_segment_size: 56
    .language:       OpenCL C
    .language_version:
      - 2
      - 0
    .max_flat_workgroup_size: 512
    .name:           _ZN7rocprim17ROCPRIM_400000_NS6detail17trampoline_kernelINS0_14default_configENS1_25transform_config_selectorIfLb0EEEZNS1_14transform_implILb0ES3_S5_NS0_18transform_iteratorINS0_17counting_iteratorImlEEZNS1_24adjacent_difference_implIS3_Lb1ELb0EPfSB_N6thrust23THRUST_200600_302600_NS5minusIfEEEE10hipError_tPvRmT2_T3_mT4_P12ihipStream_tbEUlmE_fEESB_NS0_8identityIvEEEESG_SJ_SK_mSL_SN_bEUlT_E_NS1_11comp_targetILNS1_3genE10ELNS1_11target_archE1200ELNS1_3gpuE4ELNS1_3repE0EEENS1_30default_config_static_selectorELNS0_4arch9wavefront6targetE1EEEvT1_
    .private_segment_fixed_size: 0
    .sgpr_count:     4
    .sgpr_spill_count: 0
    .symbol:         _ZN7rocprim17ROCPRIM_400000_NS6detail17trampoline_kernelINS0_14default_configENS1_25transform_config_selectorIfLb0EEEZNS1_14transform_implILb0ES3_S5_NS0_18transform_iteratorINS0_17counting_iteratorImlEEZNS1_24adjacent_difference_implIS3_Lb1ELb0EPfSB_N6thrust23THRUST_200600_302600_NS5minusIfEEEE10hipError_tPvRmT2_T3_mT4_P12ihipStream_tbEUlmE_fEESB_NS0_8identityIvEEEESG_SJ_SK_mSL_SN_bEUlT_E_NS1_11comp_targetILNS1_3genE10ELNS1_11target_archE1200ELNS1_3gpuE4ELNS1_3repE0EEENS1_30default_config_static_selectorELNS0_4arch9wavefront6targetE1EEEvT1_.kd
    .uniform_work_group_size: 1
    .uses_dynamic_stack: false
    .vgpr_count:     0
    .vgpr_spill_count: 0
    .wavefront_size: 64
  - .agpr_count:     0
    .args:
      - .offset:         0
        .size:           56
        .value_kind:     by_value
    .group_segment_fixed_size: 0
    .kernarg_segment_align: 8
    .kernarg_segment_size: 56
    .language:       OpenCL C
    .language_version:
      - 2
      - 0
    .max_flat_workgroup_size: 1024
    .name:           _ZN7rocprim17ROCPRIM_400000_NS6detail17trampoline_kernelINS0_14default_configENS1_25transform_config_selectorIfLb0EEEZNS1_14transform_implILb0ES3_S5_NS0_18transform_iteratorINS0_17counting_iteratorImlEEZNS1_24adjacent_difference_implIS3_Lb1ELb0EPfSB_N6thrust23THRUST_200600_302600_NS5minusIfEEEE10hipError_tPvRmT2_T3_mT4_P12ihipStream_tbEUlmE_fEESB_NS0_8identityIvEEEESG_SJ_SK_mSL_SN_bEUlT_E_NS1_11comp_targetILNS1_3genE9ELNS1_11target_archE1100ELNS1_3gpuE3ELNS1_3repE0EEENS1_30default_config_static_selectorELNS0_4arch9wavefront6targetE1EEEvT1_
    .private_segment_fixed_size: 0
    .sgpr_count:     4
    .sgpr_spill_count: 0
    .symbol:         _ZN7rocprim17ROCPRIM_400000_NS6detail17trampoline_kernelINS0_14default_configENS1_25transform_config_selectorIfLb0EEEZNS1_14transform_implILb0ES3_S5_NS0_18transform_iteratorINS0_17counting_iteratorImlEEZNS1_24adjacent_difference_implIS3_Lb1ELb0EPfSB_N6thrust23THRUST_200600_302600_NS5minusIfEEEE10hipError_tPvRmT2_T3_mT4_P12ihipStream_tbEUlmE_fEESB_NS0_8identityIvEEEESG_SJ_SK_mSL_SN_bEUlT_E_NS1_11comp_targetILNS1_3genE9ELNS1_11target_archE1100ELNS1_3gpuE3ELNS1_3repE0EEENS1_30default_config_static_selectorELNS0_4arch9wavefront6targetE1EEEvT1_.kd
    .uniform_work_group_size: 1
    .uses_dynamic_stack: false
    .vgpr_count:     0
    .vgpr_spill_count: 0
    .wavefront_size: 64
  - .agpr_count:     0
    .args:
      - .offset:         0
        .size:           56
        .value_kind:     by_value
    .group_segment_fixed_size: 0
    .kernarg_segment_align: 8
    .kernarg_segment_size: 56
    .language:       OpenCL C
    .language_version:
      - 2
      - 0
    .max_flat_workgroup_size: 256
    .name:           _ZN7rocprim17ROCPRIM_400000_NS6detail17trampoline_kernelINS0_14default_configENS1_25transform_config_selectorIfLb0EEEZNS1_14transform_implILb0ES3_S5_NS0_18transform_iteratorINS0_17counting_iteratorImlEEZNS1_24adjacent_difference_implIS3_Lb1ELb0EPfSB_N6thrust23THRUST_200600_302600_NS5minusIfEEEE10hipError_tPvRmT2_T3_mT4_P12ihipStream_tbEUlmE_fEESB_NS0_8identityIvEEEESG_SJ_SK_mSL_SN_bEUlT_E_NS1_11comp_targetILNS1_3genE8ELNS1_11target_archE1030ELNS1_3gpuE2ELNS1_3repE0EEENS1_30default_config_static_selectorELNS0_4arch9wavefront6targetE1EEEvT1_
    .private_segment_fixed_size: 0
    .sgpr_count:     4
    .sgpr_spill_count: 0
    .symbol:         _ZN7rocprim17ROCPRIM_400000_NS6detail17trampoline_kernelINS0_14default_configENS1_25transform_config_selectorIfLb0EEEZNS1_14transform_implILb0ES3_S5_NS0_18transform_iteratorINS0_17counting_iteratorImlEEZNS1_24adjacent_difference_implIS3_Lb1ELb0EPfSB_N6thrust23THRUST_200600_302600_NS5minusIfEEEE10hipError_tPvRmT2_T3_mT4_P12ihipStream_tbEUlmE_fEESB_NS0_8identityIvEEEESG_SJ_SK_mSL_SN_bEUlT_E_NS1_11comp_targetILNS1_3genE8ELNS1_11target_archE1030ELNS1_3gpuE2ELNS1_3repE0EEENS1_30default_config_static_selectorELNS0_4arch9wavefront6targetE1EEEvT1_.kd
    .uniform_work_group_size: 1
    .uses_dynamic_stack: false
    .vgpr_count:     0
    .vgpr_spill_count: 0
    .wavefront_size: 64
  - .agpr_count:     0
    .args:
      - .offset:         0
        .size:           56
        .value_kind:     by_value
    .group_segment_fixed_size: 0
    .kernarg_segment_align: 8
    .kernarg_segment_size: 56
    .language:       OpenCL C
    .language_version:
      - 2
      - 0
    .max_flat_workgroup_size: 1024
    .name:           _ZN7rocprim17ROCPRIM_400000_NS6detail17trampoline_kernelINS0_14default_configENS1_35adjacent_difference_config_selectorILb1EfEEZNS1_24adjacent_difference_implIS3_Lb1ELb0EPfS7_N6thrust23THRUST_200600_302600_NS5minusIfEEEE10hipError_tPvRmT2_T3_mT4_P12ihipStream_tbEUlT_E_NS1_11comp_targetILNS1_3genE0ELNS1_11target_archE4294967295ELNS1_3gpuE0ELNS1_3repE0EEENS1_30default_config_static_selectorELNS0_4arch9wavefront6targetE1EEEvT1_
    .private_segment_fixed_size: 0
    .sgpr_count:     4
    .sgpr_spill_count: 0
    .symbol:         _ZN7rocprim17ROCPRIM_400000_NS6detail17trampoline_kernelINS0_14default_configENS1_35adjacent_difference_config_selectorILb1EfEEZNS1_24adjacent_difference_implIS3_Lb1ELb0EPfS7_N6thrust23THRUST_200600_302600_NS5minusIfEEEE10hipError_tPvRmT2_T3_mT4_P12ihipStream_tbEUlT_E_NS1_11comp_targetILNS1_3genE0ELNS1_11target_archE4294967295ELNS1_3gpuE0ELNS1_3repE0EEENS1_30default_config_static_selectorELNS0_4arch9wavefront6targetE1EEEvT1_.kd
    .uniform_work_group_size: 1
    .uses_dynamic_stack: false
    .vgpr_count:     0
    .vgpr_spill_count: 0
    .wavefront_size: 64
  - .agpr_count:     0
    .args:
      - .offset:         0
        .size:           56
        .value_kind:     by_value
    .group_segment_fixed_size: 0
    .kernarg_segment_align: 8
    .kernarg_segment_size: 56
    .language:       OpenCL C
    .language_version:
      - 2
      - 0
    .max_flat_workgroup_size: 128
    .name:           _ZN7rocprim17ROCPRIM_400000_NS6detail17trampoline_kernelINS0_14default_configENS1_35adjacent_difference_config_selectorILb1EfEEZNS1_24adjacent_difference_implIS3_Lb1ELb0EPfS7_N6thrust23THRUST_200600_302600_NS5minusIfEEEE10hipError_tPvRmT2_T3_mT4_P12ihipStream_tbEUlT_E_NS1_11comp_targetILNS1_3genE10ELNS1_11target_archE1201ELNS1_3gpuE5ELNS1_3repE0EEENS1_30default_config_static_selectorELNS0_4arch9wavefront6targetE1EEEvT1_
    .private_segment_fixed_size: 0
    .sgpr_count:     4
    .sgpr_spill_count: 0
    .symbol:         _ZN7rocprim17ROCPRIM_400000_NS6detail17trampoline_kernelINS0_14default_configENS1_35adjacent_difference_config_selectorILb1EfEEZNS1_24adjacent_difference_implIS3_Lb1ELb0EPfS7_N6thrust23THRUST_200600_302600_NS5minusIfEEEE10hipError_tPvRmT2_T3_mT4_P12ihipStream_tbEUlT_E_NS1_11comp_targetILNS1_3genE10ELNS1_11target_archE1201ELNS1_3gpuE5ELNS1_3repE0EEENS1_30default_config_static_selectorELNS0_4arch9wavefront6targetE1EEEvT1_.kd
    .uniform_work_group_size: 1
    .uses_dynamic_stack: false
    .vgpr_count:     0
    .vgpr_spill_count: 0
    .wavefront_size: 64
  - .agpr_count:     0
    .args:
      - .offset:         0
        .size:           56
        .value_kind:     by_value
    .group_segment_fixed_size: 0
    .kernarg_segment_align: 8
    .kernarg_segment_size: 56
    .language:       OpenCL C
    .language_version:
      - 2
      - 0
    .max_flat_workgroup_size: 256
    .name:           _ZN7rocprim17ROCPRIM_400000_NS6detail17trampoline_kernelINS0_14default_configENS1_35adjacent_difference_config_selectorILb1EfEEZNS1_24adjacent_difference_implIS3_Lb1ELb0EPfS7_N6thrust23THRUST_200600_302600_NS5minusIfEEEE10hipError_tPvRmT2_T3_mT4_P12ihipStream_tbEUlT_E_NS1_11comp_targetILNS1_3genE5ELNS1_11target_archE942ELNS1_3gpuE9ELNS1_3repE0EEENS1_30default_config_static_selectorELNS0_4arch9wavefront6targetE1EEEvT1_
    .private_segment_fixed_size: 0
    .sgpr_count:     4
    .sgpr_spill_count: 0
    .symbol:         _ZN7rocprim17ROCPRIM_400000_NS6detail17trampoline_kernelINS0_14default_configENS1_35adjacent_difference_config_selectorILb1EfEEZNS1_24adjacent_difference_implIS3_Lb1ELb0EPfS7_N6thrust23THRUST_200600_302600_NS5minusIfEEEE10hipError_tPvRmT2_T3_mT4_P12ihipStream_tbEUlT_E_NS1_11comp_targetILNS1_3genE5ELNS1_11target_archE942ELNS1_3gpuE9ELNS1_3repE0EEENS1_30default_config_static_selectorELNS0_4arch9wavefront6targetE1EEEvT1_.kd
    .uniform_work_group_size: 1
    .uses_dynamic_stack: false
    .vgpr_count:     0
    .vgpr_spill_count: 0
    .wavefront_size: 64
  - .agpr_count:     0
    .args:
      - .offset:         0
        .size:           56
        .value_kind:     by_value
    .group_segment_fixed_size: 10240
    .kernarg_segment_align: 8
    .kernarg_segment_size: 56
    .language:       OpenCL C
    .language_version:
      - 2
      - 0
    .max_flat_workgroup_size: 512
    .name:           _ZN7rocprim17ROCPRIM_400000_NS6detail17trampoline_kernelINS0_14default_configENS1_35adjacent_difference_config_selectorILb1EfEEZNS1_24adjacent_difference_implIS3_Lb1ELb0EPfS7_N6thrust23THRUST_200600_302600_NS5minusIfEEEE10hipError_tPvRmT2_T3_mT4_P12ihipStream_tbEUlT_E_NS1_11comp_targetILNS1_3genE4ELNS1_11target_archE910ELNS1_3gpuE8ELNS1_3repE0EEENS1_30default_config_static_selectorELNS0_4arch9wavefront6targetE1EEEvT1_
    .private_segment_fixed_size: 0
    .sgpr_count:     33
    .sgpr_spill_count: 0
    .symbol:         _ZN7rocprim17ROCPRIM_400000_NS6detail17trampoline_kernelINS0_14default_configENS1_35adjacent_difference_config_selectorILb1EfEEZNS1_24adjacent_difference_implIS3_Lb1ELb0EPfS7_N6thrust23THRUST_200600_302600_NS5minusIfEEEE10hipError_tPvRmT2_T3_mT4_P12ihipStream_tbEUlT_E_NS1_11comp_targetILNS1_3genE4ELNS1_11target_archE910ELNS1_3gpuE8ELNS1_3repE0EEENS1_30default_config_static_selectorELNS0_4arch9wavefront6targetE1EEEvT1_.kd
    .uniform_work_group_size: 1
    .uses_dynamic_stack: false
    .vgpr_count:     18
    .vgpr_spill_count: 0
    .wavefront_size: 64
  - .agpr_count:     0
    .args:
      - .offset:         0
        .size:           56
        .value_kind:     by_value
    .group_segment_fixed_size: 0
    .kernarg_segment_align: 8
    .kernarg_segment_size: 56
    .language:       OpenCL C
    .language_version:
      - 2
      - 0
    .max_flat_workgroup_size: 1024
    .name:           _ZN7rocprim17ROCPRIM_400000_NS6detail17trampoline_kernelINS0_14default_configENS1_35adjacent_difference_config_selectorILb1EfEEZNS1_24adjacent_difference_implIS3_Lb1ELb0EPfS7_N6thrust23THRUST_200600_302600_NS5minusIfEEEE10hipError_tPvRmT2_T3_mT4_P12ihipStream_tbEUlT_E_NS1_11comp_targetILNS1_3genE3ELNS1_11target_archE908ELNS1_3gpuE7ELNS1_3repE0EEENS1_30default_config_static_selectorELNS0_4arch9wavefront6targetE1EEEvT1_
    .private_segment_fixed_size: 0
    .sgpr_count:     4
    .sgpr_spill_count: 0
    .symbol:         _ZN7rocprim17ROCPRIM_400000_NS6detail17trampoline_kernelINS0_14default_configENS1_35adjacent_difference_config_selectorILb1EfEEZNS1_24adjacent_difference_implIS3_Lb1ELb0EPfS7_N6thrust23THRUST_200600_302600_NS5minusIfEEEE10hipError_tPvRmT2_T3_mT4_P12ihipStream_tbEUlT_E_NS1_11comp_targetILNS1_3genE3ELNS1_11target_archE908ELNS1_3gpuE7ELNS1_3repE0EEENS1_30default_config_static_selectorELNS0_4arch9wavefront6targetE1EEEvT1_.kd
    .uniform_work_group_size: 1
    .uses_dynamic_stack: false
    .vgpr_count:     0
    .vgpr_spill_count: 0
    .wavefront_size: 64
  - .agpr_count:     0
    .args:
      - .offset:         0
        .size:           56
        .value_kind:     by_value
    .group_segment_fixed_size: 0
    .kernarg_segment_align: 8
    .kernarg_segment_size: 56
    .language:       OpenCL C
    .language_version:
      - 2
      - 0
    .max_flat_workgroup_size: 256
    .name:           _ZN7rocprim17ROCPRIM_400000_NS6detail17trampoline_kernelINS0_14default_configENS1_35adjacent_difference_config_selectorILb1EfEEZNS1_24adjacent_difference_implIS3_Lb1ELb0EPfS7_N6thrust23THRUST_200600_302600_NS5minusIfEEEE10hipError_tPvRmT2_T3_mT4_P12ihipStream_tbEUlT_E_NS1_11comp_targetILNS1_3genE2ELNS1_11target_archE906ELNS1_3gpuE6ELNS1_3repE0EEENS1_30default_config_static_selectorELNS0_4arch9wavefront6targetE1EEEvT1_
    .private_segment_fixed_size: 0
    .sgpr_count:     4
    .sgpr_spill_count: 0
    .symbol:         _ZN7rocprim17ROCPRIM_400000_NS6detail17trampoline_kernelINS0_14default_configENS1_35adjacent_difference_config_selectorILb1EfEEZNS1_24adjacent_difference_implIS3_Lb1ELb0EPfS7_N6thrust23THRUST_200600_302600_NS5minusIfEEEE10hipError_tPvRmT2_T3_mT4_P12ihipStream_tbEUlT_E_NS1_11comp_targetILNS1_3genE2ELNS1_11target_archE906ELNS1_3gpuE6ELNS1_3repE0EEENS1_30default_config_static_selectorELNS0_4arch9wavefront6targetE1EEEvT1_.kd
    .uniform_work_group_size: 1
    .uses_dynamic_stack: false
    .vgpr_count:     0
    .vgpr_spill_count: 0
    .wavefront_size: 64
  - .agpr_count:     0
    .args:
      - .offset:         0
        .size:           56
        .value_kind:     by_value
    .group_segment_fixed_size: 0
    .kernarg_segment_align: 8
    .kernarg_segment_size: 56
    .language:       OpenCL C
    .language_version:
      - 2
      - 0
    .max_flat_workgroup_size: 128
    .name:           _ZN7rocprim17ROCPRIM_400000_NS6detail17trampoline_kernelINS0_14default_configENS1_35adjacent_difference_config_selectorILb1EfEEZNS1_24adjacent_difference_implIS3_Lb1ELb0EPfS7_N6thrust23THRUST_200600_302600_NS5minusIfEEEE10hipError_tPvRmT2_T3_mT4_P12ihipStream_tbEUlT_E_NS1_11comp_targetILNS1_3genE9ELNS1_11target_archE1100ELNS1_3gpuE3ELNS1_3repE0EEENS1_30default_config_static_selectorELNS0_4arch9wavefront6targetE1EEEvT1_
    .private_segment_fixed_size: 0
    .sgpr_count:     4
    .sgpr_spill_count: 0
    .symbol:         _ZN7rocprim17ROCPRIM_400000_NS6detail17trampoline_kernelINS0_14default_configENS1_35adjacent_difference_config_selectorILb1EfEEZNS1_24adjacent_difference_implIS3_Lb1ELb0EPfS7_N6thrust23THRUST_200600_302600_NS5minusIfEEEE10hipError_tPvRmT2_T3_mT4_P12ihipStream_tbEUlT_E_NS1_11comp_targetILNS1_3genE9ELNS1_11target_archE1100ELNS1_3gpuE3ELNS1_3repE0EEENS1_30default_config_static_selectorELNS0_4arch9wavefront6targetE1EEEvT1_.kd
    .uniform_work_group_size: 1
    .uses_dynamic_stack: false
    .vgpr_count:     0
    .vgpr_spill_count: 0
    .wavefront_size: 64
  - .agpr_count:     0
    .args:
      - .offset:         0
        .size:           56
        .value_kind:     by_value
    .group_segment_fixed_size: 0
    .kernarg_segment_align: 8
    .kernarg_segment_size: 56
    .language:       OpenCL C
    .language_version:
      - 2
      - 0
    .max_flat_workgroup_size: 32
    .name:           _ZN7rocprim17ROCPRIM_400000_NS6detail17trampoline_kernelINS0_14default_configENS1_35adjacent_difference_config_selectorILb1EfEEZNS1_24adjacent_difference_implIS3_Lb1ELb0EPfS7_N6thrust23THRUST_200600_302600_NS5minusIfEEEE10hipError_tPvRmT2_T3_mT4_P12ihipStream_tbEUlT_E_NS1_11comp_targetILNS1_3genE8ELNS1_11target_archE1030ELNS1_3gpuE2ELNS1_3repE0EEENS1_30default_config_static_selectorELNS0_4arch9wavefront6targetE1EEEvT1_
    .private_segment_fixed_size: 0
    .sgpr_count:     4
    .sgpr_spill_count: 0
    .symbol:         _ZN7rocprim17ROCPRIM_400000_NS6detail17trampoline_kernelINS0_14default_configENS1_35adjacent_difference_config_selectorILb1EfEEZNS1_24adjacent_difference_implIS3_Lb1ELb0EPfS7_N6thrust23THRUST_200600_302600_NS5minusIfEEEE10hipError_tPvRmT2_T3_mT4_P12ihipStream_tbEUlT_E_NS1_11comp_targetILNS1_3genE8ELNS1_11target_archE1030ELNS1_3gpuE2ELNS1_3repE0EEENS1_30default_config_static_selectorELNS0_4arch9wavefront6targetE1EEEvT1_.kd
    .uniform_work_group_size: 1
    .uses_dynamic_stack: false
    .vgpr_count:     0
    .vgpr_spill_count: 0
    .wavefront_size: 64
  - .agpr_count:     0
    .args:
      - .offset:         0
        .size:           56
        .value_kind:     by_value
    .group_segment_fixed_size: 0
    .kernarg_segment_align: 8
    .kernarg_segment_size: 56
    .language:       OpenCL C
    .language_version:
      - 2
      - 0
    .max_flat_workgroup_size: 128
    .name:           _ZN7rocprim17ROCPRIM_400000_NS6detail17trampoline_kernelINS0_14default_configENS1_35adjacent_difference_config_selectorILb0EfEEZNS1_24adjacent_difference_implIS3_Lb0ELb0EPfS7_N6thrust23THRUST_200600_302600_NS4plusIfEEEE10hipError_tPvRmT2_T3_mT4_P12ihipStream_tbEUlT_E_NS1_11comp_targetILNS1_3genE0ELNS1_11target_archE4294967295ELNS1_3gpuE0ELNS1_3repE0EEENS1_30default_config_static_selectorELNS0_4arch9wavefront6targetE1EEEvT1_
    .private_segment_fixed_size: 0
    .sgpr_count:     4
    .sgpr_spill_count: 0
    .symbol:         _ZN7rocprim17ROCPRIM_400000_NS6detail17trampoline_kernelINS0_14default_configENS1_35adjacent_difference_config_selectorILb0EfEEZNS1_24adjacent_difference_implIS3_Lb0ELb0EPfS7_N6thrust23THRUST_200600_302600_NS4plusIfEEEE10hipError_tPvRmT2_T3_mT4_P12ihipStream_tbEUlT_E_NS1_11comp_targetILNS1_3genE0ELNS1_11target_archE4294967295ELNS1_3gpuE0ELNS1_3repE0EEENS1_30default_config_static_selectorELNS0_4arch9wavefront6targetE1EEEvT1_.kd
    .uniform_work_group_size: 1
    .uses_dynamic_stack: false
    .vgpr_count:     0
    .vgpr_spill_count: 0
    .wavefront_size: 64
  - .agpr_count:     0
    .args:
      - .offset:         0
        .size:           56
        .value_kind:     by_value
    .group_segment_fixed_size: 0
    .kernarg_segment_align: 8
    .kernarg_segment_size: 56
    .language:       OpenCL C
    .language_version:
      - 2
      - 0
    .max_flat_workgroup_size: 1024
    .name:           _ZN7rocprim17ROCPRIM_400000_NS6detail17trampoline_kernelINS0_14default_configENS1_35adjacent_difference_config_selectorILb0EfEEZNS1_24adjacent_difference_implIS3_Lb0ELb0EPfS7_N6thrust23THRUST_200600_302600_NS4plusIfEEEE10hipError_tPvRmT2_T3_mT4_P12ihipStream_tbEUlT_E_NS1_11comp_targetILNS1_3genE10ELNS1_11target_archE1201ELNS1_3gpuE5ELNS1_3repE0EEENS1_30default_config_static_selectorELNS0_4arch9wavefront6targetE1EEEvT1_
    .private_segment_fixed_size: 0
    .sgpr_count:     4
    .sgpr_spill_count: 0
    .symbol:         _ZN7rocprim17ROCPRIM_400000_NS6detail17trampoline_kernelINS0_14default_configENS1_35adjacent_difference_config_selectorILb0EfEEZNS1_24adjacent_difference_implIS3_Lb0ELb0EPfS7_N6thrust23THRUST_200600_302600_NS4plusIfEEEE10hipError_tPvRmT2_T3_mT4_P12ihipStream_tbEUlT_E_NS1_11comp_targetILNS1_3genE10ELNS1_11target_archE1201ELNS1_3gpuE5ELNS1_3repE0EEENS1_30default_config_static_selectorELNS0_4arch9wavefront6targetE1EEEvT1_.kd
    .uniform_work_group_size: 1
    .uses_dynamic_stack: false
    .vgpr_count:     0
    .vgpr_spill_count: 0
    .wavefront_size: 64
  - .agpr_count:     0
    .args:
      - .offset:         0
        .size:           56
        .value_kind:     by_value
    .group_segment_fixed_size: 0
    .kernarg_segment_align: 8
    .kernarg_segment_size: 56
    .language:       OpenCL C
    .language_version:
      - 2
      - 0
    .max_flat_workgroup_size: 64
    .name:           _ZN7rocprim17ROCPRIM_400000_NS6detail17trampoline_kernelINS0_14default_configENS1_35adjacent_difference_config_selectorILb0EfEEZNS1_24adjacent_difference_implIS3_Lb0ELb0EPfS7_N6thrust23THRUST_200600_302600_NS4plusIfEEEE10hipError_tPvRmT2_T3_mT4_P12ihipStream_tbEUlT_E_NS1_11comp_targetILNS1_3genE5ELNS1_11target_archE942ELNS1_3gpuE9ELNS1_3repE0EEENS1_30default_config_static_selectorELNS0_4arch9wavefront6targetE1EEEvT1_
    .private_segment_fixed_size: 0
    .sgpr_count:     4
    .sgpr_spill_count: 0
    .symbol:         _ZN7rocprim17ROCPRIM_400000_NS6detail17trampoline_kernelINS0_14default_configENS1_35adjacent_difference_config_selectorILb0EfEEZNS1_24adjacent_difference_implIS3_Lb0ELb0EPfS7_N6thrust23THRUST_200600_302600_NS4plusIfEEEE10hipError_tPvRmT2_T3_mT4_P12ihipStream_tbEUlT_E_NS1_11comp_targetILNS1_3genE5ELNS1_11target_archE942ELNS1_3gpuE9ELNS1_3repE0EEENS1_30default_config_static_selectorELNS0_4arch9wavefront6targetE1EEEvT1_.kd
    .uniform_work_group_size: 1
    .uses_dynamic_stack: false
    .vgpr_count:     0
    .vgpr_spill_count: 0
    .wavefront_size: 64
  - .agpr_count:     0
    .args:
      - .offset:         0
        .size:           56
        .value_kind:     by_value
    .group_segment_fixed_size: 10240
    .kernarg_segment_align: 8
    .kernarg_segment_size: 56
    .language:       OpenCL C
    .language_version:
      - 2
      - 0
    .max_flat_workgroup_size: 512
    .name:           _ZN7rocprim17ROCPRIM_400000_NS6detail17trampoline_kernelINS0_14default_configENS1_35adjacent_difference_config_selectorILb0EfEEZNS1_24adjacent_difference_implIS3_Lb0ELb0EPfS7_N6thrust23THRUST_200600_302600_NS4plusIfEEEE10hipError_tPvRmT2_T3_mT4_P12ihipStream_tbEUlT_E_NS1_11comp_targetILNS1_3genE4ELNS1_11target_archE910ELNS1_3gpuE8ELNS1_3repE0EEENS1_30default_config_static_selectorELNS0_4arch9wavefront6targetE1EEEvT1_
    .private_segment_fixed_size: 0
    .sgpr_count:     27
    .sgpr_spill_count: 0
    .symbol:         _ZN7rocprim17ROCPRIM_400000_NS6detail17trampoline_kernelINS0_14default_configENS1_35adjacent_difference_config_selectorILb0EfEEZNS1_24adjacent_difference_implIS3_Lb0ELb0EPfS7_N6thrust23THRUST_200600_302600_NS4plusIfEEEE10hipError_tPvRmT2_T3_mT4_P12ihipStream_tbEUlT_E_NS1_11comp_targetILNS1_3genE4ELNS1_11target_archE910ELNS1_3gpuE8ELNS1_3repE0EEENS1_30default_config_static_selectorELNS0_4arch9wavefront6targetE1EEEvT1_.kd
    .uniform_work_group_size: 1
    .uses_dynamic_stack: false
    .vgpr_count:     18
    .vgpr_spill_count: 0
    .wavefront_size: 64
  - .agpr_count:     0
    .args:
      - .offset:         0
        .size:           56
        .value_kind:     by_value
    .group_segment_fixed_size: 0
    .kernarg_segment_align: 8
    .kernarg_segment_size: 56
    .language:       OpenCL C
    .language_version:
      - 2
      - 0
    .max_flat_workgroup_size: 128
    .name:           _ZN7rocprim17ROCPRIM_400000_NS6detail17trampoline_kernelINS0_14default_configENS1_35adjacent_difference_config_selectorILb0EfEEZNS1_24adjacent_difference_implIS3_Lb0ELb0EPfS7_N6thrust23THRUST_200600_302600_NS4plusIfEEEE10hipError_tPvRmT2_T3_mT4_P12ihipStream_tbEUlT_E_NS1_11comp_targetILNS1_3genE3ELNS1_11target_archE908ELNS1_3gpuE7ELNS1_3repE0EEENS1_30default_config_static_selectorELNS0_4arch9wavefront6targetE1EEEvT1_
    .private_segment_fixed_size: 0
    .sgpr_count:     4
    .sgpr_spill_count: 0
    .symbol:         _ZN7rocprim17ROCPRIM_400000_NS6detail17trampoline_kernelINS0_14default_configENS1_35adjacent_difference_config_selectorILb0EfEEZNS1_24adjacent_difference_implIS3_Lb0ELb0EPfS7_N6thrust23THRUST_200600_302600_NS4plusIfEEEE10hipError_tPvRmT2_T3_mT4_P12ihipStream_tbEUlT_E_NS1_11comp_targetILNS1_3genE3ELNS1_11target_archE908ELNS1_3gpuE7ELNS1_3repE0EEENS1_30default_config_static_selectorELNS0_4arch9wavefront6targetE1EEEvT1_.kd
    .uniform_work_group_size: 1
    .uses_dynamic_stack: false
    .vgpr_count:     0
    .vgpr_spill_count: 0
    .wavefront_size: 64
  - .agpr_count:     0
    .args:
      - .offset:         0
        .size:           56
        .value_kind:     by_value
    .group_segment_fixed_size: 0
    .kernarg_segment_align: 8
    .kernarg_segment_size: 56
    .language:       OpenCL C
    .language_version:
      - 2
      - 0
    .max_flat_workgroup_size: 1024
    .name:           _ZN7rocprim17ROCPRIM_400000_NS6detail17trampoline_kernelINS0_14default_configENS1_35adjacent_difference_config_selectorILb0EfEEZNS1_24adjacent_difference_implIS3_Lb0ELb0EPfS7_N6thrust23THRUST_200600_302600_NS4plusIfEEEE10hipError_tPvRmT2_T3_mT4_P12ihipStream_tbEUlT_E_NS1_11comp_targetILNS1_3genE2ELNS1_11target_archE906ELNS1_3gpuE6ELNS1_3repE0EEENS1_30default_config_static_selectorELNS0_4arch9wavefront6targetE1EEEvT1_
    .private_segment_fixed_size: 0
    .sgpr_count:     4
    .sgpr_spill_count: 0
    .symbol:         _ZN7rocprim17ROCPRIM_400000_NS6detail17trampoline_kernelINS0_14default_configENS1_35adjacent_difference_config_selectorILb0EfEEZNS1_24adjacent_difference_implIS3_Lb0ELb0EPfS7_N6thrust23THRUST_200600_302600_NS4plusIfEEEE10hipError_tPvRmT2_T3_mT4_P12ihipStream_tbEUlT_E_NS1_11comp_targetILNS1_3genE2ELNS1_11target_archE906ELNS1_3gpuE6ELNS1_3repE0EEENS1_30default_config_static_selectorELNS0_4arch9wavefront6targetE1EEEvT1_.kd
    .uniform_work_group_size: 1
    .uses_dynamic_stack: false
    .vgpr_count:     0
    .vgpr_spill_count: 0
    .wavefront_size: 64
  - .agpr_count:     0
    .args:
      - .offset:         0
        .size:           56
        .value_kind:     by_value
    .group_segment_fixed_size: 0
    .kernarg_segment_align: 8
    .kernarg_segment_size: 56
    .language:       OpenCL C
    .language_version:
      - 2
      - 0
    .max_flat_workgroup_size: 1024
    .name:           _ZN7rocprim17ROCPRIM_400000_NS6detail17trampoline_kernelINS0_14default_configENS1_35adjacent_difference_config_selectorILb0EfEEZNS1_24adjacent_difference_implIS3_Lb0ELb0EPfS7_N6thrust23THRUST_200600_302600_NS4plusIfEEEE10hipError_tPvRmT2_T3_mT4_P12ihipStream_tbEUlT_E_NS1_11comp_targetILNS1_3genE9ELNS1_11target_archE1100ELNS1_3gpuE3ELNS1_3repE0EEENS1_30default_config_static_selectorELNS0_4arch9wavefront6targetE1EEEvT1_
    .private_segment_fixed_size: 0
    .sgpr_count:     4
    .sgpr_spill_count: 0
    .symbol:         _ZN7rocprim17ROCPRIM_400000_NS6detail17trampoline_kernelINS0_14default_configENS1_35adjacent_difference_config_selectorILb0EfEEZNS1_24adjacent_difference_implIS3_Lb0ELb0EPfS7_N6thrust23THRUST_200600_302600_NS4plusIfEEEE10hipError_tPvRmT2_T3_mT4_P12ihipStream_tbEUlT_E_NS1_11comp_targetILNS1_3genE9ELNS1_11target_archE1100ELNS1_3gpuE3ELNS1_3repE0EEENS1_30default_config_static_selectorELNS0_4arch9wavefront6targetE1EEEvT1_.kd
    .uniform_work_group_size: 1
    .uses_dynamic_stack: false
    .vgpr_count:     0
    .vgpr_spill_count: 0
    .wavefront_size: 64
  - .agpr_count:     0
    .args:
      - .offset:         0
        .size:           56
        .value_kind:     by_value
    .group_segment_fixed_size: 0
    .kernarg_segment_align: 8
    .kernarg_segment_size: 56
    .language:       OpenCL C
    .language_version:
      - 2
      - 0
    .max_flat_workgroup_size: 1024
    .name:           _ZN7rocprim17ROCPRIM_400000_NS6detail17trampoline_kernelINS0_14default_configENS1_35adjacent_difference_config_selectorILb0EfEEZNS1_24adjacent_difference_implIS3_Lb0ELb0EPfS7_N6thrust23THRUST_200600_302600_NS4plusIfEEEE10hipError_tPvRmT2_T3_mT4_P12ihipStream_tbEUlT_E_NS1_11comp_targetILNS1_3genE8ELNS1_11target_archE1030ELNS1_3gpuE2ELNS1_3repE0EEENS1_30default_config_static_selectorELNS0_4arch9wavefront6targetE1EEEvT1_
    .private_segment_fixed_size: 0
    .sgpr_count:     4
    .sgpr_spill_count: 0
    .symbol:         _ZN7rocprim17ROCPRIM_400000_NS6detail17trampoline_kernelINS0_14default_configENS1_35adjacent_difference_config_selectorILb0EfEEZNS1_24adjacent_difference_implIS3_Lb0ELb0EPfS7_N6thrust23THRUST_200600_302600_NS4plusIfEEEE10hipError_tPvRmT2_T3_mT4_P12ihipStream_tbEUlT_E_NS1_11comp_targetILNS1_3genE8ELNS1_11target_archE1030ELNS1_3gpuE2ELNS1_3repE0EEENS1_30default_config_static_selectorELNS0_4arch9wavefront6targetE1EEEvT1_.kd
    .uniform_work_group_size: 1
    .uses_dynamic_stack: false
    .vgpr_count:     0
    .vgpr_spill_count: 0
    .wavefront_size: 64
  - .agpr_count:     0
    .args:
      - .offset:         0
        .size:           56
        .value_kind:     by_value
    .group_segment_fixed_size: 0
    .kernarg_segment_align: 8
    .kernarg_segment_size: 56
    .language:       OpenCL C
    .language_version:
      - 2
      - 0
    .max_flat_workgroup_size: 128
    .name:           _ZN7rocprim17ROCPRIM_400000_NS6detail17trampoline_kernelINS0_14default_configENS1_25transform_config_selectorIfLb0EEEZNS1_14transform_implILb0ES3_S5_NS0_18transform_iteratorINS0_17counting_iteratorImlEEZNS1_24adjacent_difference_implIS3_Lb1ELb0EPfSB_N6thrust23THRUST_200600_302600_NS4plusIfEEEE10hipError_tPvRmT2_T3_mT4_P12ihipStream_tbEUlmE_fEESB_NS0_8identityIvEEEESG_SJ_SK_mSL_SN_bEUlT_E_NS1_11comp_targetILNS1_3genE0ELNS1_11target_archE4294967295ELNS1_3gpuE0ELNS1_3repE0EEENS1_30default_config_static_selectorELNS0_4arch9wavefront6targetE1EEEvT1_
    .private_segment_fixed_size: 0
    .sgpr_count:     4
    .sgpr_spill_count: 0
    .symbol:         _ZN7rocprim17ROCPRIM_400000_NS6detail17trampoline_kernelINS0_14default_configENS1_25transform_config_selectorIfLb0EEEZNS1_14transform_implILb0ES3_S5_NS0_18transform_iteratorINS0_17counting_iteratorImlEEZNS1_24adjacent_difference_implIS3_Lb1ELb0EPfSB_N6thrust23THRUST_200600_302600_NS4plusIfEEEE10hipError_tPvRmT2_T3_mT4_P12ihipStream_tbEUlmE_fEESB_NS0_8identityIvEEEESG_SJ_SK_mSL_SN_bEUlT_E_NS1_11comp_targetILNS1_3genE0ELNS1_11target_archE4294967295ELNS1_3gpuE0ELNS1_3repE0EEENS1_30default_config_static_selectorELNS0_4arch9wavefront6targetE1EEEvT1_.kd
    .uniform_work_group_size: 1
    .uses_dynamic_stack: false
    .vgpr_count:     0
    .vgpr_spill_count: 0
    .wavefront_size: 64
  - .agpr_count:     0
    .args:
      - .offset:         0
        .size:           56
        .value_kind:     by_value
    .group_segment_fixed_size: 0
    .kernarg_segment_align: 8
    .kernarg_segment_size: 56
    .language:       OpenCL C
    .language_version:
      - 2
      - 0
    .max_flat_workgroup_size: 256
    .name:           _ZN7rocprim17ROCPRIM_400000_NS6detail17trampoline_kernelINS0_14default_configENS1_25transform_config_selectorIfLb0EEEZNS1_14transform_implILb0ES3_S5_NS0_18transform_iteratorINS0_17counting_iteratorImlEEZNS1_24adjacent_difference_implIS3_Lb1ELb0EPfSB_N6thrust23THRUST_200600_302600_NS4plusIfEEEE10hipError_tPvRmT2_T3_mT4_P12ihipStream_tbEUlmE_fEESB_NS0_8identityIvEEEESG_SJ_SK_mSL_SN_bEUlT_E_NS1_11comp_targetILNS1_3genE5ELNS1_11target_archE942ELNS1_3gpuE9ELNS1_3repE0EEENS1_30default_config_static_selectorELNS0_4arch9wavefront6targetE1EEEvT1_
    .private_segment_fixed_size: 0
    .sgpr_count:     4
    .sgpr_spill_count: 0
    .symbol:         _ZN7rocprim17ROCPRIM_400000_NS6detail17trampoline_kernelINS0_14default_configENS1_25transform_config_selectorIfLb0EEEZNS1_14transform_implILb0ES3_S5_NS0_18transform_iteratorINS0_17counting_iteratorImlEEZNS1_24adjacent_difference_implIS3_Lb1ELb0EPfSB_N6thrust23THRUST_200600_302600_NS4plusIfEEEE10hipError_tPvRmT2_T3_mT4_P12ihipStream_tbEUlmE_fEESB_NS0_8identityIvEEEESG_SJ_SK_mSL_SN_bEUlT_E_NS1_11comp_targetILNS1_3genE5ELNS1_11target_archE942ELNS1_3gpuE9ELNS1_3repE0EEENS1_30default_config_static_selectorELNS0_4arch9wavefront6targetE1EEEvT1_.kd
    .uniform_work_group_size: 1
    .uses_dynamic_stack: false
    .vgpr_count:     0
    .vgpr_spill_count: 0
    .wavefront_size: 64
  - .agpr_count:     0
    .args:
      - .offset:         0
        .size:           56
        .value_kind:     by_value
      - .offset:         56
        .size:           4
        .value_kind:     hidden_block_count_x
      - .offset:         60
        .size:           4
        .value_kind:     hidden_block_count_y
      - .offset:         64
        .size:           4
        .value_kind:     hidden_block_count_z
      - .offset:         68
        .size:           2
        .value_kind:     hidden_group_size_x
      - .offset:         70
        .size:           2
        .value_kind:     hidden_group_size_y
      - .offset:         72
        .size:           2
        .value_kind:     hidden_group_size_z
      - .offset:         74
        .size:           2
        .value_kind:     hidden_remainder_x
      - .offset:         76
        .size:           2
        .value_kind:     hidden_remainder_y
      - .offset:         78
        .size:           2
        .value_kind:     hidden_remainder_z
      - .offset:         96
        .size:           8
        .value_kind:     hidden_global_offset_x
      - .offset:         104
        .size:           8
        .value_kind:     hidden_global_offset_y
      - .offset:         112
        .size:           8
        .value_kind:     hidden_global_offset_z
      - .offset:         120
        .size:           2
        .value_kind:     hidden_grid_dims
    .group_segment_fixed_size: 0
    .kernarg_segment_align: 8
    .kernarg_segment_size: 312
    .language:       OpenCL C
    .language_version:
      - 2
      - 0
    .max_flat_workgroup_size: 1024
    .name:           _ZN7rocprim17ROCPRIM_400000_NS6detail17trampoline_kernelINS0_14default_configENS1_25transform_config_selectorIfLb0EEEZNS1_14transform_implILb0ES3_S5_NS0_18transform_iteratorINS0_17counting_iteratorImlEEZNS1_24adjacent_difference_implIS3_Lb1ELb0EPfSB_N6thrust23THRUST_200600_302600_NS4plusIfEEEE10hipError_tPvRmT2_T3_mT4_P12ihipStream_tbEUlmE_fEESB_NS0_8identityIvEEEESG_SJ_SK_mSL_SN_bEUlT_E_NS1_11comp_targetILNS1_3genE4ELNS1_11target_archE910ELNS1_3gpuE8ELNS1_3repE0EEENS1_30default_config_static_selectorELNS0_4arch9wavefront6targetE1EEEvT1_
    .private_segment_fixed_size: 0
    .sgpr_count:     22
    .sgpr_spill_count: 0
    .symbol:         _ZN7rocprim17ROCPRIM_400000_NS6detail17trampoline_kernelINS0_14default_configENS1_25transform_config_selectorIfLb0EEEZNS1_14transform_implILb0ES3_S5_NS0_18transform_iteratorINS0_17counting_iteratorImlEEZNS1_24adjacent_difference_implIS3_Lb1ELb0EPfSB_N6thrust23THRUST_200600_302600_NS4plusIfEEEE10hipError_tPvRmT2_T3_mT4_P12ihipStream_tbEUlmE_fEESB_NS0_8identityIvEEEESG_SJ_SK_mSL_SN_bEUlT_E_NS1_11comp_targetILNS1_3genE4ELNS1_11target_archE910ELNS1_3gpuE8ELNS1_3repE0EEENS1_30default_config_static_selectorELNS0_4arch9wavefront6targetE1EEEvT1_.kd
    .uniform_work_group_size: 1
    .uses_dynamic_stack: false
    .vgpr_count:     8
    .vgpr_spill_count: 0
    .wavefront_size: 64
  - .agpr_count:     0
    .args:
      - .offset:         0
        .size:           56
        .value_kind:     by_value
    .group_segment_fixed_size: 0
    .kernarg_segment_align: 8
    .kernarg_segment_size: 56
    .language:       OpenCL C
    .language_version:
      - 2
      - 0
    .max_flat_workgroup_size: 128
    .name:           _ZN7rocprim17ROCPRIM_400000_NS6detail17trampoline_kernelINS0_14default_configENS1_25transform_config_selectorIfLb0EEEZNS1_14transform_implILb0ES3_S5_NS0_18transform_iteratorINS0_17counting_iteratorImlEEZNS1_24adjacent_difference_implIS3_Lb1ELb0EPfSB_N6thrust23THRUST_200600_302600_NS4plusIfEEEE10hipError_tPvRmT2_T3_mT4_P12ihipStream_tbEUlmE_fEESB_NS0_8identityIvEEEESG_SJ_SK_mSL_SN_bEUlT_E_NS1_11comp_targetILNS1_3genE3ELNS1_11target_archE908ELNS1_3gpuE7ELNS1_3repE0EEENS1_30default_config_static_selectorELNS0_4arch9wavefront6targetE1EEEvT1_
    .private_segment_fixed_size: 0
    .sgpr_count:     4
    .sgpr_spill_count: 0
    .symbol:         _ZN7rocprim17ROCPRIM_400000_NS6detail17trampoline_kernelINS0_14default_configENS1_25transform_config_selectorIfLb0EEEZNS1_14transform_implILb0ES3_S5_NS0_18transform_iteratorINS0_17counting_iteratorImlEEZNS1_24adjacent_difference_implIS3_Lb1ELb0EPfSB_N6thrust23THRUST_200600_302600_NS4plusIfEEEE10hipError_tPvRmT2_T3_mT4_P12ihipStream_tbEUlmE_fEESB_NS0_8identityIvEEEESG_SJ_SK_mSL_SN_bEUlT_E_NS1_11comp_targetILNS1_3genE3ELNS1_11target_archE908ELNS1_3gpuE7ELNS1_3repE0EEENS1_30default_config_static_selectorELNS0_4arch9wavefront6targetE1EEEvT1_.kd
    .uniform_work_group_size: 1
    .uses_dynamic_stack: false
    .vgpr_count:     0
    .vgpr_spill_count: 0
    .wavefront_size: 64
  - .agpr_count:     0
    .args:
      - .offset:         0
        .size:           56
        .value_kind:     by_value
    .group_segment_fixed_size: 0
    .kernarg_segment_align: 8
    .kernarg_segment_size: 56
    .language:       OpenCL C
    .language_version:
      - 2
      - 0
    .max_flat_workgroup_size: 1024
    .name:           _ZN7rocprim17ROCPRIM_400000_NS6detail17trampoline_kernelINS0_14default_configENS1_25transform_config_selectorIfLb0EEEZNS1_14transform_implILb0ES3_S5_NS0_18transform_iteratorINS0_17counting_iteratorImlEEZNS1_24adjacent_difference_implIS3_Lb1ELb0EPfSB_N6thrust23THRUST_200600_302600_NS4plusIfEEEE10hipError_tPvRmT2_T3_mT4_P12ihipStream_tbEUlmE_fEESB_NS0_8identityIvEEEESG_SJ_SK_mSL_SN_bEUlT_E_NS1_11comp_targetILNS1_3genE2ELNS1_11target_archE906ELNS1_3gpuE6ELNS1_3repE0EEENS1_30default_config_static_selectorELNS0_4arch9wavefront6targetE1EEEvT1_
    .private_segment_fixed_size: 0
    .sgpr_count:     4
    .sgpr_spill_count: 0
    .symbol:         _ZN7rocprim17ROCPRIM_400000_NS6detail17trampoline_kernelINS0_14default_configENS1_25transform_config_selectorIfLb0EEEZNS1_14transform_implILb0ES3_S5_NS0_18transform_iteratorINS0_17counting_iteratorImlEEZNS1_24adjacent_difference_implIS3_Lb1ELb0EPfSB_N6thrust23THRUST_200600_302600_NS4plusIfEEEE10hipError_tPvRmT2_T3_mT4_P12ihipStream_tbEUlmE_fEESB_NS0_8identityIvEEEESG_SJ_SK_mSL_SN_bEUlT_E_NS1_11comp_targetILNS1_3genE2ELNS1_11target_archE906ELNS1_3gpuE6ELNS1_3repE0EEENS1_30default_config_static_selectorELNS0_4arch9wavefront6targetE1EEEvT1_.kd
    .uniform_work_group_size: 1
    .uses_dynamic_stack: false
    .vgpr_count:     0
    .vgpr_spill_count: 0
    .wavefront_size: 64
  - .agpr_count:     0
    .args:
      - .offset:         0
        .size:           56
        .value_kind:     by_value
    .group_segment_fixed_size: 0
    .kernarg_segment_align: 8
    .kernarg_segment_size: 56
    .language:       OpenCL C
    .language_version:
      - 2
      - 0
    .max_flat_workgroup_size: 512
    .name:           _ZN7rocprim17ROCPRIM_400000_NS6detail17trampoline_kernelINS0_14default_configENS1_25transform_config_selectorIfLb0EEEZNS1_14transform_implILb0ES3_S5_NS0_18transform_iteratorINS0_17counting_iteratorImlEEZNS1_24adjacent_difference_implIS3_Lb1ELb0EPfSB_N6thrust23THRUST_200600_302600_NS4plusIfEEEE10hipError_tPvRmT2_T3_mT4_P12ihipStream_tbEUlmE_fEESB_NS0_8identityIvEEEESG_SJ_SK_mSL_SN_bEUlT_E_NS1_11comp_targetILNS1_3genE10ELNS1_11target_archE1201ELNS1_3gpuE5ELNS1_3repE0EEENS1_30default_config_static_selectorELNS0_4arch9wavefront6targetE1EEEvT1_
    .private_segment_fixed_size: 0
    .sgpr_count:     4
    .sgpr_spill_count: 0
    .symbol:         _ZN7rocprim17ROCPRIM_400000_NS6detail17trampoline_kernelINS0_14default_configENS1_25transform_config_selectorIfLb0EEEZNS1_14transform_implILb0ES3_S5_NS0_18transform_iteratorINS0_17counting_iteratorImlEEZNS1_24adjacent_difference_implIS3_Lb1ELb0EPfSB_N6thrust23THRUST_200600_302600_NS4plusIfEEEE10hipError_tPvRmT2_T3_mT4_P12ihipStream_tbEUlmE_fEESB_NS0_8identityIvEEEESG_SJ_SK_mSL_SN_bEUlT_E_NS1_11comp_targetILNS1_3genE10ELNS1_11target_archE1201ELNS1_3gpuE5ELNS1_3repE0EEENS1_30default_config_static_selectorELNS0_4arch9wavefront6targetE1EEEvT1_.kd
    .uniform_work_group_size: 1
    .uses_dynamic_stack: false
    .vgpr_count:     0
    .vgpr_spill_count: 0
    .wavefront_size: 64
  - .agpr_count:     0
    .args:
      - .offset:         0
        .size:           56
        .value_kind:     by_value
    .group_segment_fixed_size: 0
    .kernarg_segment_align: 8
    .kernarg_segment_size: 56
    .language:       OpenCL C
    .language_version:
      - 2
      - 0
    .max_flat_workgroup_size: 512
    .name:           _ZN7rocprim17ROCPRIM_400000_NS6detail17trampoline_kernelINS0_14default_configENS1_25transform_config_selectorIfLb0EEEZNS1_14transform_implILb0ES3_S5_NS0_18transform_iteratorINS0_17counting_iteratorImlEEZNS1_24adjacent_difference_implIS3_Lb1ELb0EPfSB_N6thrust23THRUST_200600_302600_NS4plusIfEEEE10hipError_tPvRmT2_T3_mT4_P12ihipStream_tbEUlmE_fEESB_NS0_8identityIvEEEESG_SJ_SK_mSL_SN_bEUlT_E_NS1_11comp_targetILNS1_3genE10ELNS1_11target_archE1200ELNS1_3gpuE4ELNS1_3repE0EEENS1_30default_config_static_selectorELNS0_4arch9wavefront6targetE1EEEvT1_
    .private_segment_fixed_size: 0
    .sgpr_count:     4
    .sgpr_spill_count: 0
    .symbol:         _ZN7rocprim17ROCPRIM_400000_NS6detail17trampoline_kernelINS0_14default_configENS1_25transform_config_selectorIfLb0EEEZNS1_14transform_implILb0ES3_S5_NS0_18transform_iteratorINS0_17counting_iteratorImlEEZNS1_24adjacent_difference_implIS3_Lb1ELb0EPfSB_N6thrust23THRUST_200600_302600_NS4plusIfEEEE10hipError_tPvRmT2_T3_mT4_P12ihipStream_tbEUlmE_fEESB_NS0_8identityIvEEEESG_SJ_SK_mSL_SN_bEUlT_E_NS1_11comp_targetILNS1_3genE10ELNS1_11target_archE1200ELNS1_3gpuE4ELNS1_3repE0EEENS1_30default_config_static_selectorELNS0_4arch9wavefront6targetE1EEEvT1_.kd
    .uniform_work_group_size: 1
    .uses_dynamic_stack: false
    .vgpr_count:     0
    .vgpr_spill_count: 0
    .wavefront_size: 64
  - .agpr_count:     0
    .args:
      - .offset:         0
        .size:           56
        .value_kind:     by_value
    .group_segment_fixed_size: 0
    .kernarg_segment_align: 8
    .kernarg_segment_size: 56
    .language:       OpenCL C
    .language_version:
      - 2
      - 0
    .max_flat_workgroup_size: 1024
    .name:           _ZN7rocprim17ROCPRIM_400000_NS6detail17trampoline_kernelINS0_14default_configENS1_25transform_config_selectorIfLb0EEEZNS1_14transform_implILb0ES3_S5_NS0_18transform_iteratorINS0_17counting_iteratorImlEEZNS1_24adjacent_difference_implIS3_Lb1ELb0EPfSB_N6thrust23THRUST_200600_302600_NS4plusIfEEEE10hipError_tPvRmT2_T3_mT4_P12ihipStream_tbEUlmE_fEESB_NS0_8identityIvEEEESG_SJ_SK_mSL_SN_bEUlT_E_NS1_11comp_targetILNS1_3genE9ELNS1_11target_archE1100ELNS1_3gpuE3ELNS1_3repE0EEENS1_30default_config_static_selectorELNS0_4arch9wavefront6targetE1EEEvT1_
    .private_segment_fixed_size: 0
    .sgpr_count:     4
    .sgpr_spill_count: 0
    .symbol:         _ZN7rocprim17ROCPRIM_400000_NS6detail17trampoline_kernelINS0_14default_configENS1_25transform_config_selectorIfLb0EEEZNS1_14transform_implILb0ES3_S5_NS0_18transform_iteratorINS0_17counting_iteratorImlEEZNS1_24adjacent_difference_implIS3_Lb1ELb0EPfSB_N6thrust23THRUST_200600_302600_NS4plusIfEEEE10hipError_tPvRmT2_T3_mT4_P12ihipStream_tbEUlmE_fEESB_NS0_8identityIvEEEESG_SJ_SK_mSL_SN_bEUlT_E_NS1_11comp_targetILNS1_3genE9ELNS1_11target_archE1100ELNS1_3gpuE3ELNS1_3repE0EEENS1_30default_config_static_selectorELNS0_4arch9wavefront6targetE1EEEvT1_.kd
    .uniform_work_group_size: 1
    .uses_dynamic_stack: false
    .vgpr_count:     0
    .vgpr_spill_count: 0
    .wavefront_size: 64
  - .agpr_count:     0
    .args:
      - .offset:         0
        .size:           56
        .value_kind:     by_value
    .group_segment_fixed_size: 0
    .kernarg_segment_align: 8
    .kernarg_segment_size: 56
    .language:       OpenCL C
    .language_version:
      - 2
      - 0
    .max_flat_workgroup_size: 256
    .name:           _ZN7rocprim17ROCPRIM_400000_NS6detail17trampoline_kernelINS0_14default_configENS1_25transform_config_selectorIfLb0EEEZNS1_14transform_implILb0ES3_S5_NS0_18transform_iteratorINS0_17counting_iteratorImlEEZNS1_24adjacent_difference_implIS3_Lb1ELb0EPfSB_N6thrust23THRUST_200600_302600_NS4plusIfEEEE10hipError_tPvRmT2_T3_mT4_P12ihipStream_tbEUlmE_fEESB_NS0_8identityIvEEEESG_SJ_SK_mSL_SN_bEUlT_E_NS1_11comp_targetILNS1_3genE8ELNS1_11target_archE1030ELNS1_3gpuE2ELNS1_3repE0EEENS1_30default_config_static_selectorELNS0_4arch9wavefront6targetE1EEEvT1_
    .private_segment_fixed_size: 0
    .sgpr_count:     4
    .sgpr_spill_count: 0
    .symbol:         _ZN7rocprim17ROCPRIM_400000_NS6detail17trampoline_kernelINS0_14default_configENS1_25transform_config_selectorIfLb0EEEZNS1_14transform_implILb0ES3_S5_NS0_18transform_iteratorINS0_17counting_iteratorImlEEZNS1_24adjacent_difference_implIS3_Lb1ELb0EPfSB_N6thrust23THRUST_200600_302600_NS4plusIfEEEE10hipError_tPvRmT2_T3_mT4_P12ihipStream_tbEUlmE_fEESB_NS0_8identityIvEEEESG_SJ_SK_mSL_SN_bEUlT_E_NS1_11comp_targetILNS1_3genE8ELNS1_11target_archE1030ELNS1_3gpuE2ELNS1_3repE0EEENS1_30default_config_static_selectorELNS0_4arch9wavefront6targetE1EEEvT1_.kd
    .uniform_work_group_size: 1
    .uses_dynamic_stack: false
    .vgpr_count:     0
    .vgpr_spill_count: 0
    .wavefront_size: 64
  - .agpr_count:     0
    .args:
      - .offset:         0
        .size:           56
        .value_kind:     by_value
    .group_segment_fixed_size: 0
    .kernarg_segment_align: 8
    .kernarg_segment_size: 56
    .language:       OpenCL C
    .language_version:
      - 2
      - 0
    .max_flat_workgroup_size: 1024
    .name:           _ZN7rocprim17ROCPRIM_400000_NS6detail17trampoline_kernelINS0_14default_configENS1_35adjacent_difference_config_selectorILb1EfEEZNS1_24adjacent_difference_implIS3_Lb1ELb0EPfS7_N6thrust23THRUST_200600_302600_NS4plusIfEEEE10hipError_tPvRmT2_T3_mT4_P12ihipStream_tbEUlT_E_NS1_11comp_targetILNS1_3genE0ELNS1_11target_archE4294967295ELNS1_3gpuE0ELNS1_3repE0EEENS1_30default_config_static_selectorELNS0_4arch9wavefront6targetE1EEEvT1_
    .private_segment_fixed_size: 0
    .sgpr_count:     4
    .sgpr_spill_count: 0
    .symbol:         _ZN7rocprim17ROCPRIM_400000_NS6detail17trampoline_kernelINS0_14default_configENS1_35adjacent_difference_config_selectorILb1EfEEZNS1_24adjacent_difference_implIS3_Lb1ELb0EPfS7_N6thrust23THRUST_200600_302600_NS4plusIfEEEE10hipError_tPvRmT2_T3_mT4_P12ihipStream_tbEUlT_E_NS1_11comp_targetILNS1_3genE0ELNS1_11target_archE4294967295ELNS1_3gpuE0ELNS1_3repE0EEENS1_30default_config_static_selectorELNS0_4arch9wavefront6targetE1EEEvT1_.kd
    .uniform_work_group_size: 1
    .uses_dynamic_stack: false
    .vgpr_count:     0
    .vgpr_spill_count: 0
    .wavefront_size: 64
  - .agpr_count:     0
    .args:
      - .offset:         0
        .size:           56
        .value_kind:     by_value
    .group_segment_fixed_size: 0
    .kernarg_segment_align: 8
    .kernarg_segment_size: 56
    .language:       OpenCL C
    .language_version:
      - 2
      - 0
    .max_flat_workgroup_size: 128
    .name:           _ZN7rocprim17ROCPRIM_400000_NS6detail17trampoline_kernelINS0_14default_configENS1_35adjacent_difference_config_selectorILb1EfEEZNS1_24adjacent_difference_implIS3_Lb1ELb0EPfS7_N6thrust23THRUST_200600_302600_NS4plusIfEEEE10hipError_tPvRmT2_T3_mT4_P12ihipStream_tbEUlT_E_NS1_11comp_targetILNS1_3genE10ELNS1_11target_archE1201ELNS1_3gpuE5ELNS1_3repE0EEENS1_30default_config_static_selectorELNS0_4arch9wavefront6targetE1EEEvT1_
    .private_segment_fixed_size: 0
    .sgpr_count:     4
    .sgpr_spill_count: 0
    .symbol:         _ZN7rocprim17ROCPRIM_400000_NS6detail17trampoline_kernelINS0_14default_configENS1_35adjacent_difference_config_selectorILb1EfEEZNS1_24adjacent_difference_implIS3_Lb1ELb0EPfS7_N6thrust23THRUST_200600_302600_NS4plusIfEEEE10hipError_tPvRmT2_T3_mT4_P12ihipStream_tbEUlT_E_NS1_11comp_targetILNS1_3genE10ELNS1_11target_archE1201ELNS1_3gpuE5ELNS1_3repE0EEENS1_30default_config_static_selectorELNS0_4arch9wavefront6targetE1EEEvT1_.kd
    .uniform_work_group_size: 1
    .uses_dynamic_stack: false
    .vgpr_count:     0
    .vgpr_spill_count: 0
    .wavefront_size: 64
  - .agpr_count:     0
    .args:
      - .offset:         0
        .size:           56
        .value_kind:     by_value
    .group_segment_fixed_size: 0
    .kernarg_segment_align: 8
    .kernarg_segment_size: 56
    .language:       OpenCL C
    .language_version:
      - 2
      - 0
    .max_flat_workgroup_size: 256
    .name:           _ZN7rocprim17ROCPRIM_400000_NS6detail17trampoline_kernelINS0_14default_configENS1_35adjacent_difference_config_selectorILb1EfEEZNS1_24adjacent_difference_implIS3_Lb1ELb0EPfS7_N6thrust23THRUST_200600_302600_NS4plusIfEEEE10hipError_tPvRmT2_T3_mT4_P12ihipStream_tbEUlT_E_NS1_11comp_targetILNS1_3genE5ELNS1_11target_archE942ELNS1_3gpuE9ELNS1_3repE0EEENS1_30default_config_static_selectorELNS0_4arch9wavefront6targetE1EEEvT1_
    .private_segment_fixed_size: 0
    .sgpr_count:     4
    .sgpr_spill_count: 0
    .symbol:         _ZN7rocprim17ROCPRIM_400000_NS6detail17trampoline_kernelINS0_14default_configENS1_35adjacent_difference_config_selectorILb1EfEEZNS1_24adjacent_difference_implIS3_Lb1ELb0EPfS7_N6thrust23THRUST_200600_302600_NS4plusIfEEEE10hipError_tPvRmT2_T3_mT4_P12ihipStream_tbEUlT_E_NS1_11comp_targetILNS1_3genE5ELNS1_11target_archE942ELNS1_3gpuE9ELNS1_3repE0EEENS1_30default_config_static_selectorELNS0_4arch9wavefront6targetE1EEEvT1_.kd
    .uniform_work_group_size: 1
    .uses_dynamic_stack: false
    .vgpr_count:     0
    .vgpr_spill_count: 0
    .wavefront_size: 64
  - .agpr_count:     0
    .args:
      - .offset:         0
        .size:           56
        .value_kind:     by_value
    .group_segment_fixed_size: 10240
    .kernarg_segment_align: 8
    .kernarg_segment_size: 56
    .language:       OpenCL C
    .language_version:
      - 2
      - 0
    .max_flat_workgroup_size: 512
    .name:           _ZN7rocprim17ROCPRIM_400000_NS6detail17trampoline_kernelINS0_14default_configENS1_35adjacent_difference_config_selectorILb1EfEEZNS1_24adjacent_difference_implIS3_Lb1ELb0EPfS7_N6thrust23THRUST_200600_302600_NS4plusIfEEEE10hipError_tPvRmT2_T3_mT4_P12ihipStream_tbEUlT_E_NS1_11comp_targetILNS1_3genE4ELNS1_11target_archE910ELNS1_3gpuE8ELNS1_3repE0EEENS1_30default_config_static_selectorELNS0_4arch9wavefront6targetE1EEEvT1_
    .private_segment_fixed_size: 0
    .sgpr_count:     33
    .sgpr_spill_count: 0
    .symbol:         _ZN7rocprim17ROCPRIM_400000_NS6detail17trampoline_kernelINS0_14default_configENS1_35adjacent_difference_config_selectorILb1EfEEZNS1_24adjacent_difference_implIS3_Lb1ELb0EPfS7_N6thrust23THRUST_200600_302600_NS4plusIfEEEE10hipError_tPvRmT2_T3_mT4_P12ihipStream_tbEUlT_E_NS1_11comp_targetILNS1_3genE4ELNS1_11target_archE910ELNS1_3gpuE8ELNS1_3repE0EEENS1_30default_config_static_selectorELNS0_4arch9wavefront6targetE1EEEvT1_.kd
    .uniform_work_group_size: 1
    .uses_dynamic_stack: false
    .vgpr_count:     18
    .vgpr_spill_count: 0
    .wavefront_size: 64
  - .agpr_count:     0
    .args:
      - .offset:         0
        .size:           56
        .value_kind:     by_value
    .group_segment_fixed_size: 0
    .kernarg_segment_align: 8
    .kernarg_segment_size: 56
    .language:       OpenCL C
    .language_version:
      - 2
      - 0
    .max_flat_workgroup_size: 1024
    .name:           _ZN7rocprim17ROCPRIM_400000_NS6detail17trampoline_kernelINS0_14default_configENS1_35adjacent_difference_config_selectorILb1EfEEZNS1_24adjacent_difference_implIS3_Lb1ELb0EPfS7_N6thrust23THRUST_200600_302600_NS4plusIfEEEE10hipError_tPvRmT2_T3_mT4_P12ihipStream_tbEUlT_E_NS1_11comp_targetILNS1_3genE3ELNS1_11target_archE908ELNS1_3gpuE7ELNS1_3repE0EEENS1_30default_config_static_selectorELNS0_4arch9wavefront6targetE1EEEvT1_
    .private_segment_fixed_size: 0
    .sgpr_count:     4
    .sgpr_spill_count: 0
    .symbol:         _ZN7rocprim17ROCPRIM_400000_NS6detail17trampoline_kernelINS0_14default_configENS1_35adjacent_difference_config_selectorILb1EfEEZNS1_24adjacent_difference_implIS3_Lb1ELb0EPfS7_N6thrust23THRUST_200600_302600_NS4plusIfEEEE10hipError_tPvRmT2_T3_mT4_P12ihipStream_tbEUlT_E_NS1_11comp_targetILNS1_3genE3ELNS1_11target_archE908ELNS1_3gpuE7ELNS1_3repE0EEENS1_30default_config_static_selectorELNS0_4arch9wavefront6targetE1EEEvT1_.kd
    .uniform_work_group_size: 1
    .uses_dynamic_stack: false
    .vgpr_count:     0
    .vgpr_spill_count: 0
    .wavefront_size: 64
  - .agpr_count:     0
    .args:
      - .offset:         0
        .size:           56
        .value_kind:     by_value
    .group_segment_fixed_size: 0
    .kernarg_segment_align: 8
    .kernarg_segment_size: 56
    .language:       OpenCL C
    .language_version:
      - 2
      - 0
    .max_flat_workgroup_size: 256
    .name:           _ZN7rocprim17ROCPRIM_400000_NS6detail17trampoline_kernelINS0_14default_configENS1_35adjacent_difference_config_selectorILb1EfEEZNS1_24adjacent_difference_implIS3_Lb1ELb0EPfS7_N6thrust23THRUST_200600_302600_NS4plusIfEEEE10hipError_tPvRmT2_T3_mT4_P12ihipStream_tbEUlT_E_NS1_11comp_targetILNS1_3genE2ELNS1_11target_archE906ELNS1_3gpuE6ELNS1_3repE0EEENS1_30default_config_static_selectorELNS0_4arch9wavefront6targetE1EEEvT1_
    .private_segment_fixed_size: 0
    .sgpr_count:     4
    .sgpr_spill_count: 0
    .symbol:         _ZN7rocprim17ROCPRIM_400000_NS6detail17trampoline_kernelINS0_14default_configENS1_35adjacent_difference_config_selectorILb1EfEEZNS1_24adjacent_difference_implIS3_Lb1ELb0EPfS7_N6thrust23THRUST_200600_302600_NS4plusIfEEEE10hipError_tPvRmT2_T3_mT4_P12ihipStream_tbEUlT_E_NS1_11comp_targetILNS1_3genE2ELNS1_11target_archE906ELNS1_3gpuE6ELNS1_3repE0EEENS1_30default_config_static_selectorELNS0_4arch9wavefront6targetE1EEEvT1_.kd
    .uniform_work_group_size: 1
    .uses_dynamic_stack: false
    .vgpr_count:     0
    .vgpr_spill_count: 0
    .wavefront_size: 64
  - .agpr_count:     0
    .args:
      - .offset:         0
        .size:           56
        .value_kind:     by_value
    .group_segment_fixed_size: 0
    .kernarg_segment_align: 8
    .kernarg_segment_size: 56
    .language:       OpenCL C
    .language_version:
      - 2
      - 0
    .max_flat_workgroup_size: 128
    .name:           _ZN7rocprim17ROCPRIM_400000_NS6detail17trampoline_kernelINS0_14default_configENS1_35adjacent_difference_config_selectorILb1EfEEZNS1_24adjacent_difference_implIS3_Lb1ELb0EPfS7_N6thrust23THRUST_200600_302600_NS4plusIfEEEE10hipError_tPvRmT2_T3_mT4_P12ihipStream_tbEUlT_E_NS1_11comp_targetILNS1_3genE9ELNS1_11target_archE1100ELNS1_3gpuE3ELNS1_3repE0EEENS1_30default_config_static_selectorELNS0_4arch9wavefront6targetE1EEEvT1_
    .private_segment_fixed_size: 0
    .sgpr_count:     4
    .sgpr_spill_count: 0
    .symbol:         _ZN7rocprim17ROCPRIM_400000_NS6detail17trampoline_kernelINS0_14default_configENS1_35adjacent_difference_config_selectorILb1EfEEZNS1_24adjacent_difference_implIS3_Lb1ELb0EPfS7_N6thrust23THRUST_200600_302600_NS4plusIfEEEE10hipError_tPvRmT2_T3_mT4_P12ihipStream_tbEUlT_E_NS1_11comp_targetILNS1_3genE9ELNS1_11target_archE1100ELNS1_3gpuE3ELNS1_3repE0EEENS1_30default_config_static_selectorELNS0_4arch9wavefront6targetE1EEEvT1_.kd
    .uniform_work_group_size: 1
    .uses_dynamic_stack: false
    .vgpr_count:     0
    .vgpr_spill_count: 0
    .wavefront_size: 64
  - .agpr_count:     0
    .args:
      - .offset:         0
        .size:           56
        .value_kind:     by_value
    .group_segment_fixed_size: 0
    .kernarg_segment_align: 8
    .kernarg_segment_size: 56
    .language:       OpenCL C
    .language_version:
      - 2
      - 0
    .max_flat_workgroup_size: 32
    .name:           _ZN7rocprim17ROCPRIM_400000_NS6detail17trampoline_kernelINS0_14default_configENS1_35adjacent_difference_config_selectorILb1EfEEZNS1_24adjacent_difference_implIS3_Lb1ELb0EPfS7_N6thrust23THRUST_200600_302600_NS4plusIfEEEE10hipError_tPvRmT2_T3_mT4_P12ihipStream_tbEUlT_E_NS1_11comp_targetILNS1_3genE8ELNS1_11target_archE1030ELNS1_3gpuE2ELNS1_3repE0EEENS1_30default_config_static_selectorELNS0_4arch9wavefront6targetE1EEEvT1_
    .private_segment_fixed_size: 0
    .sgpr_count:     4
    .sgpr_spill_count: 0
    .symbol:         _ZN7rocprim17ROCPRIM_400000_NS6detail17trampoline_kernelINS0_14default_configENS1_35adjacent_difference_config_selectorILb1EfEEZNS1_24adjacent_difference_implIS3_Lb1ELb0EPfS7_N6thrust23THRUST_200600_302600_NS4plusIfEEEE10hipError_tPvRmT2_T3_mT4_P12ihipStream_tbEUlT_E_NS1_11comp_targetILNS1_3genE8ELNS1_11target_archE1030ELNS1_3gpuE2ELNS1_3repE0EEENS1_30default_config_static_selectorELNS0_4arch9wavefront6targetE1EEEvT1_.kd
    .uniform_work_group_size: 1
    .uses_dynamic_stack: false
    .vgpr_count:     0
    .vgpr_spill_count: 0
    .wavefront_size: 64
  - .agpr_count:     0
    .args:
      - .offset:         0
        .size:           16
        .value_kind:     by_value
      - .offset:         16
        .size:           8
        .value_kind:     by_value
      - .offset:         24
        .size:           8
        .value_kind:     by_value
    .group_segment_fixed_size: 0
    .kernarg_segment_align: 8
    .kernarg_segment_size: 32
    .language:       OpenCL C
    .language_version:
      - 2
      - 0
    .max_flat_workgroup_size: 256
    .name:           _ZN6thrust23THRUST_200600_302600_NS11hip_rocprim14__parallel_for6kernelILj256ENS1_10for_each_fINS0_10device_ptrI14custom_numericEENS0_6detail16wrapped_functionINS8_23allocator_traits_detail24construct1_via_allocatorINS0_16device_allocatorIS6_EEEEvEEEEmLj1EEEvT0_T1_SI_
    .private_segment_fixed_size: 0
    .sgpr_count:     12
    .sgpr_spill_count: 0
    .symbol:         _ZN6thrust23THRUST_200600_302600_NS11hip_rocprim14__parallel_for6kernelILj256ENS1_10for_each_fINS0_10device_ptrI14custom_numericEENS0_6detail16wrapped_functionINS8_23allocator_traits_detail24construct1_via_allocatorINS0_16device_allocatorIS6_EEEEvEEEEmLj1EEEvT0_T1_SI_.kd
    .uniform_work_group_size: 1
    .uses_dynamic_stack: false
    .vgpr_count:     6
    .vgpr_spill_count: 0
    .wavefront_size: 64
  - .agpr_count:     0
    .args:
      - .offset:         0
        .size:           16
        .value_kind:     by_value
      - .offset:         16
        .size:           8
        .value_kind:     by_value
      - .offset:         24
        .size:           8
        .value_kind:     by_value
    .group_segment_fixed_size: 0
    .kernarg_segment_align: 8
    .kernarg_segment_size: 32
    .language:       OpenCL C
    .language_version:
      - 2
      - 0
    .max_flat_workgroup_size: 256
    .name:           _ZN6thrust23THRUST_200600_302600_NS11hip_rocprim14__parallel_for6kernelILj256ENS1_10for_each_fINS0_10device_ptrI14custom_numericEENS0_6detail16wrapped_functionINS8_23allocator_traits_detail5gozerEvEEEElLj1EEEvT0_T1_SF_
    .private_segment_fixed_size: 0
    .sgpr_count:     4
    .sgpr_spill_count: 0
    .symbol:         _ZN6thrust23THRUST_200600_302600_NS11hip_rocprim14__parallel_for6kernelILj256ENS1_10for_each_fINS0_10device_ptrI14custom_numericEENS0_6detail16wrapped_functionINS8_23allocator_traits_detail5gozerEvEEEElLj1EEEvT0_T1_SF_.kd
    .uniform_work_group_size: 1
    .uses_dynamic_stack: false
    .vgpr_count:     0
    .vgpr_spill_count: 0
    .wavefront_size: 64
  - .agpr_count:     0
    .args:
      - .offset:         0
        .size:           16
        .value_kind:     by_value
      - .offset:         16
        .size:           8
        .value_kind:     by_value
      - .offset:         24
        .size:           8
        .value_kind:     by_value
    .group_segment_fixed_size: 0
    .kernarg_segment_align: 8
    .kernarg_segment_size: 32
    .language:       OpenCL C
    .language_version:
      - 2
      - 0
    .max_flat_workgroup_size: 256
    .name:           _ZN6thrust23THRUST_200600_302600_NS11hip_rocprim14__parallel_for6kernelILj256ENS1_10for_each_fINS0_7pointerI14custom_numericNS1_3tagENS0_11use_defaultES8_EENS0_6detail16wrapped_functionINSA_23allocator_traits_detail24construct1_via_allocatorINSA_18no_throw_allocatorINSA_19temporary_allocatorIS6_S7_EEEEEEvEEEEmLj1EEEvT0_T1_SM_
    .private_segment_fixed_size: 0
    .sgpr_count:     12
    .sgpr_spill_count: 0
    .symbol:         _ZN6thrust23THRUST_200600_302600_NS11hip_rocprim14__parallel_for6kernelILj256ENS1_10for_each_fINS0_7pointerI14custom_numericNS1_3tagENS0_11use_defaultES8_EENS0_6detail16wrapped_functionINSA_23allocator_traits_detail24construct1_via_allocatorINSA_18no_throw_allocatorINSA_19temporary_allocatorIS6_S7_EEEEEEvEEEEmLj1EEEvT0_T1_SM_.kd
    .uniform_work_group_size: 1
    .uses_dynamic_stack: false
    .vgpr_count:     6
    .vgpr_spill_count: 0
    .wavefront_size: 64
  - .agpr_count:     0
    .args:
      - .offset:         0
        .size:           16
        .value_kind:     by_value
      - .offset:         16
        .size:           8
        .value_kind:     by_value
      - .offset:         24
        .size:           8
        .value_kind:     by_value
    .group_segment_fixed_size: 0
    .kernarg_segment_align: 8
    .kernarg_segment_size: 32
    .language:       OpenCL C
    .language_version:
      - 2
      - 0
    .max_flat_workgroup_size: 256
    .name:           _ZN6thrust23THRUST_200600_302600_NS11hip_rocprim14__parallel_for6kernelILj256ENS1_10for_each_fINS0_7pointerI14custom_numericNS1_3tagENS0_11use_defaultES8_EENS0_6detail16wrapped_functionINSA_23allocator_traits_detail5gozerEvEEEElLj1EEEvT0_T1_SH_
    .private_segment_fixed_size: 0
    .sgpr_count:     4
    .sgpr_spill_count: 0
    .symbol:         _ZN6thrust23THRUST_200600_302600_NS11hip_rocprim14__parallel_for6kernelILj256ENS1_10for_each_fINS0_7pointerI14custom_numericNS1_3tagENS0_11use_defaultES8_EENS0_6detail16wrapped_functionINSA_23allocator_traits_detail5gozerEvEEEElLj1EEEvT0_T1_SH_.kd
    .uniform_work_group_size: 1
    .uses_dynamic_stack: false
    .vgpr_count:     0
    .vgpr_spill_count: 0
    .wavefront_size: 64
  - .agpr_count:     0
    .args:
      - .offset:         0
        .size:           24
        .value_kind:     by_value
      - .offset:         24
        .size:           8
        .value_kind:     by_value
      - .offset:         32
        .size:           8
        .value_kind:     by_value
    .group_segment_fixed_size: 0
    .kernarg_segment_align: 8
    .kernarg_segment_size: 40
    .language:       OpenCL C
    .language_version:
      - 2
      - 0
    .max_flat_workgroup_size: 256
    .name:           _ZN6thrust23THRUST_200600_302600_NS11hip_rocprim14__parallel_for6kernelILj256ENS1_11__transform17unary_transform_fINS0_7pointerI14custom_numericNS1_3tagENS0_11use_defaultES9_EENS0_10device_ptrIS7_EENS4_14no_stencil_tagENS0_8identityIS7_EENS4_21always_true_predicateEEElLj1EEEvT0_T1_SJ_
    .private_segment_fixed_size: 0
    .sgpr_count:     16
    .sgpr_spill_count: 0
    .symbol:         _ZN6thrust23THRUST_200600_302600_NS11hip_rocprim14__parallel_for6kernelILj256ENS1_11__transform17unary_transform_fINS0_7pointerI14custom_numericNS1_3tagENS0_11use_defaultES9_EENS0_10device_ptrIS7_EENS4_14no_stencil_tagENS0_8identityIS7_EENS4_21always_true_predicateEEElLj1EEEvT0_T1_SJ_.kd
    .uniform_work_group_size: 1
    .uses_dynamic_stack: false
    .vgpr_count:     7
    .vgpr_spill_count: 0
    .wavefront_size: 64
  - .agpr_count:     0
    .args:
      - .offset:         0
        .size:           16
        .value_kind:     by_value
      - .offset:         16
        .size:           8
        .value_kind:     by_value
      - .offset:         24
        .size:           8
        .value_kind:     by_value
    .group_segment_fixed_size: 0
    .kernarg_segment_align: 8
    .kernarg_segment_size: 32
    .language:       OpenCL C
    .language_version:
      - 2
      - 0
    .max_flat_workgroup_size: 256
    .name:           _ZN6thrust23THRUST_200600_302600_NS11hip_rocprim14__parallel_for6kernelILj256ENS1_20__uninitialized_copy7functorINS0_7pointerI14custom_numericNS1_3tagENS0_11use_defaultES9_EESA_EEmLj1EEEvT0_T1_SD_
    .private_segment_fixed_size: 0
    .sgpr_count:     20
    .sgpr_spill_count: 0
    .symbol:         _ZN6thrust23THRUST_200600_302600_NS11hip_rocprim14__parallel_for6kernelILj256ENS1_20__uninitialized_copy7functorINS0_7pointerI14custom_numericNS1_3tagENS0_11use_defaultES9_EESA_EEmLj1EEEvT0_T1_SD_.kd
    .uniform_work_group_size: 1
    .uses_dynamic_stack: false
    .vgpr_count:     7
    .vgpr_spill_count: 0
    .wavefront_size: 64
  - .agpr_count:     0
    .args:
      - .offset:         0
        .size:           56
        .value_kind:     by_value
    .group_segment_fixed_size: 0
    .kernarg_segment_align: 8
    .kernarg_segment_size: 56
    .language:       OpenCL C
    .language_version:
      - 2
      - 0
    .max_flat_workgroup_size: 256
    .name:           _ZN7rocprim17ROCPRIM_400000_NS6detail17trampoline_kernelINS0_14default_configENS1_35adjacent_difference_config_selectorILb0E14custom_numericEEZNS1_24adjacent_difference_implIS3_Lb0ELb0EPS5_S8_N6thrust23THRUST_200600_302600_NS5minusIS5_EEEE10hipError_tPvRmT2_T3_mT4_P12ihipStream_tbEUlT_E_NS1_11comp_targetILNS1_3genE0ELNS1_11target_archE4294967295ELNS1_3gpuE0ELNS1_3repE0EEENS1_30default_config_static_selectorELNS0_4arch9wavefront6targetE1EEEvT1_
    .private_segment_fixed_size: 0
    .sgpr_count:     4
    .sgpr_spill_count: 0
    .symbol:         _ZN7rocprim17ROCPRIM_400000_NS6detail17trampoline_kernelINS0_14default_configENS1_35adjacent_difference_config_selectorILb0E14custom_numericEEZNS1_24adjacent_difference_implIS3_Lb0ELb0EPS5_S8_N6thrust23THRUST_200600_302600_NS5minusIS5_EEEE10hipError_tPvRmT2_T3_mT4_P12ihipStream_tbEUlT_E_NS1_11comp_targetILNS1_3genE0ELNS1_11target_archE4294967295ELNS1_3gpuE0ELNS1_3repE0EEENS1_30default_config_static_selectorELNS0_4arch9wavefront6targetE1EEEvT1_.kd
    .uniform_work_group_size: 1
    .uses_dynamic_stack: false
    .vgpr_count:     0
    .vgpr_spill_count: 0
    .wavefront_size: 64
  - .agpr_count:     0
    .args:
      - .offset:         0
        .size:           56
        .value_kind:     by_value
    .group_segment_fixed_size: 0
    .kernarg_segment_align: 8
    .kernarg_segment_size: 56
    .language:       OpenCL C
    .language_version:
      - 2
      - 0
    .max_flat_workgroup_size: 256
    .name:           _ZN7rocprim17ROCPRIM_400000_NS6detail17trampoline_kernelINS0_14default_configENS1_35adjacent_difference_config_selectorILb0E14custom_numericEEZNS1_24adjacent_difference_implIS3_Lb0ELb0EPS5_S8_N6thrust23THRUST_200600_302600_NS5minusIS5_EEEE10hipError_tPvRmT2_T3_mT4_P12ihipStream_tbEUlT_E_NS1_11comp_targetILNS1_3genE10ELNS1_11target_archE1201ELNS1_3gpuE5ELNS1_3repE0EEENS1_30default_config_static_selectorELNS0_4arch9wavefront6targetE1EEEvT1_
    .private_segment_fixed_size: 0
    .sgpr_count:     4
    .sgpr_spill_count: 0
    .symbol:         _ZN7rocprim17ROCPRIM_400000_NS6detail17trampoline_kernelINS0_14default_configENS1_35adjacent_difference_config_selectorILb0E14custom_numericEEZNS1_24adjacent_difference_implIS3_Lb0ELb0EPS5_S8_N6thrust23THRUST_200600_302600_NS5minusIS5_EEEE10hipError_tPvRmT2_T3_mT4_P12ihipStream_tbEUlT_E_NS1_11comp_targetILNS1_3genE10ELNS1_11target_archE1201ELNS1_3gpuE5ELNS1_3repE0EEENS1_30default_config_static_selectorELNS0_4arch9wavefront6targetE1EEEvT1_.kd
    .uniform_work_group_size: 1
    .uses_dynamic_stack: false
    .vgpr_count:     0
    .vgpr_spill_count: 0
    .wavefront_size: 64
  - .agpr_count:     0
    .args:
      - .offset:         0
        .size:           56
        .value_kind:     by_value
    .group_segment_fixed_size: 0
    .kernarg_segment_align: 8
    .kernarg_segment_size: 56
    .language:       OpenCL C
    .language_version:
      - 2
      - 0
    .max_flat_workgroup_size: 256
    .name:           _ZN7rocprim17ROCPRIM_400000_NS6detail17trampoline_kernelINS0_14default_configENS1_35adjacent_difference_config_selectorILb0E14custom_numericEEZNS1_24adjacent_difference_implIS3_Lb0ELb0EPS5_S8_N6thrust23THRUST_200600_302600_NS5minusIS5_EEEE10hipError_tPvRmT2_T3_mT4_P12ihipStream_tbEUlT_E_NS1_11comp_targetILNS1_3genE5ELNS1_11target_archE942ELNS1_3gpuE9ELNS1_3repE0EEENS1_30default_config_static_selectorELNS0_4arch9wavefront6targetE1EEEvT1_
    .private_segment_fixed_size: 0
    .sgpr_count:     4
    .sgpr_spill_count: 0
    .symbol:         _ZN7rocprim17ROCPRIM_400000_NS6detail17trampoline_kernelINS0_14default_configENS1_35adjacent_difference_config_selectorILb0E14custom_numericEEZNS1_24adjacent_difference_implIS3_Lb0ELb0EPS5_S8_N6thrust23THRUST_200600_302600_NS5minusIS5_EEEE10hipError_tPvRmT2_T3_mT4_P12ihipStream_tbEUlT_E_NS1_11comp_targetILNS1_3genE5ELNS1_11target_archE942ELNS1_3gpuE9ELNS1_3repE0EEENS1_30default_config_static_selectorELNS0_4arch9wavefront6targetE1EEEvT1_.kd
    .uniform_work_group_size: 1
    .uses_dynamic_stack: false
    .vgpr_count:     0
    .vgpr_spill_count: 0
    .wavefront_size: 64
  - .agpr_count:     0
    .args:
      - .offset:         0
        .size:           56
        .value_kind:     by_value
    .group_segment_fixed_size: 15360
    .kernarg_segment_align: 8
    .kernarg_segment_size: 56
    .language:       OpenCL C
    .language_version:
      - 2
      - 0
    .max_flat_workgroup_size: 256
    .name:           _ZN7rocprim17ROCPRIM_400000_NS6detail17trampoline_kernelINS0_14default_configENS1_35adjacent_difference_config_selectorILb0E14custom_numericEEZNS1_24adjacent_difference_implIS3_Lb0ELb0EPS5_S8_N6thrust23THRUST_200600_302600_NS5minusIS5_EEEE10hipError_tPvRmT2_T3_mT4_P12ihipStream_tbEUlT_E_NS1_11comp_targetILNS1_3genE4ELNS1_11target_archE910ELNS1_3gpuE8ELNS1_3repE0EEENS1_30default_config_static_selectorELNS0_4arch9wavefront6targetE1EEEvT1_
    .private_segment_fixed_size: 0
    .sgpr_count:     30
    .sgpr_spill_count: 0
    .symbol:         _ZN7rocprim17ROCPRIM_400000_NS6detail17trampoline_kernelINS0_14default_configENS1_35adjacent_difference_config_selectorILb0E14custom_numericEEZNS1_24adjacent_difference_implIS3_Lb0ELb0EPS5_S8_N6thrust23THRUST_200600_302600_NS5minusIS5_EEEE10hipError_tPvRmT2_T3_mT4_P12ihipStream_tbEUlT_E_NS1_11comp_targetILNS1_3genE4ELNS1_11target_archE910ELNS1_3gpuE8ELNS1_3repE0EEENS1_30default_config_static_selectorELNS0_4arch9wavefront6targetE1EEEvT1_.kd
    .uniform_work_group_size: 1
    .uses_dynamic_stack: false
    .vgpr_count:     16
    .vgpr_spill_count: 0
    .wavefront_size: 64
  - .agpr_count:     0
    .args:
      - .offset:         0
        .size:           56
        .value_kind:     by_value
    .group_segment_fixed_size: 0
    .kernarg_segment_align: 8
    .kernarg_segment_size: 56
    .language:       OpenCL C
    .language_version:
      - 2
      - 0
    .max_flat_workgroup_size: 256
    .name:           _ZN7rocprim17ROCPRIM_400000_NS6detail17trampoline_kernelINS0_14default_configENS1_35adjacent_difference_config_selectorILb0E14custom_numericEEZNS1_24adjacent_difference_implIS3_Lb0ELb0EPS5_S8_N6thrust23THRUST_200600_302600_NS5minusIS5_EEEE10hipError_tPvRmT2_T3_mT4_P12ihipStream_tbEUlT_E_NS1_11comp_targetILNS1_3genE3ELNS1_11target_archE908ELNS1_3gpuE7ELNS1_3repE0EEENS1_30default_config_static_selectorELNS0_4arch9wavefront6targetE1EEEvT1_
    .private_segment_fixed_size: 0
    .sgpr_count:     4
    .sgpr_spill_count: 0
    .symbol:         _ZN7rocprim17ROCPRIM_400000_NS6detail17trampoline_kernelINS0_14default_configENS1_35adjacent_difference_config_selectorILb0E14custom_numericEEZNS1_24adjacent_difference_implIS3_Lb0ELb0EPS5_S8_N6thrust23THRUST_200600_302600_NS5minusIS5_EEEE10hipError_tPvRmT2_T3_mT4_P12ihipStream_tbEUlT_E_NS1_11comp_targetILNS1_3genE3ELNS1_11target_archE908ELNS1_3gpuE7ELNS1_3repE0EEENS1_30default_config_static_selectorELNS0_4arch9wavefront6targetE1EEEvT1_.kd
    .uniform_work_group_size: 1
    .uses_dynamic_stack: false
    .vgpr_count:     0
    .vgpr_spill_count: 0
    .wavefront_size: 64
  - .agpr_count:     0
    .args:
      - .offset:         0
        .size:           56
        .value_kind:     by_value
    .group_segment_fixed_size: 0
    .kernarg_segment_align: 8
    .kernarg_segment_size: 56
    .language:       OpenCL C
    .language_version:
      - 2
      - 0
    .max_flat_workgroup_size: 256
    .name:           _ZN7rocprim17ROCPRIM_400000_NS6detail17trampoline_kernelINS0_14default_configENS1_35adjacent_difference_config_selectorILb0E14custom_numericEEZNS1_24adjacent_difference_implIS3_Lb0ELb0EPS5_S8_N6thrust23THRUST_200600_302600_NS5minusIS5_EEEE10hipError_tPvRmT2_T3_mT4_P12ihipStream_tbEUlT_E_NS1_11comp_targetILNS1_3genE2ELNS1_11target_archE906ELNS1_3gpuE6ELNS1_3repE0EEENS1_30default_config_static_selectorELNS0_4arch9wavefront6targetE1EEEvT1_
    .private_segment_fixed_size: 0
    .sgpr_count:     4
    .sgpr_spill_count: 0
    .symbol:         _ZN7rocprim17ROCPRIM_400000_NS6detail17trampoline_kernelINS0_14default_configENS1_35adjacent_difference_config_selectorILb0E14custom_numericEEZNS1_24adjacent_difference_implIS3_Lb0ELb0EPS5_S8_N6thrust23THRUST_200600_302600_NS5minusIS5_EEEE10hipError_tPvRmT2_T3_mT4_P12ihipStream_tbEUlT_E_NS1_11comp_targetILNS1_3genE2ELNS1_11target_archE906ELNS1_3gpuE6ELNS1_3repE0EEENS1_30default_config_static_selectorELNS0_4arch9wavefront6targetE1EEEvT1_.kd
    .uniform_work_group_size: 1
    .uses_dynamic_stack: false
    .vgpr_count:     0
    .vgpr_spill_count: 0
    .wavefront_size: 64
  - .agpr_count:     0
    .args:
      - .offset:         0
        .size:           56
        .value_kind:     by_value
    .group_segment_fixed_size: 0
    .kernarg_segment_align: 8
    .kernarg_segment_size: 56
    .language:       OpenCL C
    .language_version:
      - 2
      - 0
    .max_flat_workgroup_size: 256
    .name:           _ZN7rocprim17ROCPRIM_400000_NS6detail17trampoline_kernelINS0_14default_configENS1_35adjacent_difference_config_selectorILb0E14custom_numericEEZNS1_24adjacent_difference_implIS3_Lb0ELb0EPS5_S8_N6thrust23THRUST_200600_302600_NS5minusIS5_EEEE10hipError_tPvRmT2_T3_mT4_P12ihipStream_tbEUlT_E_NS1_11comp_targetILNS1_3genE9ELNS1_11target_archE1100ELNS1_3gpuE3ELNS1_3repE0EEENS1_30default_config_static_selectorELNS0_4arch9wavefront6targetE1EEEvT1_
    .private_segment_fixed_size: 0
    .sgpr_count:     4
    .sgpr_spill_count: 0
    .symbol:         _ZN7rocprim17ROCPRIM_400000_NS6detail17trampoline_kernelINS0_14default_configENS1_35adjacent_difference_config_selectorILb0E14custom_numericEEZNS1_24adjacent_difference_implIS3_Lb0ELb0EPS5_S8_N6thrust23THRUST_200600_302600_NS5minusIS5_EEEE10hipError_tPvRmT2_T3_mT4_P12ihipStream_tbEUlT_E_NS1_11comp_targetILNS1_3genE9ELNS1_11target_archE1100ELNS1_3gpuE3ELNS1_3repE0EEENS1_30default_config_static_selectorELNS0_4arch9wavefront6targetE1EEEvT1_.kd
    .uniform_work_group_size: 1
    .uses_dynamic_stack: false
    .vgpr_count:     0
    .vgpr_spill_count: 0
    .wavefront_size: 64
  - .agpr_count:     0
    .args:
      - .offset:         0
        .size:           56
        .value_kind:     by_value
    .group_segment_fixed_size: 0
    .kernarg_segment_align: 8
    .kernarg_segment_size: 56
    .language:       OpenCL C
    .language_version:
      - 2
      - 0
    .max_flat_workgroup_size: 256
    .name:           _ZN7rocprim17ROCPRIM_400000_NS6detail17trampoline_kernelINS0_14default_configENS1_35adjacent_difference_config_selectorILb0E14custom_numericEEZNS1_24adjacent_difference_implIS3_Lb0ELb0EPS5_S8_N6thrust23THRUST_200600_302600_NS5minusIS5_EEEE10hipError_tPvRmT2_T3_mT4_P12ihipStream_tbEUlT_E_NS1_11comp_targetILNS1_3genE8ELNS1_11target_archE1030ELNS1_3gpuE2ELNS1_3repE0EEENS1_30default_config_static_selectorELNS0_4arch9wavefront6targetE1EEEvT1_
    .private_segment_fixed_size: 0
    .sgpr_count:     4
    .sgpr_spill_count: 0
    .symbol:         _ZN7rocprim17ROCPRIM_400000_NS6detail17trampoline_kernelINS0_14default_configENS1_35adjacent_difference_config_selectorILb0E14custom_numericEEZNS1_24adjacent_difference_implIS3_Lb0ELb0EPS5_S8_N6thrust23THRUST_200600_302600_NS5minusIS5_EEEE10hipError_tPvRmT2_T3_mT4_P12ihipStream_tbEUlT_E_NS1_11comp_targetILNS1_3genE8ELNS1_11target_archE1030ELNS1_3gpuE2ELNS1_3repE0EEENS1_30default_config_static_selectorELNS0_4arch9wavefront6targetE1EEEvT1_.kd
    .uniform_work_group_size: 1
    .uses_dynamic_stack: false
    .vgpr_count:     0
    .vgpr_spill_count: 0
    .wavefront_size: 64
  - .agpr_count:     0
    .args:
      - .offset:         0
        .size:           56
        .value_kind:     by_value
    .group_segment_fixed_size: 0
    .kernarg_segment_align: 8
    .kernarg_segment_size: 56
    .language:       OpenCL C
    .language_version:
      - 2
      - 0
    .max_flat_workgroup_size: 256
    .name:           _ZN7rocprim17ROCPRIM_400000_NS6detail17trampoline_kernelINS0_14default_configENS1_25transform_config_selectorI14custom_numericLb0EEEZNS1_14transform_implILb0ES3_S6_NS0_18transform_iteratorINS0_17counting_iteratorImlEEZNS1_24adjacent_difference_implIS3_Lb1ELb0EPS5_SC_N6thrust23THRUST_200600_302600_NS5minusIS5_EEEE10hipError_tPvRmT2_T3_mT4_P12ihipStream_tbEUlmE_S5_EESC_NS0_8identityIvEEEESH_SK_SL_mSM_SO_bEUlT_E_NS1_11comp_targetILNS1_3genE0ELNS1_11target_archE4294967295ELNS1_3gpuE0ELNS1_3repE0EEENS1_30default_config_static_selectorELNS0_4arch9wavefront6targetE1EEEvT1_
    .private_segment_fixed_size: 0
    .sgpr_count:     4
    .sgpr_spill_count: 0
    .symbol:         _ZN7rocprim17ROCPRIM_400000_NS6detail17trampoline_kernelINS0_14default_configENS1_25transform_config_selectorI14custom_numericLb0EEEZNS1_14transform_implILb0ES3_S6_NS0_18transform_iteratorINS0_17counting_iteratorImlEEZNS1_24adjacent_difference_implIS3_Lb1ELb0EPS5_SC_N6thrust23THRUST_200600_302600_NS5minusIS5_EEEE10hipError_tPvRmT2_T3_mT4_P12ihipStream_tbEUlmE_S5_EESC_NS0_8identityIvEEEESH_SK_SL_mSM_SO_bEUlT_E_NS1_11comp_targetILNS1_3genE0ELNS1_11target_archE4294967295ELNS1_3gpuE0ELNS1_3repE0EEENS1_30default_config_static_selectorELNS0_4arch9wavefront6targetE1EEEvT1_.kd
    .uniform_work_group_size: 1
    .uses_dynamic_stack: false
    .vgpr_count:     0
    .vgpr_spill_count: 0
    .wavefront_size: 64
  - .agpr_count:     0
    .args:
      - .offset:         0
        .size:           56
        .value_kind:     by_value
    .group_segment_fixed_size: 0
    .kernarg_segment_align: 8
    .kernarg_segment_size: 56
    .language:       OpenCL C
    .language_version:
      - 2
      - 0
    .max_flat_workgroup_size: 256
    .name:           _ZN7rocprim17ROCPRIM_400000_NS6detail17trampoline_kernelINS0_14default_configENS1_25transform_config_selectorI14custom_numericLb0EEEZNS1_14transform_implILb0ES3_S6_NS0_18transform_iteratorINS0_17counting_iteratorImlEEZNS1_24adjacent_difference_implIS3_Lb1ELb0EPS5_SC_N6thrust23THRUST_200600_302600_NS5minusIS5_EEEE10hipError_tPvRmT2_T3_mT4_P12ihipStream_tbEUlmE_S5_EESC_NS0_8identityIvEEEESH_SK_SL_mSM_SO_bEUlT_E_NS1_11comp_targetILNS1_3genE5ELNS1_11target_archE942ELNS1_3gpuE9ELNS1_3repE0EEENS1_30default_config_static_selectorELNS0_4arch9wavefront6targetE1EEEvT1_
    .private_segment_fixed_size: 0
    .sgpr_count:     4
    .sgpr_spill_count: 0
    .symbol:         _ZN7rocprim17ROCPRIM_400000_NS6detail17trampoline_kernelINS0_14default_configENS1_25transform_config_selectorI14custom_numericLb0EEEZNS1_14transform_implILb0ES3_S6_NS0_18transform_iteratorINS0_17counting_iteratorImlEEZNS1_24adjacent_difference_implIS3_Lb1ELb0EPS5_SC_N6thrust23THRUST_200600_302600_NS5minusIS5_EEEE10hipError_tPvRmT2_T3_mT4_P12ihipStream_tbEUlmE_S5_EESC_NS0_8identityIvEEEESH_SK_SL_mSM_SO_bEUlT_E_NS1_11comp_targetILNS1_3genE5ELNS1_11target_archE942ELNS1_3gpuE9ELNS1_3repE0EEENS1_30default_config_static_selectorELNS0_4arch9wavefront6targetE1EEEvT1_.kd
    .uniform_work_group_size: 1
    .uses_dynamic_stack: false
    .vgpr_count:     0
    .vgpr_spill_count: 0
    .wavefront_size: 64
  - .agpr_count:     0
    .args:
      - .offset:         0
        .size:           56
        .value_kind:     by_value
      - .offset:         56
        .size:           4
        .value_kind:     hidden_block_count_x
      - .offset:         60
        .size:           4
        .value_kind:     hidden_block_count_y
      - .offset:         64
        .size:           4
        .value_kind:     hidden_block_count_z
      - .offset:         68
        .size:           2
        .value_kind:     hidden_group_size_x
      - .offset:         70
        .size:           2
        .value_kind:     hidden_group_size_y
      - .offset:         72
        .size:           2
        .value_kind:     hidden_group_size_z
      - .offset:         74
        .size:           2
        .value_kind:     hidden_remainder_x
      - .offset:         76
        .size:           2
        .value_kind:     hidden_remainder_y
      - .offset:         78
        .size:           2
        .value_kind:     hidden_remainder_z
      - .offset:         96
        .size:           8
        .value_kind:     hidden_global_offset_x
      - .offset:         104
        .size:           8
        .value_kind:     hidden_global_offset_y
      - .offset:         112
        .size:           8
        .value_kind:     hidden_global_offset_z
      - .offset:         120
        .size:           2
        .value_kind:     hidden_grid_dims
    .group_segment_fixed_size: 0
    .kernarg_segment_align: 8
    .kernarg_segment_size: 312
    .language:       OpenCL C
    .language_version:
      - 2
      - 0
    .max_flat_workgroup_size: 256
    .name:           _ZN7rocprim17ROCPRIM_400000_NS6detail17trampoline_kernelINS0_14default_configENS1_25transform_config_selectorI14custom_numericLb0EEEZNS1_14transform_implILb0ES3_S6_NS0_18transform_iteratorINS0_17counting_iteratorImlEEZNS1_24adjacent_difference_implIS3_Lb1ELb0EPS5_SC_N6thrust23THRUST_200600_302600_NS5minusIS5_EEEE10hipError_tPvRmT2_T3_mT4_P12ihipStream_tbEUlmE_S5_EESC_NS0_8identityIvEEEESH_SK_SL_mSM_SO_bEUlT_E_NS1_11comp_targetILNS1_3genE4ELNS1_11target_archE910ELNS1_3gpuE8ELNS1_3repE0EEENS1_30default_config_static_selectorELNS0_4arch9wavefront6targetE1EEEvT1_
    .private_segment_fixed_size: 0
    .sgpr_count:     21
    .sgpr_spill_count: 0
    .symbol:         _ZN7rocprim17ROCPRIM_400000_NS6detail17trampoline_kernelINS0_14default_configENS1_25transform_config_selectorI14custom_numericLb0EEEZNS1_14transform_implILb0ES3_S6_NS0_18transform_iteratorINS0_17counting_iteratorImlEEZNS1_24adjacent_difference_implIS3_Lb1ELb0EPS5_SC_N6thrust23THRUST_200600_302600_NS5minusIS5_EEEE10hipError_tPvRmT2_T3_mT4_P12ihipStream_tbEUlmE_S5_EESC_NS0_8identityIvEEEESH_SK_SL_mSM_SO_bEUlT_E_NS1_11comp_targetILNS1_3genE4ELNS1_11target_archE910ELNS1_3gpuE8ELNS1_3repE0EEENS1_30default_config_static_selectorELNS0_4arch9wavefront6targetE1EEEvT1_.kd
    .uniform_work_group_size: 1
    .uses_dynamic_stack: false
    .vgpr_count:     16
    .vgpr_spill_count: 0
    .wavefront_size: 64
  - .agpr_count:     0
    .args:
      - .offset:         0
        .size:           56
        .value_kind:     by_value
    .group_segment_fixed_size: 0
    .kernarg_segment_align: 8
    .kernarg_segment_size: 56
    .language:       OpenCL C
    .language_version:
      - 2
      - 0
    .max_flat_workgroup_size: 256
    .name:           _ZN7rocprim17ROCPRIM_400000_NS6detail17trampoline_kernelINS0_14default_configENS1_25transform_config_selectorI14custom_numericLb0EEEZNS1_14transform_implILb0ES3_S6_NS0_18transform_iteratorINS0_17counting_iteratorImlEEZNS1_24adjacent_difference_implIS3_Lb1ELb0EPS5_SC_N6thrust23THRUST_200600_302600_NS5minusIS5_EEEE10hipError_tPvRmT2_T3_mT4_P12ihipStream_tbEUlmE_S5_EESC_NS0_8identityIvEEEESH_SK_SL_mSM_SO_bEUlT_E_NS1_11comp_targetILNS1_3genE3ELNS1_11target_archE908ELNS1_3gpuE7ELNS1_3repE0EEENS1_30default_config_static_selectorELNS0_4arch9wavefront6targetE1EEEvT1_
    .private_segment_fixed_size: 0
    .sgpr_count:     4
    .sgpr_spill_count: 0
    .symbol:         _ZN7rocprim17ROCPRIM_400000_NS6detail17trampoline_kernelINS0_14default_configENS1_25transform_config_selectorI14custom_numericLb0EEEZNS1_14transform_implILb0ES3_S6_NS0_18transform_iteratorINS0_17counting_iteratorImlEEZNS1_24adjacent_difference_implIS3_Lb1ELb0EPS5_SC_N6thrust23THRUST_200600_302600_NS5minusIS5_EEEE10hipError_tPvRmT2_T3_mT4_P12ihipStream_tbEUlmE_S5_EESC_NS0_8identityIvEEEESH_SK_SL_mSM_SO_bEUlT_E_NS1_11comp_targetILNS1_3genE3ELNS1_11target_archE908ELNS1_3gpuE7ELNS1_3repE0EEENS1_30default_config_static_selectorELNS0_4arch9wavefront6targetE1EEEvT1_.kd
    .uniform_work_group_size: 1
    .uses_dynamic_stack: false
    .vgpr_count:     0
    .vgpr_spill_count: 0
    .wavefront_size: 64
  - .agpr_count:     0
    .args:
      - .offset:         0
        .size:           56
        .value_kind:     by_value
    .group_segment_fixed_size: 0
    .kernarg_segment_align: 8
    .kernarg_segment_size: 56
    .language:       OpenCL C
    .language_version:
      - 2
      - 0
    .max_flat_workgroup_size: 256
    .name:           _ZN7rocprim17ROCPRIM_400000_NS6detail17trampoline_kernelINS0_14default_configENS1_25transform_config_selectorI14custom_numericLb0EEEZNS1_14transform_implILb0ES3_S6_NS0_18transform_iteratorINS0_17counting_iteratorImlEEZNS1_24adjacent_difference_implIS3_Lb1ELb0EPS5_SC_N6thrust23THRUST_200600_302600_NS5minusIS5_EEEE10hipError_tPvRmT2_T3_mT4_P12ihipStream_tbEUlmE_S5_EESC_NS0_8identityIvEEEESH_SK_SL_mSM_SO_bEUlT_E_NS1_11comp_targetILNS1_3genE2ELNS1_11target_archE906ELNS1_3gpuE6ELNS1_3repE0EEENS1_30default_config_static_selectorELNS0_4arch9wavefront6targetE1EEEvT1_
    .private_segment_fixed_size: 0
    .sgpr_count:     4
    .sgpr_spill_count: 0
    .symbol:         _ZN7rocprim17ROCPRIM_400000_NS6detail17trampoline_kernelINS0_14default_configENS1_25transform_config_selectorI14custom_numericLb0EEEZNS1_14transform_implILb0ES3_S6_NS0_18transform_iteratorINS0_17counting_iteratorImlEEZNS1_24adjacent_difference_implIS3_Lb1ELb0EPS5_SC_N6thrust23THRUST_200600_302600_NS5minusIS5_EEEE10hipError_tPvRmT2_T3_mT4_P12ihipStream_tbEUlmE_S5_EESC_NS0_8identityIvEEEESH_SK_SL_mSM_SO_bEUlT_E_NS1_11comp_targetILNS1_3genE2ELNS1_11target_archE906ELNS1_3gpuE6ELNS1_3repE0EEENS1_30default_config_static_selectorELNS0_4arch9wavefront6targetE1EEEvT1_.kd
    .uniform_work_group_size: 1
    .uses_dynamic_stack: false
    .vgpr_count:     0
    .vgpr_spill_count: 0
    .wavefront_size: 64
  - .agpr_count:     0
    .args:
      - .offset:         0
        .size:           56
        .value_kind:     by_value
    .group_segment_fixed_size: 0
    .kernarg_segment_align: 8
    .kernarg_segment_size: 56
    .language:       OpenCL C
    .language_version:
      - 2
      - 0
    .max_flat_workgroup_size: 256
    .name:           _ZN7rocprim17ROCPRIM_400000_NS6detail17trampoline_kernelINS0_14default_configENS1_25transform_config_selectorI14custom_numericLb0EEEZNS1_14transform_implILb0ES3_S6_NS0_18transform_iteratorINS0_17counting_iteratorImlEEZNS1_24adjacent_difference_implIS3_Lb1ELb0EPS5_SC_N6thrust23THRUST_200600_302600_NS5minusIS5_EEEE10hipError_tPvRmT2_T3_mT4_P12ihipStream_tbEUlmE_S5_EESC_NS0_8identityIvEEEESH_SK_SL_mSM_SO_bEUlT_E_NS1_11comp_targetILNS1_3genE10ELNS1_11target_archE1201ELNS1_3gpuE5ELNS1_3repE0EEENS1_30default_config_static_selectorELNS0_4arch9wavefront6targetE1EEEvT1_
    .private_segment_fixed_size: 0
    .sgpr_count:     4
    .sgpr_spill_count: 0
    .symbol:         _ZN7rocprim17ROCPRIM_400000_NS6detail17trampoline_kernelINS0_14default_configENS1_25transform_config_selectorI14custom_numericLb0EEEZNS1_14transform_implILb0ES3_S6_NS0_18transform_iteratorINS0_17counting_iteratorImlEEZNS1_24adjacent_difference_implIS3_Lb1ELb0EPS5_SC_N6thrust23THRUST_200600_302600_NS5minusIS5_EEEE10hipError_tPvRmT2_T3_mT4_P12ihipStream_tbEUlmE_S5_EESC_NS0_8identityIvEEEESH_SK_SL_mSM_SO_bEUlT_E_NS1_11comp_targetILNS1_3genE10ELNS1_11target_archE1201ELNS1_3gpuE5ELNS1_3repE0EEENS1_30default_config_static_selectorELNS0_4arch9wavefront6targetE1EEEvT1_.kd
    .uniform_work_group_size: 1
    .uses_dynamic_stack: false
    .vgpr_count:     0
    .vgpr_spill_count: 0
    .wavefront_size: 64
  - .agpr_count:     0
    .args:
      - .offset:         0
        .size:           56
        .value_kind:     by_value
    .group_segment_fixed_size: 0
    .kernarg_segment_align: 8
    .kernarg_segment_size: 56
    .language:       OpenCL C
    .language_version:
      - 2
      - 0
    .max_flat_workgroup_size: 256
    .name:           _ZN7rocprim17ROCPRIM_400000_NS6detail17trampoline_kernelINS0_14default_configENS1_25transform_config_selectorI14custom_numericLb0EEEZNS1_14transform_implILb0ES3_S6_NS0_18transform_iteratorINS0_17counting_iteratorImlEEZNS1_24adjacent_difference_implIS3_Lb1ELb0EPS5_SC_N6thrust23THRUST_200600_302600_NS5minusIS5_EEEE10hipError_tPvRmT2_T3_mT4_P12ihipStream_tbEUlmE_S5_EESC_NS0_8identityIvEEEESH_SK_SL_mSM_SO_bEUlT_E_NS1_11comp_targetILNS1_3genE10ELNS1_11target_archE1200ELNS1_3gpuE4ELNS1_3repE0EEENS1_30default_config_static_selectorELNS0_4arch9wavefront6targetE1EEEvT1_
    .private_segment_fixed_size: 0
    .sgpr_count:     4
    .sgpr_spill_count: 0
    .symbol:         _ZN7rocprim17ROCPRIM_400000_NS6detail17trampoline_kernelINS0_14default_configENS1_25transform_config_selectorI14custom_numericLb0EEEZNS1_14transform_implILb0ES3_S6_NS0_18transform_iteratorINS0_17counting_iteratorImlEEZNS1_24adjacent_difference_implIS3_Lb1ELb0EPS5_SC_N6thrust23THRUST_200600_302600_NS5minusIS5_EEEE10hipError_tPvRmT2_T3_mT4_P12ihipStream_tbEUlmE_S5_EESC_NS0_8identityIvEEEESH_SK_SL_mSM_SO_bEUlT_E_NS1_11comp_targetILNS1_3genE10ELNS1_11target_archE1200ELNS1_3gpuE4ELNS1_3repE0EEENS1_30default_config_static_selectorELNS0_4arch9wavefront6targetE1EEEvT1_.kd
    .uniform_work_group_size: 1
    .uses_dynamic_stack: false
    .vgpr_count:     0
    .vgpr_spill_count: 0
    .wavefront_size: 64
  - .agpr_count:     0
    .args:
      - .offset:         0
        .size:           56
        .value_kind:     by_value
    .group_segment_fixed_size: 0
    .kernarg_segment_align: 8
    .kernarg_segment_size: 56
    .language:       OpenCL C
    .language_version:
      - 2
      - 0
    .max_flat_workgroup_size: 256
    .name:           _ZN7rocprim17ROCPRIM_400000_NS6detail17trampoline_kernelINS0_14default_configENS1_25transform_config_selectorI14custom_numericLb0EEEZNS1_14transform_implILb0ES3_S6_NS0_18transform_iteratorINS0_17counting_iteratorImlEEZNS1_24adjacent_difference_implIS3_Lb1ELb0EPS5_SC_N6thrust23THRUST_200600_302600_NS5minusIS5_EEEE10hipError_tPvRmT2_T3_mT4_P12ihipStream_tbEUlmE_S5_EESC_NS0_8identityIvEEEESH_SK_SL_mSM_SO_bEUlT_E_NS1_11comp_targetILNS1_3genE9ELNS1_11target_archE1100ELNS1_3gpuE3ELNS1_3repE0EEENS1_30default_config_static_selectorELNS0_4arch9wavefront6targetE1EEEvT1_
    .private_segment_fixed_size: 0
    .sgpr_count:     4
    .sgpr_spill_count: 0
    .symbol:         _ZN7rocprim17ROCPRIM_400000_NS6detail17trampoline_kernelINS0_14default_configENS1_25transform_config_selectorI14custom_numericLb0EEEZNS1_14transform_implILb0ES3_S6_NS0_18transform_iteratorINS0_17counting_iteratorImlEEZNS1_24adjacent_difference_implIS3_Lb1ELb0EPS5_SC_N6thrust23THRUST_200600_302600_NS5minusIS5_EEEE10hipError_tPvRmT2_T3_mT4_P12ihipStream_tbEUlmE_S5_EESC_NS0_8identityIvEEEESH_SK_SL_mSM_SO_bEUlT_E_NS1_11comp_targetILNS1_3genE9ELNS1_11target_archE1100ELNS1_3gpuE3ELNS1_3repE0EEENS1_30default_config_static_selectorELNS0_4arch9wavefront6targetE1EEEvT1_.kd
    .uniform_work_group_size: 1
    .uses_dynamic_stack: false
    .vgpr_count:     0
    .vgpr_spill_count: 0
    .wavefront_size: 64
  - .agpr_count:     0
    .args:
      - .offset:         0
        .size:           56
        .value_kind:     by_value
    .group_segment_fixed_size: 0
    .kernarg_segment_align: 8
    .kernarg_segment_size: 56
    .language:       OpenCL C
    .language_version:
      - 2
      - 0
    .max_flat_workgroup_size: 256
    .name:           _ZN7rocprim17ROCPRIM_400000_NS6detail17trampoline_kernelINS0_14default_configENS1_25transform_config_selectorI14custom_numericLb0EEEZNS1_14transform_implILb0ES3_S6_NS0_18transform_iteratorINS0_17counting_iteratorImlEEZNS1_24adjacent_difference_implIS3_Lb1ELb0EPS5_SC_N6thrust23THRUST_200600_302600_NS5minusIS5_EEEE10hipError_tPvRmT2_T3_mT4_P12ihipStream_tbEUlmE_S5_EESC_NS0_8identityIvEEEESH_SK_SL_mSM_SO_bEUlT_E_NS1_11comp_targetILNS1_3genE8ELNS1_11target_archE1030ELNS1_3gpuE2ELNS1_3repE0EEENS1_30default_config_static_selectorELNS0_4arch9wavefront6targetE1EEEvT1_
    .private_segment_fixed_size: 0
    .sgpr_count:     4
    .sgpr_spill_count: 0
    .symbol:         _ZN7rocprim17ROCPRIM_400000_NS6detail17trampoline_kernelINS0_14default_configENS1_25transform_config_selectorI14custom_numericLb0EEEZNS1_14transform_implILb0ES3_S6_NS0_18transform_iteratorINS0_17counting_iteratorImlEEZNS1_24adjacent_difference_implIS3_Lb1ELb0EPS5_SC_N6thrust23THRUST_200600_302600_NS5minusIS5_EEEE10hipError_tPvRmT2_T3_mT4_P12ihipStream_tbEUlmE_S5_EESC_NS0_8identityIvEEEESH_SK_SL_mSM_SO_bEUlT_E_NS1_11comp_targetILNS1_3genE8ELNS1_11target_archE1030ELNS1_3gpuE2ELNS1_3repE0EEENS1_30default_config_static_selectorELNS0_4arch9wavefront6targetE1EEEvT1_.kd
    .uniform_work_group_size: 1
    .uses_dynamic_stack: false
    .vgpr_count:     0
    .vgpr_spill_count: 0
    .wavefront_size: 64
  - .agpr_count:     0
    .args:
      - .offset:         0
        .size:           56
        .value_kind:     by_value
    .group_segment_fixed_size: 0
    .kernarg_segment_align: 8
    .kernarg_segment_size: 56
    .language:       OpenCL C
    .language_version:
      - 2
      - 0
    .max_flat_workgroup_size: 256
    .name:           _ZN7rocprim17ROCPRIM_400000_NS6detail17trampoline_kernelINS0_14default_configENS1_35adjacent_difference_config_selectorILb1E14custom_numericEEZNS1_24adjacent_difference_implIS3_Lb1ELb0EPS5_S8_N6thrust23THRUST_200600_302600_NS5minusIS5_EEEE10hipError_tPvRmT2_T3_mT4_P12ihipStream_tbEUlT_E_NS1_11comp_targetILNS1_3genE0ELNS1_11target_archE4294967295ELNS1_3gpuE0ELNS1_3repE0EEENS1_30default_config_static_selectorELNS0_4arch9wavefront6targetE1EEEvT1_
    .private_segment_fixed_size: 0
    .sgpr_count:     4
    .sgpr_spill_count: 0
    .symbol:         _ZN7rocprim17ROCPRIM_400000_NS6detail17trampoline_kernelINS0_14default_configENS1_35adjacent_difference_config_selectorILb1E14custom_numericEEZNS1_24adjacent_difference_implIS3_Lb1ELb0EPS5_S8_N6thrust23THRUST_200600_302600_NS5minusIS5_EEEE10hipError_tPvRmT2_T3_mT4_P12ihipStream_tbEUlT_E_NS1_11comp_targetILNS1_3genE0ELNS1_11target_archE4294967295ELNS1_3gpuE0ELNS1_3repE0EEENS1_30default_config_static_selectorELNS0_4arch9wavefront6targetE1EEEvT1_.kd
    .uniform_work_group_size: 1
    .uses_dynamic_stack: false
    .vgpr_count:     0
    .vgpr_spill_count: 0
    .wavefront_size: 64
  - .agpr_count:     0
    .args:
      - .offset:         0
        .size:           56
        .value_kind:     by_value
    .group_segment_fixed_size: 0
    .kernarg_segment_align: 8
    .kernarg_segment_size: 56
    .language:       OpenCL C
    .language_version:
      - 2
      - 0
    .max_flat_workgroup_size: 256
    .name:           _ZN7rocprim17ROCPRIM_400000_NS6detail17trampoline_kernelINS0_14default_configENS1_35adjacent_difference_config_selectorILb1E14custom_numericEEZNS1_24adjacent_difference_implIS3_Lb1ELb0EPS5_S8_N6thrust23THRUST_200600_302600_NS5minusIS5_EEEE10hipError_tPvRmT2_T3_mT4_P12ihipStream_tbEUlT_E_NS1_11comp_targetILNS1_3genE10ELNS1_11target_archE1201ELNS1_3gpuE5ELNS1_3repE0EEENS1_30default_config_static_selectorELNS0_4arch9wavefront6targetE1EEEvT1_
    .private_segment_fixed_size: 0
    .sgpr_count:     4
    .sgpr_spill_count: 0
    .symbol:         _ZN7rocprim17ROCPRIM_400000_NS6detail17trampoline_kernelINS0_14default_configENS1_35adjacent_difference_config_selectorILb1E14custom_numericEEZNS1_24adjacent_difference_implIS3_Lb1ELb0EPS5_S8_N6thrust23THRUST_200600_302600_NS5minusIS5_EEEE10hipError_tPvRmT2_T3_mT4_P12ihipStream_tbEUlT_E_NS1_11comp_targetILNS1_3genE10ELNS1_11target_archE1201ELNS1_3gpuE5ELNS1_3repE0EEENS1_30default_config_static_selectorELNS0_4arch9wavefront6targetE1EEEvT1_.kd
    .uniform_work_group_size: 1
    .uses_dynamic_stack: false
    .vgpr_count:     0
    .vgpr_spill_count: 0
    .wavefront_size: 64
  - .agpr_count:     0
    .args:
      - .offset:         0
        .size:           56
        .value_kind:     by_value
    .group_segment_fixed_size: 0
    .kernarg_segment_align: 8
    .kernarg_segment_size: 56
    .language:       OpenCL C
    .language_version:
      - 2
      - 0
    .max_flat_workgroup_size: 256
    .name:           _ZN7rocprim17ROCPRIM_400000_NS6detail17trampoline_kernelINS0_14default_configENS1_35adjacent_difference_config_selectorILb1E14custom_numericEEZNS1_24adjacent_difference_implIS3_Lb1ELb0EPS5_S8_N6thrust23THRUST_200600_302600_NS5minusIS5_EEEE10hipError_tPvRmT2_T3_mT4_P12ihipStream_tbEUlT_E_NS1_11comp_targetILNS1_3genE5ELNS1_11target_archE942ELNS1_3gpuE9ELNS1_3repE0EEENS1_30default_config_static_selectorELNS0_4arch9wavefront6targetE1EEEvT1_
    .private_segment_fixed_size: 0
    .sgpr_count:     4
    .sgpr_spill_count: 0
    .symbol:         _ZN7rocprim17ROCPRIM_400000_NS6detail17trampoline_kernelINS0_14default_configENS1_35adjacent_difference_config_selectorILb1E14custom_numericEEZNS1_24adjacent_difference_implIS3_Lb1ELb0EPS5_S8_N6thrust23THRUST_200600_302600_NS5minusIS5_EEEE10hipError_tPvRmT2_T3_mT4_P12ihipStream_tbEUlT_E_NS1_11comp_targetILNS1_3genE5ELNS1_11target_archE942ELNS1_3gpuE9ELNS1_3repE0EEENS1_30default_config_static_selectorELNS0_4arch9wavefront6targetE1EEEvT1_.kd
    .uniform_work_group_size: 1
    .uses_dynamic_stack: false
    .vgpr_count:     0
    .vgpr_spill_count: 0
    .wavefront_size: 64
  - .agpr_count:     0
    .args:
      - .offset:         0
        .size:           56
        .value_kind:     by_value
    .group_segment_fixed_size: 15360
    .kernarg_segment_align: 8
    .kernarg_segment_size: 56
    .language:       OpenCL C
    .language_version:
      - 2
      - 0
    .max_flat_workgroup_size: 256
    .name:           _ZN7rocprim17ROCPRIM_400000_NS6detail17trampoline_kernelINS0_14default_configENS1_35adjacent_difference_config_selectorILb1E14custom_numericEEZNS1_24adjacent_difference_implIS3_Lb1ELb0EPS5_S8_N6thrust23THRUST_200600_302600_NS5minusIS5_EEEE10hipError_tPvRmT2_T3_mT4_P12ihipStream_tbEUlT_E_NS1_11comp_targetILNS1_3genE4ELNS1_11target_archE910ELNS1_3gpuE8ELNS1_3repE0EEENS1_30default_config_static_selectorELNS0_4arch9wavefront6targetE1EEEvT1_
    .private_segment_fixed_size: 0
    .sgpr_count:     34
    .sgpr_spill_count: 0
    .symbol:         _ZN7rocprim17ROCPRIM_400000_NS6detail17trampoline_kernelINS0_14default_configENS1_35adjacent_difference_config_selectorILb1E14custom_numericEEZNS1_24adjacent_difference_implIS3_Lb1ELb0EPS5_S8_N6thrust23THRUST_200600_302600_NS5minusIS5_EEEE10hipError_tPvRmT2_T3_mT4_P12ihipStream_tbEUlT_E_NS1_11comp_targetILNS1_3genE4ELNS1_11target_archE910ELNS1_3gpuE8ELNS1_3repE0EEENS1_30default_config_static_selectorELNS0_4arch9wavefront6targetE1EEEvT1_.kd
    .uniform_work_group_size: 1
    .uses_dynamic_stack: false
    .vgpr_count:     16
    .vgpr_spill_count: 0
    .wavefront_size: 64
  - .agpr_count:     0
    .args:
      - .offset:         0
        .size:           56
        .value_kind:     by_value
    .group_segment_fixed_size: 0
    .kernarg_segment_align: 8
    .kernarg_segment_size: 56
    .language:       OpenCL C
    .language_version:
      - 2
      - 0
    .max_flat_workgroup_size: 256
    .name:           _ZN7rocprim17ROCPRIM_400000_NS6detail17trampoline_kernelINS0_14default_configENS1_35adjacent_difference_config_selectorILb1E14custom_numericEEZNS1_24adjacent_difference_implIS3_Lb1ELb0EPS5_S8_N6thrust23THRUST_200600_302600_NS5minusIS5_EEEE10hipError_tPvRmT2_T3_mT4_P12ihipStream_tbEUlT_E_NS1_11comp_targetILNS1_3genE3ELNS1_11target_archE908ELNS1_3gpuE7ELNS1_3repE0EEENS1_30default_config_static_selectorELNS0_4arch9wavefront6targetE1EEEvT1_
    .private_segment_fixed_size: 0
    .sgpr_count:     4
    .sgpr_spill_count: 0
    .symbol:         _ZN7rocprim17ROCPRIM_400000_NS6detail17trampoline_kernelINS0_14default_configENS1_35adjacent_difference_config_selectorILb1E14custom_numericEEZNS1_24adjacent_difference_implIS3_Lb1ELb0EPS5_S8_N6thrust23THRUST_200600_302600_NS5minusIS5_EEEE10hipError_tPvRmT2_T3_mT4_P12ihipStream_tbEUlT_E_NS1_11comp_targetILNS1_3genE3ELNS1_11target_archE908ELNS1_3gpuE7ELNS1_3repE0EEENS1_30default_config_static_selectorELNS0_4arch9wavefront6targetE1EEEvT1_.kd
    .uniform_work_group_size: 1
    .uses_dynamic_stack: false
    .vgpr_count:     0
    .vgpr_spill_count: 0
    .wavefront_size: 64
  - .agpr_count:     0
    .args:
      - .offset:         0
        .size:           56
        .value_kind:     by_value
    .group_segment_fixed_size: 0
    .kernarg_segment_align: 8
    .kernarg_segment_size: 56
    .language:       OpenCL C
    .language_version:
      - 2
      - 0
    .max_flat_workgroup_size: 256
    .name:           _ZN7rocprim17ROCPRIM_400000_NS6detail17trampoline_kernelINS0_14default_configENS1_35adjacent_difference_config_selectorILb1E14custom_numericEEZNS1_24adjacent_difference_implIS3_Lb1ELb0EPS5_S8_N6thrust23THRUST_200600_302600_NS5minusIS5_EEEE10hipError_tPvRmT2_T3_mT4_P12ihipStream_tbEUlT_E_NS1_11comp_targetILNS1_3genE2ELNS1_11target_archE906ELNS1_3gpuE6ELNS1_3repE0EEENS1_30default_config_static_selectorELNS0_4arch9wavefront6targetE1EEEvT1_
    .private_segment_fixed_size: 0
    .sgpr_count:     4
    .sgpr_spill_count: 0
    .symbol:         _ZN7rocprim17ROCPRIM_400000_NS6detail17trampoline_kernelINS0_14default_configENS1_35adjacent_difference_config_selectorILb1E14custom_numericEEZNS1_24adjacent_difference_implIS3_Lb1ELb0EPS5_S8_N6thrust23THRUST_200600_302600_NS5minusIS5_EEEE10hipError_tPvRmT2_T3_mT4_P12ihipStream_tbEUlT_E_NS1_11comp_targetILNS1_3genE2ELNS1_11target_archE906ELNS1_3gpuE6ELNS1_3repE0EEENS1_30default_config_static_selectorELNS0_4arch9wavefront6targetE1EEEvT1_.kd
    .uniform_work_group_size: 1
    .uses_dynamic_stack: false
    .vgpr_count:     0
    .vgpr_spill_count: 0
    .wavefront_size: 64
  - .agpr_count:     0
    .args:
      - .offset:         0
        .size:           56
        .value_kind:     by_value
    .group_segment_fixed_size: 0
    .kernarg_segment_align: 8
    .kernarg_segment_size: 56
    .language:       OpenCL C
    .language_version:
      - 2
      - 0
    .max_flat_workgroup_size: 256
    .name:           _ZN7rocprim17ROCPRIM_400000_NS6detail17trampoline_kernelINS0_14default_configENS1_35adjacent_difference_config_selectorILb1E14custom_numericEEZNS1_24adjacent_difference_implIS3_Lb1ELb0EPS5_S8_N6thrust23THRUST_200600_302600_NS5minusIS5_EEEE10hipError_tPvRmT2_T3_mT4_P12ihipStream_tbEUlT_E_NS1_11comp_targetILNS1_3genE9ELNS1_11target_archE1100ELNS1_3gpuE3ELNS1_3repE0EEENS1_30default_config_static_selectorELNS0_4arch9wavefront6targetE1EEEvT1_
    .private_segment_fixed_size: 0
    .sgpr_count:     4
    .sgpr_spill_count: 0
    .symbol:         _ZN7rocprim17ROCPRIM_400000_NS6detail17trampoline_kernelINS0_14default_configENS1_35adjacent_difference_config_selectorILb1E14custom_numericEEZNS1_24adjacent_difference_implIS3_Lb1ELb0EPS5_S8_N6thrust23THRUST_200600_302600_NS5minusIS5_EEEE10hipError_tPvRmT2_T3_mT4_P12ihipStream_tbEUlT_E_NS1_11comp_targetILNS1_3genE9ELNS1_11target_archE1100ELNS1_3gpuE3ELNS1_3repE0EEENS1_30default_config_static_selectorELNS0_4arch9wavefront6targetE1EEEvT1_.kd
    .uniform_work_group_size: 1
    .uses_dynamic_stack: false
    .vgpr_count:     0
    .vgpr_spill_count: 0
    .wavefront_size: 64
  - .agpr_count:     0
    .args:
      - .offset:         0
        .size:           56
        .value_kind:     by_value
    .group_segment_fixed_size: 0
    .kernarg_segment_align: 8
    .kernarg_segment_size: 56
    .language:       OpenCL C
    .language_version:
      - 2
      - 0
    .max_flat_workgroup_size: 256
    .name:           _ZN7rocprim17ROCPRIM_400000_NS6detail17trampoline_kernelINS0_14default_configENS1_35adjacent_difference_config_selectorILb1E14custom_numericEEZNS1_24adjacent_difference_implIS3_Lb1ELb0EPS5_S8_N6thrust23THRUST_200600_302600_NS5minusIS5_EEEE10hipError_tPvRmT2_T3_mT4_P12ihipStream_tbEUlT_E_NS1_11comp_targetILNS1_3genE8ELNS1_11target_archE1030ELNS1_3gpuE2ELNS1_3repE0EEENS1_30default_config_static_selectorELNS0_4arch9wavefront6targetE1EEEvT1_
    .private_segment_fixed_size: 0
    .sgpr_count:     4
    .sgpr_spill_count: 0
    .symbol:         _ZN7rocprim17ROCPRIM_400000_NS6detail17trampoline_kernelINS0_14default_configENS1_35adjacent_difference_config_selectorILb1E14custom_numericEEZNS1_24adjacent_difference_implIS3_Lb1ELb0EPS5_S8_N6thrust23THRUST_200600_302600_NS5minusIS5_EEEE10hipError_tPvRmT2_T3_mT4_P12ihipStream_tbEUlT_E_NS1_11comp_targetILNS1_3genE8ELNS1_11target_archE1030ELNS1_3gpuE2ELNS1_3repE0EEENS1_30default_config_static_selectorELNS0_4arch9wavefront6targetE1EEEvT1_.kd
    .uniform_work_group_size: 1
    .uses_dynamic_stack: false
    .vgpr_count:     0
    .vgpr_spill_count: 0
    .wavefront_size: 64
  - .agpr_count:     0
    .args:
      - .offset:         0
        .size:           16
        .value_kind:     by_value
      - .offset:         16
        .size:           8
        .value_kind:     by_value
      - .offset:         24
        .size:           8
        .value_kind:     by_value
    .group_segment_fixed_size: 0
    .kernarg_segment_align: 8
    .kernarg_segment_size: 32
    .language:       OpenCL C
    .language_version:
      - 2
      - 0
    .max_flat_workgroup_size: 256
    .name:           _ZN6thrust23THRUST_200600_302600_NS11hip_rocprim14__parallel_for6kernelILj256ENS1_20__uninitialized_copy7functorINS0_10device_ptrI14custom_numericEENS0_7pointerIS7_NS1_3tagENS0_11use_defaultESB_EEEEmLj1EEEvT0_T1_SF_
    .private_segment_fixed_size: 0
    .sgpr_count:     20
    .sgpr_spill_count: 0
    .symbol:         _ZN6thrust23THRUST_200600_302600_NS11hip_rocprim14__parallel_for6kernelILj256ENS1_20__uninitialized_copy7functorINS0_10device_ptrI14custom_numericEENS0_7pointerIS7_NS1_3tagENS0_11use_defaultESB_EEEEmLj1EEEvT0_T1_SF_.kd
    .uniform_work_group_size: 1
    .uses_dynamic_stack: false
    .vgpr_count:     7
    .vgpr_spill_count: 0
    .wavefront_size: 64
  - .agpr_count:     0
    .args:
      - .offset:         0
        .size:           56
        .value_kind:     by_value
    .group_segment_fixed_size: 0
    .kernarg_segment_align: 8
    .kernarg_segment_size: 56
    .language:       OpenCL C
    .language_version:
      - 2
      - 0
    .max_flat_workgroup_size: 256
    .name:           _ZN7rocprim17ROCPRIM_400000_NS6detail17trampoline_kernelINS0_14default_configENS1_35adjacent_difference_config_selectorILb0E14custom_numericEEZNS1_24adjacent_difference_implIS3_Lb0ELb0EPS5_S8_N6thrust23THRUST_200600_302600_NS4plusIS5_EEEE10hipError_tPvRmT2_T3_mT4_P12ihipStream_tbEUlT_E_NS1_11comp_targetILNS1_3genE0ELNS1_11target_archE4294967295ELNS1_3gpuE0ELNS1_3repE0EEENS1_30default_config_static_selectorELNS0_4arch9wavefront6targetE1EEEvT1_
    .private_segment_fixed_size: 0
    .sgpr_count:     4
    .sgpr_spill_count: 0
    .symbol:         _ZN7rocprim17ROCPRIM_400000_NS6detail17trampoline_kernelINS0_14default_configENS1_35adjacent_difference_config_selectorILb0E14custom_numericEEZNS1_24adjacent_difference_implIS3_Lb0ELb0EPS5_S8_N6thrust23THRUST_200600_302600_NS4plusIS5_EEEE10hipError_tPvRmT2_T3_mT4_P12ihipStream_tbEUlT_E_NS1_11comp_targetILNS1_3genE0ELNS1_11target_archE4294967295ELNS1_3gpuE0ELNS1_3repE0EEENS1_30default_config_static_selectorELNS0_4arch9wavefront6targetE1EEEvT1_.kd
    .uniform_work_group_size: 1
    .uses_dynamic_stack: false
    .vgpr_count:     0
    .vgpr_spill_count: 0
    .wavefront_size: 64
  - .agpr_count:     0
    .args:
      - .offset:         0
        .size:           56
        .value_kind:     by_value
    .group_segment_fixed_size: 0
    .kernarg_segment_align: 8
    .kernarg_segment_size: 56
    .language:       OpenCL C
    .language_version:
      - 2
      - 0
    .max_flat_workgroup_size: 256
    .name:           _ZN7rocprim17ROCPRIM_400000_NS6detail17trampoline_kernelINS0_14default_configENS1_35adjacent_difference_config_selectorILb0E14custom_numericEEZNS1_24adjacent_difference_implIS3_Lb0ELb0EPS5_S8_N6thrust23THRUST_200600_302600_NS4plusIS5_EEEE10hipError_tPvRmT2_T3_mT4_P12ihipStream_tbEUlT_E_NS1_11comp_targetILNS1_3genE10ELNS1_11target_archE1201ELNS1_3gpuE5ELNS1_3repE0EEENS1_30default_config_static_selectorELNS0_4arch9wavefront6targetE1EEEvT1_
    .private_segment_fixed_size: 0
    .sgpr_count:     4
    .sgpr_spill_count: 0
    .symbol:         _ZN7rocprim17ROCPRIM_400000_NS6detail17trampoline_kernelINS0_14default_configENS1_35adjacent_difference_config_selectorILb0E14custom_numericEEZNS1_24adjacent_difference_implIS3_Lb0ELb0EPS5_S8_N6thrust23THRUST_200600_302600_NS4plusIS5_EEEE10hipError_tPvRmT2_T3_mT4_P12ihipStream_tbEUlT_E_NS1_11comp_targetILNS1_3genE10ELNS1_11target_archE1201ELNS1_3gpuE5ELNS1_3repE0EEENS1_30default_config_static_selectorELNS0_4arch9wavefront6targetE1EEEvT1_.kd
    .uniform_work_group_size: 1
    .uses_dynamic_stack: false
    .vgpr_count:     0
    .vgpr_spill_count: 0
    .wavefront_size: 64
  - .agpr_count:     0
    .args:
      - .offset:         0
        .size:           56
        .value_kind:     by_value
    .group_segment_fixed_size: 0
    .kernarg_segment_align: 8
    .kernarg_segment_size: 56
    .language:       OpenCL C
    .language_version:
      - 2
      - 0
    .max_flat_workgroup_size: 256
    .name:           _ZN7rocprim17ROCPRIM_400000_NS6detail17trampoline_kernelINS0_14default_configENS1_35adjacent_difference_config_selectorILb0E14custom_numericEEZNS1_24adjacent_difference_implIS3_Lb0ELb0EPS5_S8_N6thrust23THRUST_200600_302600_NS4plusIS5_EEEE10hipError_tPvRmT2_T3_mT4_P12ihipStream_tbEUlT_E_NS1_11comp_targetILNS1_3genE5ELNS1_11target_archE942ELNS1_3gpuE9ELNS1_3repE0EEENS1_30default_config_static_selectorELNS0_4arch9wavefront6targetE1EEEvT1_
    .private_segment_fixed_size: 0
    .sgpr_count:     4
    .sgpr_spill_count: 0
    .symbol:         _ZN7rocprim17ROCPRIM_400000_NS6detail17trampoline_kernelINS0_14default_configENS1_35adjacent_difference_config_selectorILb0E14custom_numericEEZNS1_24adjacent_difference_implIS3_Lb0ELb0EPS5_S8_N6thrust23THRUST_200600_302600_NS4plusIS5_EEEE10hipError_tPvRmT2_T3_mT4_P12ihipStream_tbEUlT_E_NS1_11comp_targetILNS1_3genE5ELNS1_11target_archE942ELNS1_3gpuE9ELNS1_3repE0EEENS1_30default_config_static_selectorELNS0_4arch9wavefront6targetE1EEEvT1_.kd
    .uniform_work_group_size: 1
    .uses_dynamic_stack: false
    .vgpr_count:     0
    .vgpr_spill_count: 0
    .wavefront_size: 64
  - .agpr_count:     0
    .args:
      - .offset:         0
        .size:           56
        .value_kind:     by_value
    .group_segment_fixed_size: 15360
    .kernarg_segment_align: 8
    .kernarg_segment_size: 56
    .language:       OpenCL C
    .language_version:
      - 2
      - 0
    .max_flat_workgroup_size: 256
    .name:           _ZN7rocprim17ROCPRIM_400000_NS6detail17trampoline_kernelINS0_14default_configENS1_35adjacent_difference_config_selectorILb0E14custom_numericEEZNS1_24adjacent_difference_implIS3_Lb0ELb0EPS5_S8_N6thrust23THRUST_200600_302600_NS4plusIS5_EEEE10hipError_tPvRmT2_T3_mT4_P12ihipStream_tbEUlT_E_NS1_11comp_targetILNS1_3genE4ELNS1_11target_archE910ELNS1_3gpuE8ELNS1_3repE0EEENS1_30default_config_static_selectorELNS0_4arch9wavefront6targetE1EEEvT1_
    .private_segment_fixed_size: 0
    .sgpr_count:     30
    .sgpr_spill_count: 0
    .symbol:         _ZN7rocprim17ROCPRIM_400000_NS6detail17trampoline_kernelINS0_14default_configENS1_35adjacent_difference_config_selectorILb0E14custom_numericEEZNS1_24adjacent_difference_implIS3_Lb0ELb0EPS5_S8_N6thrust23THRUST_200600_302600_NS4plusIS5_EEEE10hipError_tPvRmT2_T3_mT4_P12ihipStream_tbEUlT_E_NS1_11comp_targetILNS1_3genE4ELNS1_11target_archE910ELNS1_3gpuE8ELNS1_3repE0EEENS1_30default_config_static_selectorELNS0_4arch9wavefront6targetE1EEEvT1_.kd
    .uniform_work_group_size: 1
    .uses_dynamic_stack: false
    .vgpr_count:     16
    .vgpr_spill_count: 0
    .wavefront_size: 64
  - .agpr_count:     0
    .args:
      - .offset:         0
        .size:           56
        .value_kind:     by_value
    .group_segment_fixed_size: 0
    .kernarg_segment_align: 8
    .kernarg_segment_size: 56
    .language:       OpenCL C
    .language_version:
      - 2
      - 0
    .max_flat_workgroup_size: 256
    .name:           _ZN7rocprim17ROCPRIM_400000_NS6detail17trampoline_kernelINS0_14default_configENS1_35adjacent_difference_config_selectorILb0E14custom_numericEEZNS1_24adjacent_difference_implIS3_Lb0ELb0EPS5_S8_N6thrust23THRUST_200600_302600_NS4plusIS5_EEEE10hipError_tPvRmT2_T3_mT4_P12ihipStream_tbEUlT_E_NS1_11comp_targetILNS1_3genE3ELNS1_11target_archE908ELNS1_3gpuE7ELNS1_3repE0EEENS1_30default_config_static_selectorELNS0_4arch9wavefront6targetE1EEEvT1_
    .private_segment_fixed_size: 0
    .sgpr_count:     4
    .sgpr_spill_count: 0
    .symbol:         _ZN7rocprim17ROCPRIM_400000_NS6detail17trampoline_kernelINS0_14default_configENS1_35adjacent_difference_config_selectorILb0E14custom_numericEEZNS1_24adjacent_difference_implIS3_Lb0ELb0EPS5_S8_N6thrust23THRUST_200600_302600_NS4plusIS5_EEEE10hipError_tPvRmT2_T3_mT4_P12ihipStream_tbEUlT_E_NS1_11comp_targetILNS1_3genE3ELNS1_11target_archE908ELNS1_3gpuE7ELNS1_3repE0EEENS1_30default_config_static_selectorELNS0_4arch9wavefront6targetE1EEEvT1_.kd
    .uniform_work_group_size: 1
    .uses_dynamic_stack: false
    .vgpr_count:     0
    .vgpr_spill_count: 0
    .wavefront_size: 64
  - .agpr_count:     0
    .args:
      - .offset:         0
        .size:           56
        .value_kind:     by_value
    .group_segment_fixed_size: 0
    .kernarg_segment_align: 8
    .kernarg_segment_size: 56
    .language:       OpenCL C
    .language_version:
      - 2
      - 0
    .max_flat_workgroup_size: 256
    .name:           _ZN7rocprim17ROCPRIM_400000_NS6detail17trampoline_kernelINS0_14default_configENS1_35adjacent_difference_config_selectorILb0E14custom_numericEEZNS1_24adjacent_difference_implIS3_Lb0ELb0EPS5_S8_N6thrust23THRUST_200600_302600_NS4plusIS5_EEEE10hipError_tPvRmT2_T3_mT4_P12ihipStream_tbEUlT_E_NS1_11comp_targetILNS1_3genE2ELNS1_11target_archE906ELNS1_3gpuE6ELNS1_3repE0EEENS1_30default_config_static_selectorELNS0_4arch9wavefront6targetE1EEEvT1_
    .private_segment_fixed_size: 0
    .sgpr_count:     4
    .sgpr_spill_count: 0
    .symbol:         _ZN7rocprim17ROCPRIM_400000_NS6detail17trampoline_kernelINS0_14default_configENS1_35adjacent_difference_config_selectorILb0E14custom_numericEEZNS1_24adjacent_difference_implIS3_Lb0ELb0EPS5_S8_N6thrust23THRUST_200600_302600_NS4plusIS5_EEEE10hipError_tPvRmT2_T3_mT4_P12ihipStream_tbEUlT_E_NS1_11comp_targetILNS1_3genE2ELNS1_11target_archE906ELNS1_3gpuE6ELNS1_3repE0EEENS1_30default_config_static_selectorELNS0_4arch9wavefront6targetE1EEEvT1_.kd
    .uniform_work_group_size: 1
    .uses_dynamic_stack: false
    .vgpr_count:     0
    .vgpr_spill_count: 0
    .wavefront_size: 64
  - .agpr_count:     0
    .args:
      - .offset:         0
        .size:           56
        .value_kind:     by_value
    .group_segment_fixed_size: 0
    .kernarg_segment_align: 8
    .kernarg_segment_size: 56
    .language:       OpenCL C
    .language_version:
      - 2
      - 0
    .max_flat_workgroup_size: 256
    .name:           _ZN7rocprim17ROCPRIM_400000_NS6detail17trampoline_kernelINS0_14default_configENS1_35adjacent_difference_config_selectorILb0E14custom_numericEEZNS1_24adjacent_difference_implIS3_Lb0ELb0EPS5_S8_N6thrust23THRUST_200600_302600_NS4plusIS5_EEEE10hipError_tPvRmT2_T3_mT4_P12ihipStream_tbEUlT_E_NS1_11comp_targetILNS1_3genE9ELNS1_11target_archE1100ELNS1_3gpuE3ELNS1_3repE0EEENS1_30default_config_static_selectorELNS0_4arch9wavefront6targetE1EEEvT1_
    .private_segment_fixed_size: 0
    .sgpr_count:     4
    .sgpr_spill_count: 0
    .symbol:         _ZN7rocprim17ROCPRIM_400000_NS6detail17trampoline_kernelINS0_14default_configENS1_35adjacent_difference_config_selectorILb0E14custom_numericEEZNS1_24adjacent_difference_implIS3_Lb0ELb0EPS5_S8_N6thrust23THRUST_200600_302600_NS4plusIS5_EEEE10hipError_tPvRmT2_T3_mT4_P12ihipStream_tbEUlT_E_NS1_11comp_targetILNS1_3genE9ELNS1_11target_archE1100ELNS1_3gpuE3ELNS1_3repE0EEENS1_30default_config_static_selectorELNS0_4arch9wavefront6targetE1EEEvT1_.kd
    .uniform_work_group_size: 1
    .uses_dynamic_stack: false
    .vgpr_count:     0
    .vgpr_spill_count: 0
    .wavefront_size: 64
  - .agpr_count:     0
    .args:
      - .offset:         0
        .size:           56
        .value_kind:     by_value
    .group_segment_fixed_size: 0
    .kernarg_segment_align: 8
    .kernarg_segment_size: 56
    .language:       OpenCL C
    .language_version:
      - 2
      - 0
    .max_flat_workgroup_size: 256
    .name:           _ZN7rocprim17ROCPRIM_400000_NS6detail17trampoline_kernelINS0_14default_configENS1_35adjacent_difference_config_selectorILb0E14custom_numericEEZNS1_24adjacent_difference_implIS3_Lb0ELb0EPS5_S8_N6thrust23THRUST_200600_302600_NS4plusIS5_EEEE10hipError_tPvRmT2_T3_mT4_P12ihipStream_tbEUlT_E_NS1_11comp_targetILNS1_3genE8ELNS1_11target_archE1030ELNS1_3gpuE2ELNS1_3repE0EEENS1_30default_config_static_selectorELNS0_4arch9wavefront6targetE1EEEvT1_
    .private_segment_fixed_size: 0
    .sgpr_count:     4
    .sgpr_spill_count: 0
    .symbol:         _ZN7rocprim17ROCPRIM_400000_NS6detail17trampoline_kernelINS0_14default_configENS1_35adjacent_difference_config_selectorILb0E14custom_numericEEZNS1_24adjacent_difference_implIS3_Lb0ELb0EPS5_S8_N6thrust23THRUST_200600_302600_NS4plusIS5_EEEE10hipError_tPvRmT2_T3_mT4_P12ihipStream_tbEUlT_E_NS1_11comp_targetILNS1_3genE8ELNS1_11target_archE1030ELNS1_3gpuE2ELNS1_3repE0EEENS1_30default_config_static_selectorELNS0_4arch9wavefront6targetE1EEEvT1_.kd
    .uniform_work_group_size: 1
    .uses_dynamic_stack: false
    .vgpr_count:     0
    .vgpr_spill_count: 0
    .wavefront_size: 64
  - .agpr_count:     0
    .args:
      - .offset:         0
        .size:           56
        .value_kind:     by_value
    .group_segment_fixed_size: 0
    .kernarg_segment_align: 8
    .kernarg_segment_size: 56
    .language:       OpenCL C
    .language_version:
      - 2
      - 0
    .max_flat_workgroup_size: 256
    .name:           _ZN7rocprim17ROCPRIM_400000_NS6detail17trampoline_kernelINS0_14default_configENS1_25transform_config_selectorI14custom_numericLb0EEEZNS1_14transform_implILb0ES3_S6_NS0_18transform_iteratorINS0_17counting_iteratorImlEEZNS1_24adjacent_difference_implIS3_Lb1ELb0EPS5_SC_N6thrust23THRUST_200600_302600_NS4plusIS5_EEEE10hipError_tPvRmT2_T3_mT4_P12ihipStream_tbEUlmE_S5_EESC_NS0_8identityIvEEEESH_SK_SL_mSM_SO_bEUlT_E_NS1_11comp_targetILNS1_3genE0ELNS1_11target_archE4294967295ELNS1_3gpuE0ELNS1_3repE0EEENS1_30default_config_static_selectorELNS0_4arch9wavefront6targetE1EEEvT1_
    .private_segment_fixed_size: 0
    .sgpr_count:     4
    .sgpr_spill_count: 0
    .symbol:         _ZN7rocprim17ROCPRIM_400000_NS6detail17trampoline_kernelINS0_14default_configENS1_25transform_config_selectorI14custom_numericLb0EEEZNS1_14transform_implILb0ES3_S6_NS0_18transform_iteratorINS0_17counting_iteratorImlEEZNS1_24adjacent_difference_implIS3_Lb1ELb0EPS5_SC_N6thrust23THRUST_200600_302600_NS4plusIS5_EEEE10hipError_tPvRmT2_T3_mT4_P12ihipStream_tbEUlmE_S5_EESC_NS0_8identityIvEEEESH_SK_SL_mSM_SO_bEUlT_E_NS1_11comp_targetILNS1_3genE0ELNS1_11target_archE4294967295ELNS1_3gpuE0ELNS1_3repE0EEENS1_30default_config_static_selectorELNS0_4arch9wavefront6targetE1EEEvT1_.kd
    .uniform_work_group_size: 1
    .uses_dynamic_stack: false
    .vgpr_count:     0
    .vgpr_spill_count: 0
    .wavefront_size: 64
  - .agpr_count:     0
    .args:
      - .offset:         0
        .size:           56
        .value_kind:     by_value
    .group_segment_fixed_size: 0
    .kernarg_segment_align: 8
    .kernarg_segment_size: 56
    .language:       OpenCL C
    .language_version:
      - 2
      - 0
    .max_flat_workgroup_size: 256
    .name:           _ZN7rocprim17ROCPRIM_400000_NS6detail17trampoline_kernelINS0_14default_configENS1_25transform_config_selectorI14custom_numericLb0EEEZNS1_14transform_implILb0ES3_S6_NS0_18transform_iteratorINS0_17counting_iteratorImlEEZNS1_24adjacent_difference_implIS3_Lb1ELb0EPS5_SC_N6thrust23THRUST_200600_302600_NS4plusIS5_EEEE10hipError_tPvRmT2_T3_mT4_P12ihipStream_tbEUlmE_S5_EESC_NS0_8identityIvEEEESH_SK_SL_mSM_SO_bEUlT_E_NS1_11comp_targetILNS1_3genE5ELNS1_11target_archE942ELNS1_3gpuE9ELNS1_3repE0EEENS1_30default_config_static_selectorELNS0_4arch9wavefront6targetE1EEEvT1_
    .private_segment_fixed_size: 0
    .sgpr_count:     4
    .sgpr_spill_count: 0
    .symbol:         _ZN7rocprim17ROCPRIM_400000_NS6detail17trampoline_kernelINS0_14default_configENS1_25transform_config_selectorI14custom_numericLb0EEEZNS1_14transform_implILb0ES3_S6_NS0_18transform_iteratorINS0_17counting_iteratorImlEEZNS1_24adjacent_difference_implIS3_Lb1ELb0EPS5_SC_N6thrust23THRUST_200600_302600_NS4plusIS5_EEEE10hipError_tPvRmT2_T3_mT4_P12ihipStream_tbEUlmE_S5_EESC_NS0_8identityIvEEEESH_SK_SL_mSM_SO_bEUlT_E_NS1_11comp_targetILNS1_3genE5ELNS1_11target_archE942ELNS1_3gpuE9ELNS1_3repE0EEENS1_30default_config_static_selectorELNS0_4arch9wavefront6targetE1EEEvT1_.kd
    .uniform_work_group_size: 1
    .uses_dynamic_stack: false
    .vgpr_count:     0
    .vgpr_spill_count: 0
    .wavefront_size: 64
  - .agpr_count:     0
    .args:
      - .offset:         0
        .size:           56
        .value_kind:     by_value
      - .offset:         56
        .size:           4
        .value_kind:     hidden_block_count_x
      - .offset:         60
        .size:           4
        .value_kind:     hidden_block_count_y
      - .offset:         64
        .size:           4
        .value_kind:     hidden_block_count_z
      - .offset:         68
        .size:           2
        .value_kind:     hidden_group_size_x
      - .offset:         70
        .size:           2
        .value_kind:     hidden_group_size_y
      - .offset:         72
        .size:           2
        .value_kind:     hidden_group_size_z
      - .offset:         74
        .size:           2
        .value_kind:     hidden_remainder_x
      - .offset:         76
        .size:           2
        .value_kind:     hidden_remainder_y
      - .offset:         78
        .size:           2
        .value_kind:     hidden_remainder_z
      - .offset:         96
        .size:           8
        .value_kind:     hidden_global_offset_x
      - .offset:         104
        .size:           8
        .value_kind:     hidden_global_offset_y
      - .offset:         112
        .size:           8
        .value_kind:     hidden_global_offset_z
      - .offset:         120
        .size:           2
        .value_kind:     hidden_grid_dims
    .group_segment_fixed_size: 0
    .kernarg_segment_align: 8
    .kernarg_segment_size: 312
    .language:       OpenCL C
    .language_version:
      - 2
      - 0
    .max_flat_workgroup_size: 256
    .name:           _ZN7rocprim17ROCPRIM_400000_NS6detail17trampoline_kernelINS0_14default_configENS1_25transform_config_selectorI14custom_numericLb0EEEZNS1_14transform_implILb0ES3_S6_NS0_18transform_iteratorINS0_17counting_iteratorImlEEZNS1_24adjacent_difference_implIS3_Lb1ELb0EPS5_SC_N6thrust23THRUST_200600_302600_NS4plusIS5_EEEE10hipError_tPvRmT2_T3_mT4_P12ihipStream_tbEUlmE_S5_EESC_NS0_8identityIvEEEESH_SK_SL_mSM_SO_bEUlT_E_NS1_11comp_targetILNS1_3genE4ELNS1_11target_archE910ELNS1_3gpuE8ELNS1_3repE0EEENS1_30default_config_static_selectorELNS0_4arch9wavefront6targetE1EEEvT1_
    .private_segment_fixed_size: 0
    .sgpr_count:     21
    .sgpr_spill_count: 0
    .symbol:         _ZN7rocprim17ROCPRIM_400000_NS6detail17trampoline_kernelINS0_14default_configENS1_25transform_config_selectorI14custom_numericLb0EEEZNS1_14transform_implILb0ES3_S6_NS0_18transform_iteratorINS0_17counting_iteratorImlEEZNS1_24adjacent_difference_implIS3_Lb1ELb0EPS5_SC_N6thrust23THRUST_200600_302600_NS4plusIS5_EEEE10hipError_tPvRmT2_T3_mT4_P12ihipStream_tbEUlmE_S5_EESC_NS0_8identityIvEEEESH_SK_SL_mSM_SO_bEUlT_E_NS1_11comp_targetILNS1_3genE4ELNS1_11target_archE910ELNS1_3gpuE8ELNS1_3repE0EEENS1_30default_config_static_selectorELNS0_4arch9wavefront6targetE1EEEvT1_.kd
    .uniform_work_group_size: 1
    .uses_dynamic_stack: false
    .vgpr_count:     16
    .vgpr_spill_count: 0
    .wavefront_size: 64
  - .agpr_count:     0
    .args:
      - .offset:         0
        .size:           56
        .value_kind:     by_value
    .group_segment_fixed_size: 0
    .kernarg_segment_align: 8
    .kernarg_segment_size: 56
    .language:       OpenCL C
    .language_version:
      - 2
      - 0
    .max_flat_workgroup_size: 256
    .name:           _ZN7rocprim17ROCPRIM_400000_NS6detail17trampoline_kernelINS0_14default_configENS1_25transform_config_selectorI14custom_numericLb0EEEZNS1_14transform_implILb0ES3_S6_NS0_18transform_iteratorINS0_17counting_iteratorImlEEZNS1_24adjacent_difference_implIS3_Lb1ELb0EPS5_SC_N6thrust23THRUST_200600_302600_NS4plusIS5_EEEE10hipError_tPvRmT2_T3_mT4_P12ihipStream_tbEUlmE_S5_EESC_NS0_8identityIvEEEESH_SK_SL_mSM_SO_bEUlT_E_NS1_11comp_targetILNS1_3genE3ELNS1_11target_archE908ELNS1_3gpuE7ELNS1_3repE0EEENS1_30default_config_static_selectorELNS0_4arch9wavefront6targetE1EEEvT1_
    .private_segment_fixed_size: 0
    .sgpr_count:     4
    .sgpr_spill_count: 0
    .symbol:         _ZN7rocprim17ROCPRIM_400000_NS6detail17trampoline_kernelINS0_14default_configENS1_25transform_config_selectorI14custom_numericLb0EEEZNS1_14transform_implILb0ES3_S6_NS0_18transform_iteratorINS0_17counting_iteratorImlEEZNS1_24adjacent_difference_implIS3_Lb1ELb0EPS5_SC_N6thrust23THRUST_200600_302600_NS4plusIS5_EEEE10hipError_tPvRmT2_T3_mT4_P12ihipStream_tbEUlmE_S5_EESC_NS0_8identityIvEEEESH_SK_SL_mSM_SO_bEUlT_E_NS1_11comp_targetILNS1_3genE3ELNS1_11target_archE908ELNS1_3gpuE7ELNS1_3repE0EEENS1_30default_config_static_selectorELNS0_4arch9wavefront6targetE1EEEvT1_.kd
    .uniform_work_group_size: 1
    .uses_dynamic_stack: false
    .vgpr_count:     0
    .vgpr_spill_count: 0
    .wavefront_size: 64
  - .agpr_count:     0
    .args:
      - .offset:         0
        .size:           56
        .value_kind:     by_value
    .group_segment_fixed_size: 0
    .kernarg_segment_align: 8
    .kernarg_segment_size: 56
    .language:       OpenCL C
    .language_version:
      - 2
      - 0
    .max_flat_workgroup_size: 256
    .name:           _ZN7rocprim17ROCPRIM_400000_NS6detail17trampoline_kernelINS0_14default_configENS1_25transform_config_selectorI14custom_numericLb0EEEZNS1_14transform_implILb0ES3_S6_NS0_18transform_iteratorINS0_17counting_iteratorImlEEZNS1_24adjacent_difference_implIS3_Lb1ELb0EPS5_SC_N6thrust23THRUST_200600_302600_NS4plusIS5_EEEE10hipError_tPvRmT2_T3_mT4_P12ihipStream_tbEUlmE_S5_EESC_NS0_8identityIvEEEESH_SK_SL_mSM_SO_bEUlT_E_NS1_11comp_targetILNS1_3genE2ELNS1_11target_archE906ELNS1_3gpuE6ELNS1_3repE0EEENS1_30default_config_static_selectorELNS0_4arch9wavefront6targetE1EEEvT1_
    .private_segment_fixed_size: 0
    .sgpr_count:     4
    .sgpr_spill_count: 0
    .symbol:         _ZN7rocprim17ROCPRIM_400000_NS6detail17trampoline_kernelINS0_14default_configENS1_25transform_config_selectorI14custom_numericLb0EEEZNS1_14transform_implILb0ES3_S6_NS0_18transform_iteratorINS0_17counting_iteratorImlEEZNS1_24adjacent_difference_implIS3_Lb1ELb0EPS5_SC_N6thrust23THRUST_200600_302600_NS4plusIS5_EEEE10hipError_tPvRmT2_T3_mT4_P12ihipStream_tbEUlmE_S5_EESC_NS0_8identityIvEEEESH_SK_SL_mSM_SO_bEUlT_E_NS1_11comp_targetILNS1_3genE2ELNS1_11target_archE906ELNS1_3gpuE6ELNS1_3repE0EEENS1_30default_config_static_selectorELNS0_4arch9wavefront6targetE1EEEvT1_.kd
    .uniform_work_group_size: 1
    .uses_dynamic_stack: false
    .vgpr_count:     0
    .vgpr_spill_count: 0
    .wavefront_size: 64
  - .agpr_count:     0
    .args:
      - .offset:         0
        .size:           56
        .value_kind:     by_value
    .group_segment_fixed_size: 0
    .kernarg_segment_align: 8
    .kernarg_segment_size: 56
    .language:       OpenCL C
    .language_version:
      - 2
      - 0
    .max_flat_workgroup_size: 256
    .name:           _ZN7rocprim17ROCPRIM_400000_NS6detail17trampoline_kernelINS0_14default_configENS1_25transform_config_selectorI14custom_numericLb0EEEZNS1_14transform_implILb0ES3_S6_NS0_18transform_iteratorINS0_17counting_iteratorImlEEZNS1_24adjacent_difference_implIS3_Lb1ELb0EPS5_SC_N6thrust23THRUST_200600_302600_NS4plusIS5_EEEE10hipError_tPvRmT2_T3_mT4_P12ihipStream_tbEUlmE_S5_EESC_NS0_8identityIvEEEESH_SK_SL_mSM_SO_bEUlT_E_NS1_11comp_targetILNS1_3genE10ELNS1_11target_archE1201ELNS1_3gpuE5ELNS1_3repE0EEENS1_30default_config_static_selectorELNS0_4arch9wavefront6targetE1EEEvT1_
    .private_segment_fixed_size: 0
    .sgpr_count:     4
    .sgpr_spill_count: 0
    .symbol:         _ZN7rocprim17ROCPRIM_400000_NS6detail17trampoline_kernelINS0_14default_configENS1_25transform_config_selectorI14custom_numericLb0EEEZNS1_14transform_implILb0ES3_S6_NS0_18transform_iteratorINS0_17counting_iteratorImlEEZNS1_24adjacent_difference_implIS3_Lb1ELb0EPS5_SC_N6thrust23THRUST_200600_302600_NS4plusIS5_EEEE10hipError_tPvRmT2_T3_mT4_P12ihipStream_tbEUlmE_S5_EESC_NS0_8identityIvEEEESH_SK_SL_mSM_SO_bEUlT_E_NS1_11comp_targetILNS1_3genE10ELNS1_11target_archE1201ELNS1_3gpuE5ELNS1_3repE0EEENS1_30default_config_static_selectorELNS0_4arch9wavefront6targetE1EEEvT1_.kd
    .uniform_work_group_size: 1
    .uses_dynamic_stack: false
    .vgpr_count:     0
    .vgpr_spill_count: 0
    .wavefront_size: 64
  - .agpr_count:     0
    .args:
      - .offset:         0
        .size:           56
        .value_kind:     by_value
    .group_segment_fixed_size: 0
    .kernarg_segment_align: 8
    .kernarg_segment_size: 56
    .language:       OpenCL C
    .language_version:
      - 2
      - 0
    .max_flat_workgroup_size: 256
    .name:           _ZN7rocprim17ROCPRIM_400000_NS6detail17trampoline_kernelINS0_14default_configENS1_25transform_config_selectorI14custom_numericLb0EEEZNS1_14transform_implILb0ES3_S6_NS0_18transform_iteratorINS0_17counting_iteratorImlEEZNS1_24adjacent_difference_implIS3_Lb1ELb0EPS5_SC_N6thrust23THRUST_200600_302600_NS4plusIS5_EEEE10hipError_tPvRmT2_T3_mT4_P12ihipStream_tbEUlmE_S5_EESC_NS0_8identityIvEEEESH_SK_SL_mSM_SO_bEUlT_E_NS1_11comp_targetILNS1_3genE10ELNS1_11target_archE1200ELNS1_3gpuE4ELNS1_3repE0EEENS1_30default_config_static_selectorELNS0_4arch9wavefront6targetE1EEEvT1_
    .private_segment_fixed_size: 0
    .sgpr_count:     4
    .sgpr_spill_count: 0
    .symbol:         _ZN7rocprim17ROCPRIM_400000_NS6detail17trampoline_kernelINS0_14default_configENS1_25transform_config_selectorI14custom_numericLb0EEEZNS1_14transform_implILb0ES3_S6_NS0_18transform_iteratorINS0_17counting_iteratorImlEEZNS1_24adjacent_difference_implIS3_Lb1ELb0EPS5_SC_N6thrust23THRUST_200600_302600_NS4plusIS5_EEEE10hipError_tPvRmT2_T3_mT4_P12ihipStream_tbEUlmE_S5_EESC_NS0_8identityIvEEEESH_SK_SL_mSM_SO_bEUlT_E_NS1_11comp_targetILNS1_3genE10ELNS1_11target_archE1200ELNS1_3gpuE4ELNS1_3repE0EEENS1_30default_config_static_selectorELNS0_4arch9wavefront6targetE1EEEvT1_.kd
    .uniform_work_group_size: 1
    .uses_dynamic_stack: false
    .vgpr_count:     0
    .vgpr_spill_count: 0
    .wavefront_size: 64
  - .agpr_count:     0
    .args:
      - .offset:         0
        .size:           56
        .value_kind:     by_value
    .group_segment_fixed_size: 0
    .kernarg_segment_align: 8
    .kernarg_segment_size: 56
    .language:       OpenCL C
    .language_version:
      - 2
      - 0
    .max_flat_workgroup_size: 256
    .name:           _ZN7rocprim17ROCPRIM_400000_NS6detail17trampoline_kernelINS0_14default_configENS1_25transform_config_selectorI14custom_numericLb0EEEZNS1_14transform_implILb0ES3_S6_NS0_18transform_iteratorINS0_17counting_iteratorImlEEZNS1_24adjacent_difference_implIS3_Lb1ELb0EPS5_SC_N6thrust23THRUST_200600_302600_NS4plusIS5_EEEE10hipError_tPvRmT2_T3_mT4_P12ihipStream_tbEUlmE_S5_EESC_NS0_8identityIvEEEESH_SK_SL_mSM_SO_bEUlT_E_NS1_11comp_targetILNS1_3genE9ELNS1_11target_archE1100ELNS1_3gpuE3ELNS1_3repE0EEENS1_30default_config_static_selectorELNS0_4arch9wavefront6targetE1EEEvT1_
    .private_segment_fixed_size: 0
    .sgpr_count:     4
    .sgpr_spill_count: 0
    .symbol:         _ZN7rocprim17ROCPRIM_400000_NS6detail17trampoline_kernelINS0_14default_configENS1_25transform_config_selectorI14custom_numericLb0EEEZNS1_14transform_implILb0ES3_S6_NS0_18transform_iteratorINS0_17counting_iteratorImlEEZNS1_24adjacent_difference_implIS3_Lb1ELb0EPS5_SC_N6thrust23THRUST_200600_302600_NS4plusIS5_EEEE10hipError_tPvRmT2_T3_mT4_P12ihipStream_tbEUlmE_S5_EESC_NS0_8identityIvEEEESH_SK_SL_mSM_SO_bEUlT_E_NS1_11comp_targetILNS1_3genE9ELNS1_11target_archE1100ELNS1_3gpuE3ELNS1_3repE0EEENS1_30default_config_static_selectorELNS0_4arch9wavefront6targetE1EEEvT1_.kd
    .uniform_work_group_size: 1
    .uses_dynamic_stack: false
    .vgpr_count:     0
    .vgpr_spill_count: 0
    .wavefront_size: 64
  - .agpr_count:     0
    .args:
      - .offset:         0
        .size:           56
        .value_kind:     by_value
    .group_segment_fixed_size: 0
    .kernarg_segment_align: 8
    .kernarg_segment_size: 56
    .language:       OpenCL C
    .language_version:
      - 2
      - 0
    .max_flat_workgroup_size: 256
    .name:           _ZN7rocprim17ROCPRIM_400000_NS6detail17trampoline_kernelINS0_14default_configENS1_25transform_config_selectorI14custom_numericLb0EEEZNS1_14transform_implILb0ES3_S6_NS0_18transform_iteratorINS0_17counting_iteratorImlEEZNS1_24adjacent_difference_implIS3_Lb1ELb0EPS5_SC_N6thrust23THRUST_200600_302600_NS4plusIS5_EEEE10hipError_tPvRmT2_T3_mT4_P12ihipStream_tbEUlmE_S5_EESC_NS0_8identityIvEEEESH_SK_SL_mSM_SO_bEUlT_E_NS1_11comp_targetILNS1_3genE8ELNS1_11target_archE1030ELNS1_3gpuE2ELNS1_3repE0EEENS1_30default_config_static_selectorELNS0_4arch9wavefront6targetE1EEEvT1_
    .private_segment_fixed_size: 0
    .sgpr_count:     4
    .sgpr_spill_count: 0
    .symbol:         _ZN7rocprim17ROCPRIM_400000_NS6detail17trampoline_kernelINS0_14default_configENS1_25transform_config_selectorI14custom_numericLb0EEEZNS1_14transform_implILb0ES3_S6_NS0_18transform_iteratorINS0_17counting_iteratorImlEEZNS1_24adjacent_difference_implIS3_Lb1ELb0EPS5_SC_N6thrust23THRUST_200600_302600_NS4plusIS5_EEEE10hipError_tPvRmT2_T3_mT4_P12ihipStream_tbEUlmE_S5_EESC_NS0_8identityIvEEEESH_SK_SL_mSM_SO_bEUlT_E_NS1_11comp_targetILNS1_3genE8ELNS1_11target_archE1030ELNS1_3gpuE2ELNS1_3repE0EEENS1_30default_config_static_selectorELNS0_4arch9wavefront6targetE1EEEvT1_.kd
    .uniform_work_group_size: 1
    .uses_dynamic_stack: false
    .vgpr_count:     0
    .vgpr_spill_count: 0
    .wavefront_size: 64
  - .agpr_count:     0
    .args:
      - .offset:         0
        .size:           56
        .value_kind:     by_value
    .group_segment_fixed_size: 0
    .kernarg_segment_align: 8
    .kernarg_segment_size: 56
    .language:       OpenCL C
    .language_version:
      - 2
      - 0
    .max_flat_workgroup_size: 256
    .name:           _ZN7rocprim17ROCPRIM_400000_NS6detail17trampoline_kernelINS0_14default_configENS1_35adjacent_difference_config_selectorILb1E14custom_numericEEZNS1_24adjacent_difference_implIS3_Lb1ELb0EPS5_S8_N6thrust23THRUST_200600_302600_NS4plusIS5_EEEE10hipError_tPvRmT2_T3_mT4_P12ihipStream_tbEUlT_E_NS1_11comp_targetILNS1_3genE0ELNS1_11target_archE4294967295ELNS1_3gpuE0ELNS1_3repE0EEENS1_30default_config_static_selectorELNS0_4arch9wavefront6targetE1EEEvT1_
    .private_segment_fixed_size: 0
    .sgpr_count:     4
    .sgpr_spill_count: 0
    .symbol:         _ZN7rocprim17ROCPRIM_400000_NS6detail17trampoline_kernelINS0_14default_configENS1_35adjacent_difference_config_selectorILb1E14custom_numericEEZNS1_24adjacent_difference_implIS3_Lb1ELb0EPS5_S8_N6thrust23THRUST_200600_302600_NS4plusIS5_EEEE10hipError_tPvRmT2_T3_mT4_P12ihipStream_tbEUlT_E_NS1_11comp_targetILNS1_3genE0ELNS1_11target_archE4294967295ELNS1_3gpuE0ELNS1_3repE0EEENS1_30default_config_static_selectorELNS0_4arch9wavefront6targetE1EEEvT1_.kd
    .uniform_work_group_size: 1
    .uses_dynamic_stack: false
    .vgpr_count:     0
    .vgpr_spill_count: 0
    .wavefront_size: 64
  - .agpr_count:     0
    .args:
      - .offset:         0
        .size:           56
        .value_kind:     by_value
    .group_segment_fixed_size: 0
    .kernarg_segment_align: 8
    .kernarg_segment_size: 56
    .language:       OpenCL C
    .language_version:
      - 2
      - 0
    .max_flat_workgroup_size: 256
    .name:           _ZN7rocprim17ROCPRIM_400000_NS6detail17trampoline_kernelINS0_14default_configENS1_35adjacent_difference_config_selectorILb1E14custom_numericEEZNS1_24adjacent_difference_implIS3_Lb1ELb0EPS5_S8_N6thrust23THRUST_200600_302600_NS4plusIS5_EEEE10hipError_tPvRmT2_T3_mT4_P12ihipStream_tbEUlT_E_NS1_11comp_targetILNS1_3genE10ELNS1_11target_archE1201ELNS1_3gpuE5ELNS1_3repE0EEENS1_30default_config_static_selectorELNS0_4arch9wavefront6targetE1EEEvT1_
    .private_segment_fixed_size: 0
    .sgpr_count:     4
    .sgpr_spill_count: 0
    .symbol:         _ZN7rocprim17ROCPRIM_400000_NS6detail17trampoline_kernelINS0_14default_configENS1_35adjacent_difference_config_selectorILb1E14custom_numericEEZNS1_24adjacent_difference_implIS3_Lb1ELb0EPS5_S8_N6thrust23THRUST_200600_302600_NS4plusIS5_EEEE10hipError_tPvRmT2_T3_mT4_P12ihipStream_tbEUlT_E_NS1_11comp_targetILNS1_3genE10ELNS1_11target_archE1201ELNS1_3gpuE5ELNS1_3repE0EEENS1_30default_config_static_selectorELNS0_4arch9wavefront6targetE1EEEvT1_.kd
    .uniform_work_group_size: 1
    .uses_dynamic_stack: false
    .vgpr_count:     0
    .vgpr_spill_count: 0
    .wavefront_size: 64
  - .agpr_count:     0
    .args:
      - .offset:         0
        .size:           56
        .value_kind:     by_value
    .group_segment_fixed_size: 0
    .kernarg_segment_align: 8
    .kernarg_segment_size: 56
    .language:       OpenCL C
    .language_version:
      - 2
      - 0
    .max_flat_workgroup_size: 256
    .name:           _ZN7rocprim17ROCPRIM_400000_NS6detail17trampoline_kernelINS0_14default_configENS1_35adjacent_difference_config_selectorILb1E14custom_numericEEZNS1_24adjacent_difference_implIS3_Lb1ELb0EPS5_S8_N6thrust23THRUST_200600_302600_NS4plusIS5_EEEE10hipError_tPvRmT2_T3_mT4_P12ihipStream_tbEUlT_E_NS1_11comp_targetILNS1_3genE5ELNS1_11target_archE942ELNS1_3gpuE9ELNS1_3repE0EEENS1_30default_config_static_selectorELNS0_4arch9wavefront6targetE1EEEvT1_
    .private_segment_fixed_size: 0
    .sgpr_count:     4
    .sgpr_spill_count: 0
    .symbol:         _ZN7rocprim17ROCPRIM_400000_NS6detail17trampoline_kernelINS0_14default_configENS1_35adjacent_difference_config_selectorILb1E14custom_numericEEZNS1_24adjacent_difference_implIS3_Lb1ELb0EPS5_S8_N6thrust23THRUST_200600_302600_NS4plusIS5_EEEE10hipError_tPvRmT2_T3_mT4_P12ihipStream_tbEUlT_E_NS1_11comp_targetILNS1_3genE5ELNS1_11target_archE942ELNS1_3gpuE9ELNS1_3repE0EEENS1_30default_config_static_selectorELNS0_4arch9wavefront6targetE1EEEvT1_.kd
    .uniform_work_group_size: 1
    .uses_dynamic_stack: false
    .vgpr_count:     0
    .vgpr_spill_count: 0
    .wavefront_size: 64
  - .agpr_count:     0
    .args:
      - .offset:         0
        .size:           56
        .value_kind:     by_value
    .group_segment_fixed_size: 15360
    .kernarg_segment_align: 8
    .kernarg_segment_size: 56
    .language:       OpenCL C
    .language_version:
      - 2
      - 0
    .max_flat_workgroup_size: 256
    .name:           _ZN7rocprim17ROCPRIM_400000_NS6detail17trampoline_kernelINS0_14default_configENS1_35adjacent_difference_config_selectorILb1E14custom_numericEEZNS1_24adjacent_difference_implIS3_Lb1ELb0EPS5_S8_N6thrust23THRUST_200600_302600_NS4plusIS5_EEEE10hipError_tPvRmT2_T3_mT4_P12ihipStream_tbEUlT_E_NS1_11comp_targetILNS1_3genE4ELNS1_11target_archE910ELNS1_3gpuE8ELNS1_3repE0EEENS1_30default_config_static_selectorELNS0_4arch9wavefront6targetE1EEEvT1_
    .private_segment_fixed_size: 0
    .sgpr_count:     34
    .sgpr_spill_count: 0
    .symbol:         _ZN7rocprim17ROCPRIM_400000_NS6detail17trampoline_kernelINS0_14default_configENS1_35adjacent_difference_config_selectorILb1E14custom_numericEEZNS1_24adjacent_difference_implIS3_Lb1ELb0EPS5_S8_N6thrust23THRUST_200600_302600_NS4plusIS5_EEEE10hipError_tPvRmT2_T3_mT4_P12ihipStream_tbEUlT_E_NS1_11comp_targetILNS1_3genE4ELNS1_11target_archE910ELNS1_3gpuE8ELNS1_3repE0EEENS1_30default_config_static_selectorELNS0_4arch9wavefront6targetE1EEEvT1_.kd
    .uniform_work_group_size: 1
    .uses_dynamic_stack: false
    .vgpr_count:     16
    .vgpr_spill_count: 0
    .wavefront_size: 64
  - .agpr_count:     0
    .args:
      - .offset:         0
        .size:           56
        .value_kind:     by_value
    .group_segment_fixed_size: 0
    .kernarg_segment_align: 8
    .kernarg_segment_size: 56
    .language:       OpenCL C
    .language_version:
      - 2
      - 0
    .max_flat_workgroup_size: 256
    .name:           _ZN7rocprim17ROCPRIM_400000_NS6detail17trampoline_kernelINS0_14default_configENS1_35adjacent_difference_config_selectorILb1E14custom_numericEEZNS1_24adjacent_difference_implIS3_Lb1ELb0EPS5_S8_N6thrust23THRUST_200600_302600_NS4plusIS5_EEEE10hipError_tPvRmT2_T3_mT4_P12ihipStream_tbEUlT_E_NS1_11comp_targetILNS1_3genE3ELNS1_11target_archE908ELNS1_3gpuE7ELNS1_3repE0EEENS1_30default_config_static_selectorELNS0_4arch9wavefront6targetE1EEEvT1_
    .private_segment_fixed_size: 0
    .sgpr_count:     4
    .sgpr_spill_count: 0
    .symbol:         _ZN7rocprim17ROCPRIM_400000_NS6detail17trampoline_kernelINS0_14default_configENS1_35adjacent_difference_config_selectorILb1E14custom_numericEEZNS1_24adjacent_difference_implIS3_Lb1ELb0EPS5_S8_N6thrust23THRUST_200600_302600_NS4plusIS5_EEEE10hipError_tPvRmT2_T3_mT4_P12ihipStream_tbEUlT_E_NS1_11comp_targetILNS1_3genE3ELNS1_11target_archE908ELNS1_3gpuE7ELNS1_3repE0EEENS1_30default_config_static_selectorELNS0_4arch9wavefront6targetE1EEEvT1_.kd
    .uniform_work_group_size: 1
    .uses_dynamic_stack: false
    .vgpr_count:     0
    .vgpr_spill_count: 0
    .wavefront_size: 64
  - .agpr_count:     0
    .args:
      - .offset:         0
        .size:           56
        .value_kind:     by_value
    .group_segment_fixed_size: 0
    .kernarg_segment_align: 8
    .kernarg_segment_size: 56
    .language:       OpenCL C
    .language_version:
      - 2
      - 0
    .max_flat_workgroup_size: 256
    .name:           _ZN7rocprim17ROCPRIM_400000_NS6detail17trampoline_kernelINS0_14default_configENS1_35adjacent_difference_config_selectorILb1E14custom_numericEEZNS1_24adjacent_difference_implIS3_Lb1ELb0EPS5_S8_N6thrust23THRUST_200600_302600_NS4plusIS5_EEEE10hipError_tPvRmT2_T3_mT4_P12ihipStream_tbEUlT_E_NS1_11comp_targetILNS1_3genE2ELNS1_11target_archE906ELNS1_3gpuE6ELNS1_3repE0EEENS1_30default_config_static_selectorELNS0_4arch9wavefront6targetE1EEEvT1_
    .private_segment_fixed_size: 0
    .sgpr_count:     4
    .sgpr_spill_count: 0
    .symbol:         _ZN7rocprim17ROCPRIM_400000_NS6detail17trampoline_kernelINS0_14default_configENS1_35adjacent_difference_config_selectorILb1E14custom_numericEEZNS1_24adjacent_difference_implIS3_Lb1ELb0EPS5_S8_N6thrust23THRUST_200600_302600_NS4plusIS5_EEEE10hipError_tPvRmT2_T3_mT4_P12ihipStream_tbEUlT_E_NS1_11comp_targetILNS1_3genE2ELNS1_11target_archE906ELNS1_3gpuE6ELNS1_3repE0EEENS1_30default_config_static_selectorELNS0_4arch9wavefront6targetE1EEEvT1_.kd
    .uniform_work_group_size: 1
    .uses_dynamic_stack: false
    .vgpr_count:     0
    .vgpr_spill_count: 0
    .wavefront_size: 64
  - .agpr_count:     0
    .args:
      - .offset:         0
        .size:           56
        .value_kind:     by_value
    .group_segment_fixed_size: 0
    .kernarg_segment_align: 8
    .kernarg_segment_size: 56
    .language:       OpenCL C
    .language_version:
      - 2
      - 0
    .max_flat_workgroup_size: 256
    .name:           _ZN7rocprim17ROCPRIM_400000_NS6detail17trampoline_kernelINS0_14default_configENS1_35adjacent_difference_config_selectorILb1E14custom_numericEEZNS1_24adjacent_difference_implIS3_Lb1ELb0EPS5_S8_N6thrust23THRUST_200600_302600_NS4plusIS5_EEEE10hipError_tPvRmT2_T3_mT4_P12ihipStream_tbEUlT_E_NS1_11comp_targetILNS1_3genE9ELNS1_11target_archE1100ELNS1_3gpuE3ELNS1_3repE0EEENS1_30default_config_static_selectorELNS0_4arch9wavefront6targetE1EEEvT1_
    .private_segment_fixed_size: 0
    .sgpr_count:     4
    .sgpr_spill_count: 0
    .symbol:         _ZN7rocprim17ROCPRIM_400000_NS6detail17trampoline_kernelINS0_14default_configENS1_35adjacent_difference_config_selectorILb1E14custom_numericEEZNS1_24adjacent_difference_implIS3_Lb1ELb0EPS5_S8_N6thrust23THRUST_200600_302600_NS4plusIS5_EEEE10hipError_tPvRmT2_T3_mT4_P12ihipStream_tbEUlT_E_NS1_11comp_targetILNS1_3genE9ELNS1_11target_archE1100ELNS1_3gpuE3ELNS1_3repE0EEENS1_30default_config_static_selectorELNS0_4arch9wavefront6targetE1EEEvT1_.kd
    .uniform_work_group_size: 1
    .uses_dynamic_stack: false
    .vgpr_count:     0
    .vgpr_spill_count: 0
    .wavefront_size: 64
  - .agpr_count:     0
    .args:
      - .offset:         0
        .size:           56
        .value_kind:     by_value
    .group_segment_fixed_size: 0
    .kernarg_segment_align: 8
    .kernarg_segment_size: 56
    .language:       OpenCL C
    .language_version:
      - 2
      - 0
    .max_flat_workgroup_size: 256
    .name:           _ZN7rocprim17ROCPRIM_400000_NS6detail17trampoline_kernelINS0_14default_configENS1_35adjacent_difference_config_selectorILb1E14custom_numericEEZNS1_24adjacent_difference_implIS3_Lb1ELb0EPS5_S8_N6thrust23THRUST_200600_302600_NS4plusIS5_EEEE10hipError_tPvRmT2_T3_mT4_P12ihipStream_tbEUlT_E_NS1_11comp_targetILNS1_3genE8ELNS1_11target_archE1030ELNS1_3gpuE2ELNS1_3repE0EEENS1_30default_config_static_selectorELNS0_4arch9wavefront6targetE1EEEvT1_
    .private_segment_fixed_size: 0
    .sgpr_count:     4
    .sgpr_spill_count: 0
    .symbol:         _ZN7rocprim17ROCPRIM_400000_NS6detail17trampoline_kernelINS0_14default_configENS1_35adjacent_difference_config_selectorILb1E14custom_numericEEZNS1_24adjacent_difference_implIS3_Lb1ELb0EPS5_S8_N6thrust23THRUST_200600_302600_NS4plusIS5_EEEE10hipError_tPvRmT2_T3_mT4_P12ihipStream_tbEUlT_E_NS1_11comp_targetILNS1_3genE8ELNS1_11target_archE1030ELNS1_3gpuE2ELNS1_3repE0EEENS1_30default_config_static_selectorELNS0_4arch9wavefront6targetE1EEEvT1_.kd
    .uniform_work_group_size: 1
    .uses_dynamic_stack: false
    .vgpr_count:     0
    .vgpr_spill_count: 0
    .wavefront_size: 64
  - .agpr_count:     0
    .args:
      - .offset:         0
        .size:           16
        .value_kind:     by_value
      - .offset:         16
        .size:           8
        .value_kind:     by_value
      - .offset:         24
        .size:           8
        .value_kind:     by_value
    .group_segment_fixed_size: 0
    .kernarg_segment_align: 8
    .kernarg_segment_size: 32
    .language:       OpenCL C
    .language_version:
      - 2
      - 0
    .max_flat_workgroup_size: 256
    .name:           _ZN6thrust23THRUST_200600_302600_NS11hip_rocprim14__parallel_for6kernelILj256ENS1_20__uninitialized_fill7functorINS0_7pointerIiNS1_3tagENS0_16tagged_referenceIiS7_EENS0_11use_defaultEEEiEEmLj1EEEvT0_T1_SE_
    .private_segment_fixed_size: 0
    .sgpr_count:     16
    .sgpr_spill_count: 0
    .symbol:         _ZN6thrust23THRUST_200600_302600_NS11hip_rocprim14__parallel_for6kernelILj256ENS1_20__uninitialized_fill7functorINS0_7pointerIiNS1_3tagENS0_16tagged_referenceIiS7_EENS0_11use_defaultEEEiEEmLj1EEEvT0_T1_SE_.kd
    .uniform_work_group_size: 1
    .uses_dynamic_stack: false
    .vgpr_count:     4
    .vgpr_spill_count: 0
    .wavefront_size: 64
  - .agpr_count:     0
    .args:
      - .offset:         0
        .size:           16
        .value_kind:     by_value
      - .offset:         16
        .size:           8
        .value_kind:     by_value
      - .offset:         24
        .size:           8
        .value_kind:     by_value
    .group_segment_fixed_size: 0
    .kernarg_segment_align: 8
    .kernarg_segment_size: 32
    .language:       OpenCL C
    .language_version:
      - 2
      - 0
    .max_flat_workgroup_size: 256
    .name:           _ZN6thrust23THRUST_200600_302600_NS11hip_rocprim14__parallel_for6kernelILj256ENS1_20__uninitialized_fill7functorINS0_7pointerIiNS1_3tagERiNS0_11use_defaultEEEiEEmLj1EEEvT0_T1_SD_
    .private_segment_fixed_size: 0
    .sgpr_count:     16
    .sgpr_spill_count: 0
    .symbol:         _ZN6thrust23THRUST_200600_302600_NS11hip_rocprim14__parallel_for6kernelILj256ENS1_20__uninitialized_fill7functorINS0_7pointerIiNS1_3tagERiNS0_11use_defaultEEEiEEmLj1EEEvT0_T1_SD_.kd
    .uniform_work_group_size: 1
    .uses_dynamic_stack: false
    .vgpr_count:     4
    .vgpr_spill_count: 0
    .wavefront_size: 64
  - .agpr_count:     0
    .args:
      - .offset:         0
        .size:           16
        .value_kind:     by_value
      - .offset:         16
        .size:           8
        .value_kind:     by_value
      - .offset:         24
        .size:           8
        .value_kind:     by_value
    .group_segment_fixed_size: 0
    .kernarg_segment_align: 8
    .kernarg_segment_size: 32
    .language:       OpenCL C
    .language_version:
      - 2
      - 0
    .max_flat_workgroup_size: 256
    .name:           _ZN6thrust23THRUST_200600_302600_NS11hip_rocprim14__parallel_for6kernelILj256ENS1_20__uninitialized_fill7functorINS0_10device_ptrIhEEhEEmLj1EEEvT0_T1_SA_
    .private_segment_fixed_size: 0
    .sgpr_count:     12
    .sgpr_spill_count: 0
    .symbol:         _ZN6thrust23THRUST_200600_302600_NS11hip_rocprim14__parallel_for6kernelILj256ENS1_20__uninitialized_fill7functorINS0_10device_ptrIhEEhEEmLj1EEEvT0_T1_SA_.kd
    .uniform_work_group_size: 1
    .uses_dynamic_stack: false
    .vgpr_count:     4
    .vgpr_spill_count: 0
    .wavefront_size: 64
  - .agpr_count:     0
    .args:
      - .offset:         0
        .size:           56
        .value_kind:     by_value
    .group_segment_fixed_size: 0
    .kernarg_segment_align: 8
    .kernarg_segment_size: 56
    .language:       OpenCL C
    .language_version:
      - 2
      - 0
    .max_flat_workgroup_size: 64
    .name:           _ZN7rocprim17ROCPRIM_400000_NS6detail17trampoline_kernelINS0_14default_configENS1_35adjacent_difference_config_selectorILb0EhEEZNS1_24adjacent_difference_implIS3_Lb0ELb0EPhS7_N6thrust23THRUST_200600_302600_NS5minusIhEEEE10hipError_tPvRmT2_T3_mT4_P12ihipStream_tbEUlT_E_NS1_11comp_targetILNS1_3genE0ELNS1_11target_archE4294967295ELNS1_3gpuE0ELNS1_3repE0EEENS1_30default_config_static_selectorELNS0_4arch9wavefront6targetE1EEEvT1_
    .private_segment_fixed_size: 0
    .sgpr_count:     4
    .sgpr_spill_count: 0
    .symbol:         _ZN7rocprim17ROCPRIM_400000_NS6detail17trampoline_kernelINS0_14default_configENS1_35adjacent_difference_config_selectorILb0EhEEZNS1_24adjacent_difference_implIS3_Lb0ELb0EPhS7_N6thrust23THRUST_200600_302600_NS5minusIhEEEE10hipError_tPvRmT2_T3_mT4_P12ihipStream_tbEUlT_E_NS1_11comp_targetILNS1_3genE0ELNS1_11target_archE4294967295ELNS1_3gpuE0ELNS1_3repE0EEENS1_30default_config_static_selectorELNS0_4arch9wavefront6targetE1EEEvT1_.kd
    .uniform_work_group_size: 1
    .uses_dynamic_stack: false
    .vgpr_count:     0
    .vgpr_spill_count: 0
    .wavefront_size: 64
  - .agpr_count:     0
    .args:
      - .offset:         0
        .size:           56
        .value_kind:     by_value
    .group_segment_fixed_size: 0
    .kernarg_segment_align: 8
    .kernarg_segment_size: 56
    .language:       OpenCL C
    .language_version:
      - 2
      - 0
    .max_flat_workgroup_size: 1024
    .name:           _ZN7rocprim17ROCPRIM_400000_NS6detail17trampoline_kernelINS0_14default_configENS1_35adjacent_difference_config_selectorILb0EhEEZNS1_24adjacent_difference_implIS3_Lb0ELb0EPhS7_N6thrust23THRUST_200600_302600_NS5minusIhEEEE10hipError_tPvRmT2_T3_mT4_P12ihipStream_tbEUlT_E_NS1_11comp_targetILNS1_3genE10ELNS1_11target_archE1201ELNS1_3gpuE5ELNS1_3repE0EEENS1_30default_config_static_selectorELNS0_4arch9wavefront6targetE1EEEvT1_
    .private_segment_fixed_size: 0
    .sgpr_count:     4
    .sgpr_spill_count: 0
    .symbol:         _ZN7rocprim17ROCPRIM_400000_NS6detail17trampoline_kernelINS0_14default_configENS1_35adjacent_difference_config_selectorILb0EhEEZNS1_24adjacent_difference_implIS3_Lb0ELb0EPhS7_N6thrust23THRUST_200600_302600_NS5minusIhEEEE10hipError_tPvRmT2_T3_mT4_P12ihipStream_tbEUlT_E_NS1_11comp_targetILNS1_3genE10ELNS1_11target_archE1201ELNS1_3gpuE5ELNS1_3repE0EEENS1_30default_config_static_selectorELNS0_4arch9wavefront6targetE1EEEvT1_.kd
    .uniform_work_group_size: 1
    .uses_dynamic_stack: false
    .vgpr_count:     0
    .vgpr_spill_count: 0
    .wavefront_size: 64
  - .agpr_count:     0
    .args:
      - .offset:         0
        .size:           56
        .value_kind:     by_value
    .group_segment_fixed_size: 0
    .kernarg_segment_align: 8
    .kernarg_segment_size: 56
    .language:       OpenCL C
    .language_version:
      - 2
      - 0
    .max_flat_workgroup_size: 128
    .name:           _ZN7rocprim17ROCPRIM_400000_NS6detail17trampoline_kernelINS0_14default_configENS1_35adjacent_difference_config_selectorILb0EhEEZNS1_24adjacent_difference_implIS3_Lb0ELb0EPhS7_N6thrust23THRUST_200600_302600_NS5minusIhEEEE10hipError_tPvRmT2_T3_mT4_P12ihipStream_tbEUlT_E_NS1_11comp_targetILNS1_3genE5ELNS1_11target_archE942ELNS1_3gpuE9ELNS1_3repE0EEENS1_30default_config_static_selectorELNS0_4arch9wavefront6targetE1EEEvT1_
    .private_segment_fixed_size: 0
    .sgpr_count:     4
    .sgpr_spill_count: 0
    .symbol:         _ZN7rocprim17ROCPRIM_400000_NS6detail17trampoline_kernelINS0_14default_configENS1_35adjacent_difference_config_selectorILb0EhEEZNS1_24adjacent_difference_implIS3_Lb0ELb0EPhS7_N6thrust23THRUST_200600_302600_NS5minusIhEEEE10hipError_tPvRmT2_T3_mT4_P12ihipStream_tbEUlT_E_NS1_11comp_targetILNS1_3genE5ELNS1_11target_archE942ELNS1_3gpuE9ELNS1_3repE0EEENS1_30default_config_static_selectorELNS0_4arch9wavefront6targetE1EEEvT1_.kd
    .uniform_work_group_size: 1
    .uses_dynamic_stack: false
    .vgpr_count:     0
    .vgpr_spill_count: 0
    .wavefront_size: 64
  - .agpr_count:     0
    .args:
      - .offset:         0
        .size:           56
        .value_kind:     by_value
    .group_segment_fixed_size: 1216
    .kernarg_segment_align: 8
    .kernarg_segment_size: 56
    .language:       OpenCL C
    .language_version:
      - 2
      - 0
    .max_flat_workgroup_size: 64
    .name:           _ZN7rocprim17ROCPRIM_400000_NS6detail17trampoline_kernelINS0_14default_configENS1_35adjacent_difference_config_selectorILb0EhEEZNS1_24adjacent_difference_implIS3_Lb0ELb0EPhS7_N6thrust23THRUST_200600_302600_NS5minusIhEEEE10hipError_tPvRmT2_T3_mT4_P12ihipStream_tbEUlT_E_NS1_11comp_targetILNS1_3genE4ELNS1_11target_archE910ELNS1_3gpuE8ELNS1_3repE0EEENS1_30default_config_static_selectorELNS0_4arch9wavefront6targetE1EEEvT1_
    .private_segment_fixed_size: 0
    .sgpr_count:     26
    .sgpr_spill_count: 0
    .symbol:         _ZN7rocprim17ROCPRIM_400000_NS6detail17trampoline_kernelINS0_14default_configENS1_35adjacent_difference_config_selectorILb0EhEEZNS1_24adjacent_difference_implIS3_Lb0ELb0EPhS7_N6thrust23THRUST_200600_302600_NS5minusIhEEEE10hipError_tPvRmT2_T3_mT4_P12ihipStream_tbEUlT_E_NS1_11comp_targetILNS1_3genE4ELNS1_11target_archE910ELNS1_3gpuE8ELNS1_3repE0EEENS1_30default_config_static_selectorELNS0_4arch9wavefront6targetE1EEEvT1_.kd
    .uniform_work_group_size: 1
    .uses_dynamic_stack: false
    .vgpr_count:     34
    .vgpr_spill_count: 0
    .wavefront_size: 64
  - .agpr_count:     0
    .args:
      - .offset:         0
        .size:           56
        .value_kind:     by_value
    .group_segment_fixed_size: 0
    .kernarg_segment_align: 8
    .kernarg_segment_size: 56
    .language:       OpenCL C
    .language_version:
      - 2
      - 0
    .max_flat_workgroup_size: 64
    .name:           _ZN7rocprim17ROCPRIM_400000_NS6detail17trampoline_kernelINS0_14default_configENS1_35adjacent_difference_config_selectorILb0EhEEZNS1_24adjacent_difference_implIS3_Lb0ELb0EPhS7_N6thrust23THRUST_200600_302600_NS5minusIhEEEE10hipError_tPvRmT2_T3_mT4_P12ihipStream_tbEUlT_E_NS1_11comp_targetILNS1_3genE3ELNS1_11target_archE908ELNS1_3gpuE7ELNS1_3repE0EEENS1_30default_config_static_selectorELNS0_4arch9wavefront6targetE1EEEvT1_
    .private_segment_fixed_size: 0
    .sgpr_count:     4
    .sgpr_spill_count: 0
    .symbol:         _ZN7rocprim17ROCPRIM_400000_NS6detail17trampoline_kernelINS0_14default_configENS1_35adjacent_difference_config_selectorILb0EhEEZNS1_24adjacent_difference_implIS3_Lb0ELb0EPhS7_N6thrust23THRUST_200600_302600_NS5minusIhEEEE10hipError_tPvRmT2_T3_mT4_P12ihipStream_tbEUlT_E_NS1_11comp_targetILNS1_3genE3ELNS1_11target_archE908ELNS1_3gpuE7ELNS1_3repE0EEENS1_30default_config_static_selectorELNS0_4arch9wavefront6targetE1EEEvT1_.kd
    .uniform_work_group_size: 1
    .uses_dynamic_stack: false
    .vgpr_count:     0
    .vgpr_spill_count: 0
    .wavefront_size: 64
  - .agpr_count:     0
    .args:
      - .offset:         0
        .size:           56
        .value_kind:     by_value
    .group_segment_fixed_size: 0
    .kernarg_segment_align: 8
    .kernarg_segment_size: 56
    .language:       OpenCL C
    .language_version:
      - 2
      - 0
    .max_flat_workgroup_size: 64
    .name:           _ZN7rocprim17ROCPRIM_400000_NS6detail17trampoline_kernelINS0_14default_configENS1_35adjacent_difference_config_selectorILb0EhEEZNS1_24adjacent_difference_implIS3_Lb0ELb0EPhS7_N6thrust23THRUST_200600_302600_NS5minusIhEEEE10hipError_tPvRmT2_T3_mT4_P12ihipStream_tbEUlT_E_NS1_11comp_targetILNS1_3genE2ELNS1_11target_archE906ELNS1_3gpuE6ELNS1_3repE0EEENS1_30default_config_static_selectorELNS0_4arch9wavefront6targetE1EEEvT1_
    .private_segment_fixed_size: 0
    .sgpr_count:     4
    .sgpr_spill_count: 0
    .symbol:         _ZN7rocprim17ROCPRIM_400000_NS6detail17trampoline_kernelINS0_14default_configENS1_35adjacent_difference_config_selectorILb0EhEEZNS1_24adjacent_difference_implIS3_Lb0ELb0EPhS7_N6thrust23THRUST_200600_302600_NS5minusIhEEEE10hipError_tPvRmT2_T3_mT4_P12ihipStream_tbEUlT_E_NS1_11comp_targetILNS1_3genE2ELNS1_11target_archE906ELNS1_3gpuE6ELNS1_3repE0EEENS1_30default_config_static_selectorELNS0_4arch9wavefront6targetE1EEEvT1_.kd
    .uniform_work_group_size: 1
    .uses_dynamic_stack: false
    .vgpr_count:     0
    .vgpr_spill_count: 0
    .wavefront_size: 64
  - .agpr_count:     0
    .args:
      - .offset:         0
        .size:           56
        .value_kind:     by_value
    .group_segment_fixed_size: 0
    .kernarg_segment_align: 8
    .kernarg_segment_size: 56
    .language:       OpenCL C
    .language_version:
      - 2
      - 0
    .max_flat_workgroup_size: 64
    .name:           _ZN7rocprim17ROCPRIM_400000_NS6detail17trampoline_kernelINS0_14default_configENS1_35adjacent_difference_config_selectorILb0EhEEZNS1_24adjacent_difference_implIS3_Lb0ELb0EPhS7_N6thrust23THRUST_200600_302600_NS5minusIhEEEE10hipError_tPvRmT2_T3_mT4_P12ihipStream_tbEUlT_E_NS1_11comp_targetILNS1_3genE9ELNS1_11target_archE1100ELNS1_3gpuE3ELNS1_3repE0EEENS1_30default_config_static_selectorELNS0_4arch9wavefront6targetE1EEEvT1_
    .private_segment_fixed_size: 0
    .sgpr_count:     4
    .sgpr_spill_count: 0
    .symbol:         _ZN7rocprim17ROCPRIM_400000_NS6detail17trampoline_kernelINS0_14default_configENS1_35adjacent_difference_config_selectorILb0EhEEZNS1_24adjacent_difference_implIS3_Lb0ELb0EPhS7_N6thrust23THRUST_200600_302600_NS5minusIhEEEE10hipError_tPvRmT2_T3_mT4_P12ihipStream_tbEUlT_E_NS1_11comp_targetILNS1_3genE9ELNS1_11target_archE1100ELNS1_3gpuE3ELNS1_3repE0EEENS1_30default_config_static_selectorELNS0_4arch9wavefront6targetE1EEEvT1_.kd
    .uniform_work_group_size: 1
    .uses_dynamic_stack: false
    .vgpr_count:     0
    .vgpr_spill_count: 0
    .wavefront_size: 64
  - .agpr_count:     0
    .args:
      - .offset:         0
        .size:           56
        .value_kind:     by_value
    .group_segment_fixed_size: 0
    .kernarg_segment_align: 8
    .kernarg_segment_size: 56
    .language:       OpenCL C
    .language_version:
      - 2
      - 0
    .max_flat_workgroup_size: 64
    .name:           _ZN7rocprim17ROCPRIM_400000_NS6detail17trampoline_kernelINS0_14default_configENS1_35adjacent_difference_config_selectorILb0EhEEZNS1_24adjacent_difference_implIS3_Lb0ELb0EPhS7_N6thrust23THRUST_200600_302600_NS5minusIhEEEE10hipError_tPvRmT2_T3_mT4_P12ihipStream_tbEUlT_E_NS1_11comp_targetILNS1_3genE8ELNS1_11target_archE1030ELNS1_3gpuE2ELNS1_3repE0EEENS1_30default_config_static_selectorELNS0_4arch9wavefront6targetE1EEEvT1_
    .private_segment_fixed_size: 0
    .sgpr_count:     4
    .sgpr_spill_count: 0
    .symbol:         _ZN7rocprim17ROCPRIM_400000_NS6detail17trampoline_kernelINS0_14default_configENS1_35adjacent_difference_config_selectorILb0EhEEZNS1_24adjacent_difference_implIS3_Lb0ELb0EPhS7_N6thrust23THRUST_200600_302600_NS5minusIhEEEE10hipError_tPvRmT2_T3_mT4_P12ihipStream_tbEUlT_E_NS1_11comp_targetILNS1_3genE8ELNS1_11target_archE1030ELNS1_3gpuE2ELNS1_3repE0EEENS1_30default_config_static_selectorELNS0_4arch9wavefront6targetE1EEEvT1_.kd
    .uniform_work_group_size: 1
    .uses_dynamic_stack: false
    .vgpr_count:     0
    .vgpr_spill_count: 0
    .wavefront_size: 64
  - .agpr_count:     0
    .args:
      - .offset:         0
        .size:           56
        .value_kind:     by_value
    .group_segment_fixed_size: 0
    .kernarg_segment_align: 8
    .kernarg_segment_size: 56
    .language:       OpenCL C
    .language_version:
      - 2
      - 0
    .max_flat_workgroup_size: 128
    .name:           _ZN7rocprim17ROCPRIM_400000_NS6detail17trampoline_kernelINS0_14default_configENS1_25transform_config_selectorIhLb0EEEZNS1_14transform_implILb0ES3_S5_NS0_18transform_iteratorINS0_17counting_iteratorImlEEZNS1_24adjacent_difference_implIS3_Lb1ELb0EPhSB_N6thrust23THRUST_200600_302600_NS5minusIhEEEE10hipError_tPvRmT2_T3_mT4_P12ihipStream_tbEUlmE_hEESB_NS0_8identityIvEEEESG_SJ_SK_mSL_SN_bEUlT_E_NS1_11comp_targetILNS1_3genE0ELNS1_11target_archE4294967295ELNS1_3gpuE0ELNS1_3repE0EEENS1_30default_config_static_selectorELNS0_4arch9wavefront6targetE1EEEvT1_
    .private_segment_fixed_size: 0
    .sgpr_count:     4
    .sgpr_spill_count: 0
    .symbol:         _ZN7rocprim17ROCPRIM_400000_NS6detail17trampoline_kernelINS0_14default_configENS1_25transform_config_selectorIhLb0EEEZNS1_14transform_implILb0ES3_S5_NS0_18transform_iteratorINS0_17counting_iteratorImlEEZNS1_24adjacent_difference_implIS3_Lb1ELb0EPhSB_N6thrust23THRUST_200600_302600_NS5minusIhEEEE10hipError_tPvRmT2_T3_mT4_P12ihipStream_tbEUlmE_hEESB_NS0_8identityIvEEEESG_SJ_SK_mSL_SN_bEUlT_E_NS1_11comp_targetILNS1_3genE0ELNS1_11target_archE4294967295ELNS1_3gpuE0ELNS1_3repE0EEENS1_30default_config_static_selectorELNS0_4arch9wavefront6targetE1EEEvT1_.kd
    .uniform_work_group_size: 1
    .uses_dynamic_stack: false
    .vgpr_count:     0
    .vgpr_spill_count: 0
    .wavefront_size: 64
  - .agpr_count:     0
    .args:
      - .offset:         0
        .size:           56
        .value_kind:     by_value
    .group_segment_fixed_size: 0
    .kernarg_segment_align: 8
    .kernarg_segment_size: 56
    .language:       OpenCL C
    .language_version:
      - 2
      - 0
    .max_flat_workgroup_size: 1024
    .name:           _ZN7rocprim17ROCPRIM_400000_NS6detail17trampoline_kernelINS0_14default_configENS1_25transform_config_selectorIhLb0EEEZNS1_14transform_implILb0ES3_S5_NS0_18transform_iteratorINS0_17counting_iteratorImlEEZNS1_24adjacent_difference_implIS3_Lb1ELb0EPhSB_N6thrust23THRUST_200600_302600_NS5minusIhEEEE10hipError_tPvRmT2_T3_mT4_P12ihipStream_tbEUlmE_hEESB_NS0_8identityIvEEEESG_SJ_SK_mSL_SN_bEUlT_E_NS1_11comp_targetILNS1_3genE5ELNS1_11target_archE942ELNS1_3gpuE9ELNS1_3repE0EEENS1_30default_config_static_selectorELNS0_4arch9wavefront6targetE1EEEvT1_
    .private_segment_fixed_size: 0
    .sgpr_count:     4
    .sgpr_spill_count: 0
    .symbol:         _ZN7rocprim17ROCPRIM_400000_NS6detail17trampoline_kernelINS0_14default_configENS1_25transform_config_selectorIhLb0EEEZNS1_14transform_implILb0ES3_S5_NS0_18transform_iteratorINS0_17counting_iteratorImlEEZNS1_24adjacent_difference_implIS3_Lb1ELb0EPhSB_N6thrust23THRUST_200600_302600_NS5minusIhEEEE10hipError_tPvRmT2_T3_mT4_P12ihipStream_tbEUlmE_hEESB_NS0_8identityIvEEEESG_SJ_SK_mSL_SN_bEUlT_E_NS1_11comp_targetILNS1_3genE5ELNS1_11target_archE942ELNS1_3gpuE9ELNS1_3repE0EEENS1_30default_config_static_selectorELNS0_4arch9wavefront6targetE1EEEvT1_.kd
    .uniform_work_group_size: 1
    .uses_dynamic_stack: false
    .vgpr_count:     0
    .vgpr_spill_count: 0
    .wavefront_size: 64
  - .agpr_count:     0
    .args:
      - .offset:         0
        .size:           56
        .value_kind:     by_value
      - .offset:         56
        .size:           4
        .value_kind:     hidden_block_count_x
      - .offset:         60
        .size:           4
        .value_kind:     hidden_block_count_y
      - .offset:         64
        .size:           4
        .value_kind:     hidden_block_count_z
      - .offset:         68
        .size:           2
        .value_kind:     hidden_group_size_x
      - .offset:         70
        .size:           2
        .value_kind:     hidden_group_size_y
      - .offset:         72
        .size:           2
        .value_kind:     hidden_group_size_z
      - .offset:         74
        .size:           2
        .value_kind:     hidden_remainder_x
      - .offset:         76
        .size:           2
        .value_kind:     hidden_remainder_y
      - .offset:         78
        .size:           2
        .value_kind:     hidden_remainder_z
      - .offset:         96
        .size:           8
        .value_kind:     hidden_global_offset_x
      - .offset:         104
        .size:           8
        .value_kind:     hidden_global_offset_y
      - .offset:         112
        .size:           8
        .value_kind:     hidden_global_offset_z
      - .offset:         120
        .size:           2
        .value_kind:     hidden_grid_dims
    .group_segment_fixed_size: 0
    .kernarg_segment_align: 8
    .kernarg_segment_size: 312
    .language:       OpenCL C
    .language_version:
      - 2
      - 0
    .max_flat_workgroup_size: 64
    .name:           _ZN7rocprim17ROCPRIM_400000_NS6detail17trampoline_kernelINS0_14default_configENS1_25transform_config_selectorIhLb0EEEZNS1_14transform_implILb0ES3_S5_NS0_18transform_iteratorINS0_17counting_iteratorImlEEZNS1_24adjacent_difference_implIS3_Lb1ELb0EPhSB_N6thrust23THRUST_200600_302600_NS5minusIhEEEE10hipError_tPvRmT2_T3_mT4_P12ihipStream_tbEUlmE_hEESB_NS0_8identityIvEEEESG_SJ_SK_mSL_SN_bEUlT_E_NS1_11comp_targetILNS1_3genE4ELNS1_11target_archE910ELNS1_3gpuE8ELNS1_3repE0EEENS1_30default_config_static_selectorELNS0_4arch9wavefront6targetE1EEEvT1_
    .private_segment_fixed_size: 0
    .sgpr_count:     50
    .sgpr_spill_count: 0
    .symbol:         _ZN7rocprim17ROCPRIM_400000_NS6detail17trampoline_kernelINS0_14default_configENS1_25transform_config_selectorIhLb0EEEZNS1_14transform_implILb0ES3_S5_NS0_18transform_iteratorINS0_17counting_iteratorImlEEZNS1_24adjacent_difference_implIS3_Lb1ELb0EPhSB_N6thrust23THRUST_200600_302600_NS5minusIhEEEE10hipError_tPvRmT2_T3_mT4_P12ihipStream_tbEUlmE_hEESB_NS0_8identityIvEEEESG_SJ_SK_mSL_SN_bEUlT_E_NS1_11comp_targetILNS1_3genE4ELNS1_11target_archE910ELNS1_3gpuE8ELNS1_3repE0EEENS1_30default_config_static_selectorELNS0_4arch9wavefront6targetE1EEEvT1_.kd
    .uniform_work_group_size: 1
    .uses_dynamic_stack: false
    .vgpr_count:     20
    .vgpr_spill_count: 0
    .wavefront_size: 64
  - .agpr_count:     0
    .args:
      - .offset:         0
        .size:           56
        .value_kind:     by_value
    .group_segment_fixed_size: 0
    .kernarg_segment_align: 8
    .kernarg_segment_size: 56
    .language:       OpenCL C
    .language_version:
      - 2
      - 0
    .max_flat_workgroup_size: 128
    .name:           _ZN7rocprim17ROCPRIM_400000_NS6detail17trampoline_kernelINS0_14default_configENS1_25transform_config_selectorIhLb0EEEZNS1_14transform_implILb0ES3_S5_NS0_18transform_iteratorINS0_17counting_iteratorImlEEZNS1_24adjacent_difference_implIS3_Lb1ELb0EPhSB_N6thrust23THRUST_200600_302600_NS5minusIhEEEE10hipError_tPvRmT2_T3_mT4_P12ihipStream_tbEUlmE_hEESB_NS0_8identityIvEEEESG_SJ_SK_mSL_SN_bEUlT_E_NS1_11comp_targetILNS1_3genE3ELNS1_11target_archE908ELNS1_3gpuE7ELNS1_3repE0EEENS1_30default_config_static_selectorELNS0_4arch9wavefront6targetE1EEEvT1_
    .private_segment_fixed_size: 0
    .sgpr_count:     4
    .sgpr_spill_count: 0
    .symbol:         _ZN7rocprim17ROCPRIM_400000_NS6detail17trampoline_kernelINS0_14default_configENS1_25transform_config_selectorIhLb0EEEZNS1_14transform_implILb0ES3_S5_NS0_18transform_iteratorINS0_17counting_iteratorImlEEZNS1_24adjacent_difference_implIS3_Lb1ELb0EPhSB_N6thrust23THRUST_200600_302600_NS5minusIhEEEE10hipError_tPvRmT2_T3_mT4_P12ihipStream_tbEUlmE_hEESB_NS0_8identityIvEEEESG_SJ_SK_mSL_SN_bEUlT_E_NS1_11comp_targetILNS1_3genE3ELNS1_11target_archE908ELNS1_3gpuE7ELNS1_3repE0EEENS1_30default_config_static_selectorELNS0_4arch9wavefront6targetE1EEEvT1_.kd
    .uniform_work_group_size: 1
    .uses_dynamic_stack: false
    .vgpr_count:     0
    .vgpr_spill_count: 0
    .wavefront_size: 64
  - .agpr_count:     0
    .args:
      - .offset:         0
        .size:           56
        .value_kind:     by_value
    .group_segment_fixed_size: 0
    .kernarg_segment_align: 8
    .kernarg_segment_size: 56
    .language:       OpenCL C
    .language_version:
      - 2
      - 0
    .max_flat_workgroup_size: 64
    .name:           _ZN7rocprim17ROCPRIM_400000_NS6detail17trampoline_kernelINS0_14default_configENS1_25transform_config_selectorIhLb0EEEZNS1_14transform_implILb0ES3_S5_NS0_18transform_iteratorINS0_17counting_iteratorImlEEZNS1_24adjacent_difference_implIS3_Lb1ELb0EPhSB_N6thrust23THRUST_200600_302600_NS5minusIhEEEE10hipError_tPvRmT2_T3_mT4_P12ihipStream_tbEUlmE_hEESB_NS0_8identityIvEEEESG_SJ_SK_mSL_SN_bEUlT_E_NS1_11comp_targetILNS1_3genE2ELNS1_11target_archE906ELNS1_3gpuE6ELNS1_3repE0EEENS1_30default_config_static_selectorELNS0_4arch9wavefront6targetE1EEEvT1_
    .private_segment_fixed_size: 0
    .sgpr_count:     4
    .sgpr_spill_count: 0
    .symbol:         _ZN7rocprim17ROCPRIM_400000_NS6detail17trampoline_kernelINS0_14default_configENS1_25transform_config_selectorIhLb0EEEZNS1_14transform_implILb0ES3_S5_NS0_18transform_iteratorINS0_17counting_iteratorImlEEZNS1_24adjacent_difference_implIS3_Lb1ELb0EPhSB_N6thrust23THRUST_200600_302600_NS5minusIhEEEE10hipError_tPvRmT2_T3_mT4_P12ihipStream_tbEUlmE_hEESB_NS0_8identityIvEEEESG_SJ_SK_mSL_SN_bEUlT_E_NS1_11comp_targetILNS1_3genE2ELNS1_11target_archE906ELNS1_3gpuE6ELNS1_3repE0EEENS1_30default_config_static_selectorELNS0_4arch9wavefront6targetE1EEEvT1_.kd
    .uniform_work_group_size: 1
    .uses_dynamic_stack: false
    .vgpr_count:     0
    .vgpr_spill_count: 0
    .wavefront_size: 64
  - .agpr_count:     0
    .args:
      - .offset:         0
        .size:           56
        .value_kind:     by_value
    .group_segment_fixed_size: 0
    .kernarg_segment_align: 8
    .kernarg_segment_size: 56
    .language:       OpenCL C
    .language_version:
      - 2
      - 0
    .max_flat_workgroup_size: 256
    .name:           _ZN7rocprim17ROCPRIM_400000_NS6detail17trampoline_kernelINS0_14default_configENS1_25transform_config_selectorIhLb0EEEZNS1_14transform_implILb0ES3_S5_NS0_18transform_iteratorINS0_17counting_iteratorImlEEZNS1_24adjacent_difference_implIS3_Lb1ELb0EPhSB_N6thrust23THRUST_200600_302600_NS5minusIhEEEE10hipError_tPvRmT2_T3_mT4_P12ihipStream_tbEUlmE_hEESB_NS0_8identityIvEEEESG_SJ_SK_mSL_SN_bEUlT_E_NS1_11comp_targetILNS1_3genE10ELNS1_11target_archE1201ELNS1_3gpuE5ELNS1_3repE0EEENS1_30default_config_static_selectorELNS0_4arch9wavefront6targetE1EEEvT1_
    .private_segment_fixed_size: 0
    .sgpr_count:     4
    .sgpr_spill_count: 0
    .symbol:         _ZN7rocprim17ROCPRIM_400000_NS6detail17trampoline_kernelINS0_14default_configENS1_25transform_config_selectorIhLb0EEEZNS1_14transform_implILb0ES3_S5_NS0_18transform_iteratorINS0_17counting_iteratorImlEEZNS1_24adjacent_difference_implIS3_Lb1ELb0EPhSB_N6thrust23THRUST_200600_302600_NS5minusIhEEEE10hipError_tPvRmT2_T3_mT4_P12ihipStream_tbEUlmE_hEESB_NS0_8identityIvEEEESG_SJ_SK_mSL_SN_bEUlT_E_NS1_11comp_targetILNS1_3genE10ELNS1_11target_archE1201ELNS1_3gpuE5ELNS1_3repE0EEENS1_30default_config_static_selectorELNS0_4arch9wavefront6targetE1EEEvT1_.kd
    .uniform_work_group_size: 1
    .uses_dynamic_stack: false
    .vgpr_count:     0
    .vgpr_spill_count: 0
    .wavefront_size: 64
  - .agpr_count:     0
    .args:
      - .offset:         0
        .size:           56
        .value_kind:     by_value
    .group_segment_fixed_size: 0
    .kernarg_segment_align: 8
    .kernarg_segment_size: 56
    .language:       OpenCL C
    .language_version:
      - 2
      - 0
    .max_flat_workgroup_size: 256
    .name:           _ZN7rocprim17ROCPRIM_400000_NS6detail17trampoline_kernelINS0_14default_configENS1_25transform_config_selectorIhLb0EEEZNS1_14transform_implILb0ES3_S5_NS0_18transform_iteratorINS0_17counting_iteratorImlEEZNS1_24adjacent_difference_implIS3_Lb1ELb0EPhSB_N6thrust23THRUST_200600_302600_NS5minusIhEEEE10hipError_tPvRmT2_T3_mT4_P12ihipStream_tbEUlmE_hEESB_NS0_8identityIvEEEESG_SJ_SK_mSL_SN_bEUlT_E_NS1_11comp_targetILNS1_3genE10ELNS1_11target_archE1200ELNS1_3gpuE4ELNS1_3repE0EEENS1_30default_config_static_selectorELNS0_4arch9wavefront6targetE1EEEvT1_
    .private_segment_fixed_size: 0
    .sgpr_count:     4
    .sgpr_spill_count: 0
    .symbol:         _ZN7rocprim17ROCPRIM_400000_NS6detail17trampoline_kernelINS0_14default_configENS1_25transform_config_selectorIhLb0EEEZNS1_14transform_implILb0ES3_S5_NS0_18transform_iteratorINS0_17counting_iteratorImlEEZNS1_24adjacent_difference_implIS3_Lb1ELb0EPhSB_N6thrust23THRUST_200600_302600_NS5minusIhEEEE10hipError_tPvRmT2_T3_mT4_P12ihipStream_tbEUlmE_hEESB_NS0_8identityIvEEEESG_SJ_SK_mSL_SN_bEUlT_E_NS1_11comp_targetILNS1_3genE10ELNS1_11target_archE1200ELNS1_3gpuE4ELNS1_3repE0EEENS1_30default_config_static_selectorELNS0_4arch9wavefront6targetE1EEEvT1_.kd
    .uniform_work_group_size: 1
    .uses_dynamic_stack: false
    .vgpr_count:     0
    .vgpr_spill_count: 0
    .wavefront_size: 64
  - .agpr_count:     0
    .args:
      - .offset:         0
        .size:           56
        .value_kind:     by_value
    .group_segment_fixed_size: 0
    .kernarg_segment_align: 8
    .kernarg_segment_size: 56
    .language:       OpenCL C
    .language_version:
      - 2
      - 0
    .max_flat_workgroup_size: 1024
    .name:           _ZN7rocprim17ROCPRIM_400000_NS6detail17trampoline_kernelINS0_14default_configENS1_25transform_config_selectorIhLb0EEEZNS1_14transform_implILb0ES3_S5_NS0_18transform_iteratorINS0_17counting_iteratorImlEEZNS1_24adjacent_difference_implIS3_Lb1ELb0EPhSB_N6thrust23THRUST_200600_302600_NS5minusIhEEEE10hipError_tPvRmT2_T3_mT4_P12ihipStream_tbEUlmE_hEESB_NS0_8identityIvEEEESG_SJ_SK_mSL_SN_bEUlT_E_NS1_11comp_targetILNS1_3genE9ELNS1_11target_archE1100ELNS1_3gpuE3ELNS1_3repE0EEENS1_30default_config_static_selectorELNS0_4arch9wavefront6targetE1EEEvT1_
    .private_segment_fixed_size: 0
    .sgpr_count:     4
    .sgpr_spill_count: 0
    .symbol:         _ZN7rocprim17ROCPRIM_400000_NS6detail17trampoline_kernelINS0_14default_configENS1_25transform_config_selectorIhLb0EEEZNS1_14transform_implILb0ES3_S5_NS0_18transform_iteratorINS0_17counting_iteratorImlEEZNS1_24adjacent_difference_implIS3_Lb1ELb0EPhSB_N6thrust23THRUST_200600_302600_NS5minusIhEEEE10hipError_tPvRmT2_T3_mT4_P12ihipStream_tbEUlmE_hEESB_NS0_8identityIvEEEESG_SJ_SK_mSL_SN_bEUlT_E_NS1_11comp_targetILNS1_3genE9ELNS1_11target_archE1100ELNS1_3gpuE3ELNS1_3repE0EEENS1_30default_config_static_selectorELNS0_4arch9wavefront6targetE1EEEvT1_.kd
    .uniform_work_group_size: 1
    .uses_dynamic_stack: false
    .vgpr_count:     0
    .vgpr_spill_count: 0
    .wavefront_size: 64
  - .agpr_count:     0
    .args:
      - .offset:         0
        .size:           56
        .value_kind:     by_value
    .group_segment_fixed_size: 0
    .kernarg_segment_align: 8
    .kernarg_segment_size: 56
    .language:       OpenCL C
    .language_version:
      - 2
      - 0
    .max_flat_workgroup_size: 128
    .name:           _ZN7rocprim17ROCPRIM_400000_NS6detail17trampoline_kernelINS0_14default_configENS1_25transform_config_selectorIhLb0EEEZNS1_14transform_implILb0ES3_S5_NS0_18transform_iteratorINS0_17counting_iteratorImlEEZNS1_24adjacent_difference_implIS3_Lb1ELb0EPhSB_N6thrust23THRUST_200600_302600_NS5minusIhEEEE10hipError_tPvRmT2_T3_mT4_P12ihipStream_tbEUlmE_hEESB_NS0_8identityIvEEEESG_SJ_SK_mSL_SN_bEUlT_E_NS1_11comp_targetILNS1_3genE8ELNS1_11target_archE1030ELNS1_3gpuE2ELNS1_3repE0EEENS1_30default_config_static_selectorELNS0_4arch9wavefront6targetE1EEEvT1_
    .private_segment_fixed_size: 0
    .sgpr_count:     4
    .sgpr_spill_count: 0
    .symbol:         _ZN7rocprim17ROCPRIM_400000_NS6detail17trampoline_kernelINS0_14default_configENS1_25transform_config_selectorIhLb0EEEZNS1_14transform_implILb0ES3_S5_NS0_18transform_iteratorINS0_17counting_iteratorImlEEZNS1_24adjacent_difference_implIS3_Lb1ELb0EPhSB_N6thrust23THRUST_200600_302600_NS5minusIhEEEE10hipError_tPvRmT2_T3_mT4_P12ihipStream_tbEUlmE_hEESB_NS0_8identityIvEEEESG_SJ_SK_mSL_SN_bEUlT_E_NS1_11comp_targetILNS1_3genE8ELNS1_11target_archE1030ELNS1_3gpuE2ELNS1_3repE0EEENS1_30default_config_static_selectorELNS0_4arch9wavefront6targetE1EEEvT1_.kd
    .uniform_work_group_size: 1
    .uses_dynamic_stack: false
    .vgpr_count:     0
    .vgpr_spill_count: 0
    .wavefront_size: 64
  - .agpr_count:     0
    .args:
      - .offset:         0
        .size:           56
        .value_kind:     by_value
    .group_segment_fixed_size: 0
    .kernarg_segment_align: 8
    .kernarg_segment_size: 56
    .language:       OpenCL C
    .language_version:
      - 2
      - 0
    .max_flat_workgroup_size: 64
    .name:           _ZN7rocprim17ROCPRIM_400000_NS6detail17trampoline_kernelINS0_14default_configENS1_35adjacent_difference_config_selectorILb1EhEEZNS1_24adjacent_difference_implIS3_Lb1ELb0EPhS7_N6thrust23THRUST_200600_302600_NS5minusIhEEEE10hipError_tPvRmT2_T3_mT4_P12ihipStream_tbEUlT_E_NS1_11comp_targetILNS1_3genE0ELNS1_11target_archE4294967295ELNS1_3gpuE0ELNS1_3repE0EEENS1_30default_config_static_selectorELNS0_4arch9wavefront6targetE1EEEvT1_
    .private_segment_fixed_size: 0
    .sgpr_count:     4
    .sgpr_spill_count: 0
    .symbol:         _ZN7rocprim17ROCPRIM_400000_NS6detail17trampoline_kernelINS0_14default_configENS1_35adjacent_difference_config_selectorILb1EhEEZNS1_24adjacent_difference_implIS3_Lb1ELb0EPhS7_N6thrust23THRUST_200600_302600_NS5minusIhEEEE10hipError_tPvRmT2_T3_mT4_P12ihipStream_tbEUlT_E_NS1_11comp_targetILNS1_3genE0ELNS1_11target_archE4294967295ELNS1_3gpuE0ELNS1_3repE0EEENS1_30default_config_static_selectorELNS0_4arch9wavefront6targetE1EEEvT1_.kd
    .uniform_work_group_size: 1
    .uses_dynamic_stack: false
    .vgpr_count:     0
    .vgpr_spill_count: 0
    .wavefront_size: 64
  - .agpr_count:     0
    .args:
      - .offset:         0
        .size:           56
        .value_kind:     by_value
    .group_segment_fixed_size: 0
    .kernarg_segment_align: 8
    .kernarg_segment_size: 56
    .language:       OpenCL C
    .language_version:
      - 2
      - 0
    .max_flat_workgroup_size: 128
    .name:           _ZN7rocprim17ROCPRIM_400000_NS6detail17trampoline_kernelINS0_14default_configENS1_35adjacent_difference_config_selectorILb1EhEEZNS1_24adjacent_difference_implIS3_Lb1ELb0EPhS7_N6thrust23THRUST_200600_302600_NS5minusIhEEEE10hipError_tPvRmT2_T3_mT4_P12ihipStream_tbEUlT_E_NS1_11comp_targetILNS1_3genE10ELNS1_11target_archE1201ELNS1_3gpuE5ELNS1_3repE0EEENS1_30default_config_static_selectorELNS0_4arch9wavefront6targetE1EEEvT1_
    .private_segment_fixed_size: 0
    .sgpr_count:     4
    .sgpr_spill_count: 0
    .symbol:         _ZN7rocprim17ROCPRIM_400000_NS6detail17trampoline_kernelINS0_14default_configENS1_35adjacent_difference_config_selectorILb1EhEEZNS1_24adjacent_difference_implIS3_Lb1ELb0EPhS7_N6thrust23THRUST_200600_302600_NS5minusIhEEEE10hipError_tPvRmT2_T3_mT4_P12ihipStream_tbEUlT_E_NS1_11comp_targetILNS1_3genE10ELNS1_11target_archE1201ELNS1_3gpuE5ELNS1_3repE0EEENS1_30default_config_static_selectorELNS0_4arch9wavefront6targetE1EEEvT1_.kd
    .uniform_work_group_size: 1
    .uses_dynamic_stack: false
    .vgpr_count:     0
    .vgpr_spill_count: 0
    .wavefront_size: 64
  - .agpr_count:     0
    .args:
      - .offset:         0
        .size:           56
        .value_kind:     by_value
    .group_segment_fixed_size: 0
    .kernarg_segment_align: 8
    .kernarg_segment_size: 56
    .language:       OpenCL C
    .language_version:
      - 2
      - 0
    .max_flat_workgroup_size: 128
    .name:           _ZN7rocprim17ROCPRIM_400000_NS6detail17trampoline_kernelINS0_14default_configENS1_35adjacent_difference_config_selectorILb1EhEEZNS1_24adjacent_difference_implIS3_Lb1ELb0EPhS7_N6thrust23THRUST_200600_302600_NS5minusIhEEEE10hipError_tPvRmT2_T3_mT4_P12ihipStream_tbEUlT_E_NS1_11comp_targetILNS1_3genE5ELNS1_11target_archE942ELNS1_3gpuE9ELNS1_3repE0EEENS1_30default_config_static_selectorELNS0_4arch9wavefront6targetE1EEEvT1_
    .private_segment_fixed_size: 0
    .sgpr_count:     4
    .sgpr_spill_count: 0
    .symbol:         _ZN7rocprim17ROCPRIM_400000_NS6detail17trampoline_kernelINS0_14default_configENS1_35adjacent_difference_config_selectorILb1EhEEZNS1_24adjacent_difference_implIS3_Lb1ELb0EPhS7_N6thrust23THRUST_200600_302600_NS5minusIhEEEE10hipError_tPvRmT2_T3_mT4_P12ihipStream_tbEUlT_E_NS1_11comp_targetILNS1_3genE5ELNS1_11target_archE942ELNS1_3gpuE9ELNS1_3repE0EEENS1_30default_config_static_selectorELNS0_4arch9wavefront6targetE1EEEvT1_.kd
    .uniform_work_group_size: 1
    .uses_dynamic_stack: false
    .vgpr_count:     0
    .vgpr_spill_count: 0
    .wavefront_size: 64
  - .agpr_count:     0
    .args:
      - .offset:         0
        .size:           56
        .value_kind:     by_value
    .group_segment_fixed_size: 2432
    .kernarg_segment_align: 8
    .kernarg_segment_size: 56
    .language:       OpenCL C
    .language_version:
      - 2
      - 0
    .max_flat_workgroup_size: 128
    .name:           _ZN7rocprim17ROCPRIM_400000_NS6detail17trampoline_kernelINS0_14default_configENS1_35adjacent_difference_config_selectorILb1EhEEZNS1_24adjacent_difference_implIS3_Lb1ELb0EPhS7_N6thrust23THRUST_200600_302600_NS5minusIhEEEE10hipError_tPvRmT2_T3_mT4_P12ihipStream_tbEUlT_E_NS1_11comp_targetILNS1_3genE4ELNS1_11target_archE910ELNS1_3gpuE8ELNS1_3repE0EEENS1_30default_config_static_selectorELNS0_4arch9wavefront6targetE1EEEvT1_
    .private_segment_fixed_size: 0
    .sgpr_count:     31
    .sgpr_spill_count: 0
    .symbol:         _ZN7rocprim17ROCPRIM_400000_NS6detail17trampoline_kernelINS0_14default_configENS1_35adjacent_difference_config_selectorILb1EhEEZNS1_24adjacent_difference_implIS3_Lb1ELb0EPhS7_N6thrust23THRUST_200600_302600_NS5minusIhEEEE10hipError_tPvRmT2_T3_mT4_P12ihipStream_tbEUlT_E_NS1_11comp_targetILNS1_3genE4ELNS1_11target_archE910ELNS1_3gpuE8ELNS1_3repE0EEENS1_30default_config_static_selectorELNS0_4arch9wavefront6targetE1EEEvT1_.kd
    .uniform_work_group_size: 1
    .uses_dynamic_stack: false
    .vgpr_count:     34
    .vgpr_spill_count: 0
    .wavefront_size: 64
  - .agpr_count:     0
    .args:
      - .offset:         0
        .size:           56
        .value_kind:     by_value
    .group_segment_fixed_size: 0
    .kernarg_segment_align: 8
    .kernarg_segment_size: 56
    .language:       OpenCL C
    .language_version:
      - 2
      - 0
    .max_flat_workgroup_size: 64
    .name:           _ZN7rocprim17ROCPRIM_400000_NS6detail17trampoline_kernelINS0_14default_configENS1_35adjacent_difference_config_selectorILb1EhEEZNS1_24adjacent_difference_implIS3_Lb1ELb0EPhS7_N6thrust23THRUST_200600_302600_NS5minusIhEEEE10hipError_tPvRmT2_T3_mT4_P12ihipStream_tbEUlT_E_NS1_11comp_targetILNS1_3genE3ELNS1_11target_archE908ELNS1_3gpuE7ELNS1_3repE0EEENS1_30default_config_static_selectorELNS0_4arch9wavefront6targetE1EEEvT1_
    .private_segment_fixed_size: 0
    .sgpr_count:     4
    .sgpr_spill_count: 0
    .symbol:         _ZN7rocprim17ROCPRIM_400000_NS6detail17trampoline_kernelINS0_14default_configENS1_35adjacent_difference_config_selectorILb1EhEEZNS1_24adjacent_difference_implIS3_Lb1ELb0EPhS7_N6thrust23THRUST_200600_302600_NS5minusIhEEEE10hipError_tPvRmT2_T3_mT4_P12ihipStream_tbEUlT_E_NS1_11comp_targetILNS1_3genE3ELNS1_11target_archE908ELNS1_3gpuE7ELNS1_3repE0EEENS1_30default_config_static_selectorELNS0_4arch9wavefront6targetE1EEEvT1_.kd
    .uniform_work_group_size: 1
    .uses_dynamic_stack: false
    .vgpr_count:     0
    .vgpr_spill_count: 0
    .wavefront_size: 64
  - .agpr_count:     0
    .args:
      - .offset:         0
        .size:           56
        .value_kind:     by_value
    .group_segment_fixed_size: 0
    .kernarg_segment_align: 8
    .kernarg_segment_size: 56
    .language:       OpenCL C
    .language_version:
      - 2
      - 0
    .max_flat_workgroup_size: 64
    .name:           _ZN7rocprim17ROCPRIM_400000_NS6detail17trampoline_kernelINS0_14default_configENS1_35adjacent_difference_config_selectorILb1EhEEZNS1_24adjacent_difference_implIS3_Lb1ELb0EPhS7_N6thrust23THRUST_200600_302600_NS5minusIhEEEE10hipError_tPvRmT2_T3_mT4_P12ihipStream_tbEUlT_E_NS1_11comp_targetILNS1_3genE2ELNS1_11target_archE906ELNS1_3gpuE6ELNS1_3repE0EEENS1_30default_config_static_selectorELNS0_4arch9wavefront6targetE1EEEvT1_
    .private_segment_fixed_size: 0
    .sgpr_count:     4
    .sgpr_spill_count: 0
    .symbol:         _ZN7rocprim17ROCPRIM_400000_NS6detail17trampoline_kernelINS0_14default_configENS1_35adjacent_difference_config_selectorILb1EhEEZNS1_24adjacent_difference_implIS3_Lb1ELb0EPhS7_N6thrust23THRUST_200600_302600_NS5minusIhEEEE10hipError_tPvRmT2_T3_mT4_P12ihipStream_tbEUlT_E_NS1_11comp_targetILNS1_3genE2ELNS1_11target_archE906ELNS1_3gpuE6ELNS1_3repE0EEENS1_30default_config_static_selectorELNS0_4arch9wavefront6targetE1EEEvT1_.kd
    .uniform_work_group_size: 1
    .uses_dynamic_stack: false
    .vgpr_count:     0
    .vgpr_spill_count: 0
    .wavefront_size: 64
  - .agpr_count:     0
    .args:
      - .offset:         0
        .size:           56
        .value_kind:     by_value
    .group_segment_fixed_size: 0
    .kernarg_segment_align: 8
    .kernarg_segment_size: 56
    .language:       OpenCL C
    .language_version:
      - 2
      - 0
    .max_flat_workgroup_size: 512
    .name:           _ZN7rocprim17ROCPRIM_400000_NS6detail17trampoline_kernelINS0_14default_configENS1_35adjacent_difference_config_selectorILb1EhEEZNS1_24adjacent_difference_implIS3_Lb1ELb0EPhS7_N6thrust23THRUST_200600_302600_NS5minusIhEEEE10hipError_tPvRmT2_T3_mT4_P12ihipStream_tbEUlT_E_NS1_11comp_targetILNS1_3genE9ELNS1_11target_archE1100ELNS1_3gpuE3ELNS1_3repE0EEENS1_30default_config_static_selectorELNS0_4arch9wavefront6targetE1EEEvT1_
    .private_segment_fixed_size: 0
    .sgpr_count:     4
    .sgpr_spill_count: 0
    .symbol:         _ZN7rocprim17ROCPRIM_400000_NS6detail17trampoline_kernelINS0_14default_configENS1_35adjacent_difference_config_selectorILb1EhEEZNS1_24adjacent_difference_implIS3_Lb1ELb0EPhS7_N6thrust23THRUST_200600_302600_NS5minusIhEEEE10hipError_tPvRmT2_T3_mT4_P12ihipStream_tbEUlT_E_NS1_11comp_targetILNS1_3genE9ELNS1_11target_archE1100ELNS1_3gpuE3ELNS1_3repE0EEENS1_30default_config_static_selectorELNS0_4arch9wavefront6targetE1EEEvT1_.kd
    .uniform_work_group_size: 1
    .uses_dynamic_stack: false
    .vgpr_count:     0
    .vgpr_spill_count: 0
    .wavefront_size: 64
  - .agpr_count:     0
    .args:
      - .offset:         0
        .size:           56
        .value_kind:     by_value
    .group_segment_fixed_size: 0
    .kernarg_segment_align: 8
    .kernarg_segment_size: 56
    .language:       OpenCL C
    .language_version:
      - 2
      - 0
    .max_flat_workgroup_size: 1024
    .name:           _ZN7rocprim17ROCPRIM_400000_NS6detail17trampoline_kernelINS0_14default_configENS1_35adjacent_difference_config_selectorILb1EhEEZNS1_24adjacent_difference_implIS3_Lb1ELb0EPhS7_N6thrust23THRUST_200600_302600_NS5minusIhEEEE10hipError_tPvRmT2_T3_mT4_P12ihipStream_tbEUlT_E_NS1_11comp_targetILNS1_3genE8ELNS1_11target_archE1030ELNS1_3gpuE2ELNS1_3repE0EEENS1_30default_config_static_selectorELNS0_4arch9wavefront6targetE1EEEvT1_
    .private_segment_fixed_size: 0
    .sgpr_count:     4
    .sgpr_spill_count: 0
    .symbol:         _ZN7rocprim17ROCPRIM_400000_NS6detail17trampoline_kernelINS0_14default_configENS1_35adjacent_difference_config_selectorILb1EhEEZNS1_24adjacent_difference_implIS3_Lb1ELb0EPhS7_N6thrust23THRUST_200600_302600_NS5minusIhEEEE10hipError_tPvRmT2_T3_mT4_P12ihipStream_tbEUlT_E_NS1_11comp_targetILNS1_3genE8ELNS1_11target_archE1030ELNS1_3gpuE2ELNS1_3repE0EEENS1_30default_config_static_selectorELNS0_4arch9wavefront6targetE1EEEvT1_.kd
    .uniform_work_group_size: 1
    .uses_dynamic_stack: false
    .vgpr_count:     0
    .vgpr_spill_count: 0
    .wavefront_size: 64
  - .agpr_count:     0
    .args:
      - .offset:         0
        .size:           56
        .value_kind:     by_value
    .group_segment_fixed_size: 0
    .kernarg_segment_align: 8
    .kernarg_segment_size: 56
    .language:       OpenCL C
    .language_version:
      - 2
      - 0
    .max_flat_workgroup_size: 64
    .name:           _ZN7rocprim17ROCPRIM_400000_NS6detail17trampoline_kernelINS0_14default_configENS1_35adjacent_difference_config_selectorILb0EhEEZNS1_24adjacent_difference_implIS3_Lb0ELb0EPhS7_N6thrust23THRUST_200600_302600_NS4plusIhEEEE10hipError_tPvRmT2_T3_mT4_P12ihipStream_tbEUlT_E_NS1_11comp_targetILNS1_3genE0ELNS1_11target_archE4294967295ELNS1_3gpuE0ELNS1_3repE0EEENS1_30default_config_static_selectorELNS0_4arch9wavefront6targetE1EEEvT1_
    .private_segment_fixed_size: 0
    .sgpr_count:     4
    .sgpr_spill_count: 0
    .symbol:         _ZN7rocprim17ROCPRIM_400000_NS6detail17trampoline_kernelINS0_14default_configENS1_35adjacent_difference_config_selectorILb0EhEEZNS1_24adjacent_difference_implIS3_Lb0ELb0EPhS7_N6thrust23THRUST_200600_302600_NS4plusIhEEEE10hipError_tPvRmT2_T3_mT4_P12ihipStream_tbEUlT_E_NS1_11comp_targetILNS1_3genE0ELNS1_11target_archE4294967295ELNS1_3gpuE0ELNS1_3repE0EEENS1_30default_config_static_selectorELNS0_4arch9wavefront6targetE1EEEvT1_.kd
    .uniform_work_group_size: 1
    .uses_dynamic_stack: false
    .vgpr_count:     0
    .vgpr_spill_count: 0
    .wavefront_size: 64
  - .agpr_count:     0
    .args:
      - .offset:         0
        .size:           56
        .value_kind:     by_value
    .group_segment_fixed_size: 0
    .kernarg_segment_align: 8
    .kernarg_segment_size: 56
    .language:       OpenCL C
    .language_version:
      - 2
      - 0
    .max_flat_workgroup_size: 1024
    .name:           _ZN7rocprim17ROCPRIM_400000_NS6detail17trampoline_kernelINS0_14default_configENS1_35adjacent_difference_config_selectorILb0EhEEZNS1_24adjacent_difference_implIS3_Lb0ELb0EPhS7_N6thrust23THRUST_200600_302600_NS4plusIhEEEE10hipError_tPvRmT2_T3_mT4_P12ihipStream_tbEUlT_E_NS1_11comp_targetILNS1_3genE10ELNS1_11target_archE1201ELNS1_3gpuE5ELNS1_3repE0EEENS1_30default_config_static_selectorELNS0_4arch9wavefront6targetE1EEEvT1_
    .private_segment_fixed_size: 0
    .sgpr_count:     4
    .sgpr_spill_count: 0
    .symbol:         _ZN7rocprim17ROCPRIM_400000_NS6detail17trampoline_kernelINS0_14default_configENS1_35adjacent_difference_config_selectorILb0EhEEZNS1_24adjacent_difference_implIS3_Lb0ELb0EPhS7_N6thrust23THRUST_200600_302600_NS4plusIhEEEE10hipError_tPvRmT2_T3_mT4_P12ihipStream_tbEUlT_E_NS1_11comp_targetILNS1_3genE10ELNS1_11target_archE1201ELNS1_3gpuE5ELNS1_3repE0EEENS1_30default_config_static_selectorELNS0_4arch9wavefront6targetE1EEEvT1_.kd
    .uniform_work_group_size: 1
    .uses_dynamic_stack: false
    .vgpr_count:     0
    .vgpr_spill_count: 0
    .wavefront_size: 64
  - .agpr_count:     0
    .args:
      - .offset:         0
        .size:           56
        .value_kind:     by_value
    .group_segment_fixed_size: 0
    .kernarg_segment_align: 8
    .kernarg_segment_size: 56
    .language:       OpenCL C
    .language_version:
      - 2
      - 0
    .max_flat_workgroup_size: 128
    .name:           _ZN7rocprim17ROCPRIM_400000_NS6detail17trampoline_kernelINS0_14default_configENS1_35adjacent_difference_config_selectorILb0EhEEZNS1_24adjacent_difference_implIS3_Lb0ELb0EPhS7_N6thrust23THRUST_200600_302600_NS4plusIhEEEE10hipError_tPvRmT2_T3_mT4_P12ihipStream_tbEUlT_E_NS1_11comp_targetILNS1_3genE5ELNS1_11target_archE942ELNS1_3gpuE9ELNS1_3repE0EEENS1_30default_config_static_selectorELNS0_4arch9wavefront6targetE1EEEvT1_
    .private_segment_fixed_size: 0
    .sgpr_count:     4
    .sgpr_spill_count: 0
    .symbol:         _ZN7rocprim17ROCPRIM_400000_NS6detail17trampoline_kernelINS0_14default_configENS1_35adjacent_difference_config_selectorILb0EhEEZNS1_24adjacent_difference_implIS3_Lb0ELb0EPhS7_N6thrust23THRUST_200600_302600_NS4plusIhEEEE10hipError_tPvRmT2_T3_mT4_P12ihipStream_tbEUlT_E_NS1_11comp_targetILNS1_3genE5ELNS1_11target_archE942ELNS1_3gpuE9ELNS1_3repE0EEENS1_30default_config_static_selectorELNS0_4arch9wavefront6targetE1EEEvT1_.kd
    .uniform_work_group_size: 1
    .uses_dynamic_stack: false
    .vgpr_count:     0
    .vgpr_spill_count: 0
    .wavefront_size: 64
  - .agpr_count:     0
    .args:
      - .offset:         0
        .size:           56
        .value_kind:     by_value
    .group_segment_fixed_size: 1216
    .kernarg_segment_align: 8
    .kernarg_segment_size: 56
    .language:       OpenCL C
    .language_version:
      - 2
      - 0
    .max_flat_workgroup_size: 64
    .name:           _ZN7rocprim17ROCPRIM_400000_NS6detail17trampoline_kernelINS0_14default_configENS1_35adjacent_difference_config_selectorILb0EhEEZNS1_24adjacent_difference_implIS3_Lb0ELb0EPhS7_N6thrust23THRUST_200600_302600_NS4plusIhEEEE10hipError_tPvRmT2_T3_mT4_P12ihipStream_tbEUlT_E_NS1_11comp_targetILNS1_3genE4ELNS1_11target_archE910ELNS1_3gpuE8ELNS1_3repE0EEENS1_30default_config_static_selectorELNS0_4arch9wavefront6targetE1EEEvT1_
    .private_segment_fixed_size: 0
    .sgpr_count:     52
    .sgpr_spill_count: 0
    .symbol:         _ZN7rocprim17ROCPRIM_400000_NS6detail17trampoline_kernelINS0_14default_configENS1_35adjacent_difference_config_selectorILb0EhEEZNS1_24adjacent_difference_implIS3_Lb0ELb0EPhS7_N6thrust23THRUST_200600_302600_NS4plusIhEEEE10hipError_tPvRmT2_T3_mT4_P12ihipStream_tbEUlT_E_NS1_11comp_targetILNS1_3genE4ELNS1_11target_archE910ELNS1_3gpuE8ELNS1_3repE0EEENS1_30default_config_static_selectorELNS0_4arch9wavefront6targetE1EEEvT1_.kd
    .uniform_work_group_size: 1
    .uses_dynamic_stack: false
    .vgpr_count:     42
    .vgpr_spill_count: 0
    .wavefront_size: 64
  - .agpr_count:     0
    .args:
      - .offset:         0
        .size:           56
        .value_kind:     by_value
    .group_segment_fixed_size: 0
    .kernarg_segment_align: 8
    .kernarg_segment_size: 56
    .language:       OpenCL C
    .language_version:
      - 2
      - 0
    .max_flat_workgroup_size: 64
    .name:           _ZN7rocprim17ROCPRIM_400000_NS6detail17trampoline_kernelINS0_14default_configENS1_35adjacent_difference_config_selectorILb0EhEEZNS1_24adjacent_difference_implIS3_Lb0ELb0EPhS7_N6thrust23THRUST_200600_302600_NS4plusIhEEEE10hipError_tPvRmT2_T3_mT4_P12ihipStream_tbEUlT_E_NS1_11comp_targetILNS1_3genE3ELNS1_11target_archE908ELNS1_3gpuE7ELNS1_3repE0EEENS1_30default_config_static_selectorELNS0_4arch9wavefront6targetE1EEEvT1_
    .private_segment_fixed_size: 0
    .sgpr_count:     4
    .sgpr_spill_count: 0
    .symbol:         _ZN7rocprim17ROCPRIM_400000_NS6detail17trampoline_kernelINS0_14default_configENS1_35adjacent_difference_config_selectorILb0EhEEZNS1_24adjacent_difference_implIS3_Lb0ELb0EPhS7_N6thrust23THRUST_200600_302600_NS4plusIhEEEE10hipError_tPvRmT2_T3_mT4_P12ihipStream_tbEUlT_E_NS1_11comp_targetILNS1_3genE3ELNS1_11target_archE908ELNS1_3gpuE7ELNS1_3repE0EEENS1_30default_config_static_selectorELNS0_4arch9wavefront6targetE1EEEvT1_.kd
    .uniform_work_group_size: 1
    .uses_dynamic_stack: false
    .vgpr_count:     0
    .vgpr_spill_count: 0
    .wavefront_size: 64
  - .agpr_count:     0
    .args:
      - .offset:         0
        .size:           56
        .value_kind:     by_value
    .group_segment_fixed_size: 0
    .kernarg_segment_align: 8
    .kernarg_segment_size: 56
    .language:       OpenCL C
    .language_version:
      - 2
      - 0
    .max_flat_workgroup_size: 64
    .name:           _ZN7rocprim17ROCPRIM_400000_NS6detail17trampoline_kernelINS0_14default_configENS1_35adjacent_difference_config_selectorILb0EhEEZNS1_24adjacent_difference_implIS3_Lb0ELb0EPhS7_N6thrust23THRUST_200600_302600_NS4plusIhEEEE10hipError_tPvRmT2_T3_mT4_P12ihipStream_tbEUlT_E_NS1_11comp_targetILNS1_3genE2ELNS1_11target_archE906ELNS1_3gpuE6ELNS1_3repE0EEENS1_30default_config_static_selectorELNS0_4arch9wavefront6targetE1EEEvT1_
    .private_segment_fixed_size: 0
    .sgpr_count:     4
    .sgpr_spill_count: 0
    .symbol:         _ZN7rocprim17ROCPRIM_400000_NS6detail17trampoline_kernelINS0_14default_configENS1_35adjacent_difference_config_selectorILb0EhEEZNS1_24adjacent_difference_implIS3_Lb0ELb0EPhS7_N6thrust23THRUST_200600_302600_NS4plusIhEEEE10hipError_tPvRmT2_T3_mT4_P12ihipStream_tbEUlT_E_NS1_11comp_targetILNS1_3genE2ELNS1_11target_archE906ELNS1_3gpuE6ELNS1_3repE0EEENS1_30default_config_static_selectorELNS0_4arch9wavefront6targetE1EEEvT1_.kd
    .uniform_work_group_size: 1
    .uses_dynamic_stack: false
    .vgpr_count:     0
    .vgpr_spill_count: 0
    .wavefront_size: 64
  - .agpr_count:     0
    .args:
      - .offset:         0
        .size:           56
        .value_kind:     by_value
    .group_segment_fixed_size: 0
    .kernarg_segment_align: 8
    .kernarg_segment_size: 56
    .language:       OpenCL C
    .language_version:
      - 2
      - 0
    .max_flat_workgroup_size: 64
    .name:           _ZN7rocprim17ROCPRIM_400000_NS6detail17trampoline_kernelINS0_14default_configENS1_35adjacent_difference_config_selectorILb0EhEEZNS1_24adjacent_difference_implIS3_Lb0ELb0EPhS7_N6thrust23THRUST_200600_302600_NS4plusIhEEEE10hipError_tPvRmT2_T3_mT4_P12ihipStream_tbEUlT_E_NS1_11comp_targetILNS1_3genE9ELNS1_11target_archE1100ELNS1_3gpuE3ELNS1_3repE0EEENS1_30default_config_static_selectorELNS0_4arch9wavefront6targetE1EEEvT1_
    .private_segment_fixed_size: 0
    .sgpr_count:     4
    .sgpr_spill_count: 0
    .symbol:         _ZN7rocprim17ROCPRIM_400000_NS6detail17trampoline_kernelINS0_14default_configENS1_35adjacent_difference_config_selectorILb0EhEEZNS1_24adjacent_difference_implIS3_Lb0ELb0EPhS7_N6thrust23THRUST_200600_302600_NS4plusIhEEEE10hipError_tPvRmT2_T3_mT4_P12ihipStream_tbEUlT_E_NS1_11comp_targetILNS1_3genE9ELNS1_11target_archE1100ELNS1_3gpuE3ELNS1_3repE0EEENS1_30default_config_static_selectorELNS0_4arch9wavefront6targetE1EEEvT1_.kd
    .uniform_work_group_size: 1
    .uses_dynamic_stack: false
    .vgpr_count:     0
    .vgpr_spill_count: 0
    .wavefront_size: 64
  - .agpr_count:     0
    .args:
      - .offset:         0
        .size:           56
        .value_kind:     by_value
    .group_segment_fixed_size: 0
    .kernarg_segment_align: 8
    .kernarg_segment_size: 56
    .language:       OpenCL C
    .language_version:
      - 2
      - 0
    .max_flat_workgroup_size: 64
    .name:           _ZN7rocprim17ROCPRIM_400000_NS6detail17trampoline_kernelINS0_14default_configENS1_35adjacent_difference_config_selectorILb0EhEEZNS1_24adjacent_difference_implIS3_Lb0ELb0EPhS7_N6thrust23THRUST_200600_302600_NS4plusIhEEEE10hipError_tPvRmT2_T3_mT4_P12ihipStream_tbEUlT_E_NS1_11comp_targetILNS1_3genE8ELNS1_11target_archE1030ELNS1_3gpuE2ELNS1_3repE0EEENS1_30default_config_static_selectorELNS0_4arch9wavefront6targetE1EEEvT1_
    .private_segment_fixed_size: 0
    .sgpr_count:     4
    .sgpr_spill_count: 0
    .symbol:         _ZN7rocprim17ROCPRIM_400000_NS6detail17trampoline_kernelINS0_14default_configENS1_35adjacent_difference_config_selectorILb0EhEEZNS1_24adjacent_difference_implIS3_Lb0ELb0EPhS7_N6thrust23THRUST_200600_302600_NS4plusIhEEEE10hipError_tPvRmT2_T3_mT4_P12ihipStream_tbEUlT_E_NS1_11comp_targetILNS1_3genE8ELNS1_11target_archE1030ELNS1_3gpuE2ELNS1_3repE0EEENS1_30default_config_static_selectorELNS0_4arch9wavefront6targetE1EEEvT1_.kd
    .uniform_work_group_size: 1
    .uses_dynamic_stack: false
    .vgpr_count:     0
    .vgpr_spill_count: 0
    .wavefront_size: 64
  - .agpr_count:     0
    .args:
      - .offset:         0
        .size:           56
        .value_kind:     by_value
    .group_segment_fixed_size: 0
    .kernarg_segment_align: 8
    .kernarg_segment_size: 56
    .language:       OpenCL C
    .language_version:
      - 2
      - 0
    .max_flat_workgroup_size: 128
    .name:           _ZN7rocprim17ROCPRIM_400000_NS6detail17trampoline_kernelINS0_14default_configENS1_25transform_config_selectorIhLb0EEEZNS1_14transform_implILb0ES3_S5_NS0_18transform_iteratorINS0_17counting_iteratorImlEEZNS1_24adjacent_difference_implIS3_Lb1ELb0EPhSB_N6thrust23THRUST_200600_302600_NS4plusIhEEEE10hipError_tPvRmT2_T3_mT4_P12ihipStream_tbEUlmE_hEESB_NS0_8identityIvEEEESG_SJ_SK_mSL_SN_bEUlT_E_NS1_11comp_targetILNS1_3genE0ELNS1_11target_archE4294967295ELNS1_3gpuE0ELNS1_3repE0EEENS1_30default_config_static_selectorELNS0_4arch9wavefront6targetE1EEEvT1_
    .private_segment_fixed_size: 0
    .sgpr_count:     4
    .sgpr_spill_count: 0
    .symbol:         _ZN7rocprim17ROCPRIM_400000_NS6detail17trampoline_kernelINS0_14default_configENS1_25transform_config_selectorIhLb0EEEZNS1_14transform_implILb0ES3_S5_NS0_18transform_iteratorINS0_17counting_iteratorImlEEZNS1_24adjacent_difference_implIS3_Lb1ELb0EPhSB_N6thrust23THRUST_200600_302600_NS4plusIhEEEE10hipError_tPvRmT2_T3_mT4_P12ihipStream_tbEUlmE_hEESB_NS0_8identityIvEEEESG_SJ_SK_mSL_SN_bEUlT_E_NS1_11comp_targetILNS1_3genE0ELNS1_11target_archE4294967295ELNS1_3gpuE0ELNS1_3repE0EEENS1_30default_config_static_selectorELNS0_4arch9wavefront6targetE1EEEvT1_.kd
    .uniform_work_group_size: 1
    .uses_dynamic_stack: false
    .vgpr_count:     0
    .vgpr_spill_count: 0
    .wavefront_size: 64
  - .agpr_count:     0
    .args:
      - .offset:         0
        .size:           56
        .value_kind:     by_value
    .group_segment_fixed_size: 0
    .kernarg_segment_align: 8
    .kernarg_segment_size: 56
    .language:       OpenCL C
    .language_version:
      - 2
      - 0
    .max_flat_workgroup_size: 1024
    .name:           _ZN7rocprim17ROCPRIM_400000_NS6detail17trampoline_kernelINS0_14default_configENS1_25transform_config_selectorIhLb0EEEZNS1_14transform_implILb0ES3_S5_NS0_18transform_iteratorINS0_17counting_iteratorImlEEZNS1_24adjacent_difference_implIS3_Lb1ELb0EPhSB_N6thrust23THRUST_200600_302600_NS4plusIhEEEE10hipError_tPvRmT2_T3_mT4_P12ihipStream_tbEUlmE_hEESB_NS0_8identityIvEEEESG_SJ_SK_mSL_SN_bEUlT_E_NS1_11comp_targetILNS1_3genE5ELNS1_11target_archE942ELNS1_3gpuE9ELNS1_3repE0EEENS1_30default_config_static_selectorELNS0_4arch9wavefront6targetE1EEEvT1_
    .private_segment_fixed_size: 0
    .sgpr_count:     4
    .sgpr_spill_count: 0
    .symbol:         _ZN7rocprim17ROCPRIM_400000_NS6detail17trampoline_kernelINS0_14default_configENS1_25transform_config_selectorIhLb0EEEZNS1_14transform_implILb0ES3_S5_NS0_18transform_iteratorINS0_17counting_iteratorImlEEZNS1_24adjacent_difference_implIS3_Lb1ELb0EPhSB_N6thrust23THRUST_200600_302600_NS4plusIhEEEE10hipError_tPvRmT2_T3_mT4_P12ihipStream_tbEUlmE_hEESB_NS0_8identityIvEEEESG_SJ_SK_mSL_SN_bEUlT_E_NS1_11comp_targetILNS1_3genE5ELNS1_11target_archE942ELNS1_3gpuE9ELNS1_3repE0EEENS1_30default_config_static_selectorELNS0_4arch9wavefront6targetE1EEEvT1_.kd
    .uniform_work_group_size: 1
    .uses_dynamic_stack: false
    .vgpr_count:     0
    .vgpr_spill_count: 0
    .wavefront_size: 64
  - .agpr_count:     0
    .args:
      - .offset:         0
        .size:           56
        .value_kind:     by_value
      - .offset:         56
        .size:           4
        .value_kind:     hidden_block_count_x
      - .offset:         60
        .size:           4
        .value_kind:     hidden_block_count_y
      - .offset:         64
        .size:           4
        .value_kind:     hidden_block_count_z
      - .offset:         68
        .size:           2
        .value_kind:     hidden_group_size_x
      - .offset:         70
        .size:           2
        .value_kind:     hidden_group_size_y
      - .offset:         72
        .size:           2
        .value_kind:     hidden_group_size_z
      - .offset:         74
        .size:           2
        .value_kind:     hidden_remainder_x
      - .offset:         76
        .size:           2
        .value_kind:     hidden_remainder_y
      - .offset:         78
        .size:           2
        .value_kind:     hidden_remainder_z
      - .offset:         96
        .size:           8
        .value_kind:     hidden_global_offset_x
      - .offset:         104
        .size:           8
        .value_kind:     hidden_global_offset_y
      - .offset:         112
        .size:           8
        .value_kind:     hidden_global_offset_z
      - .offset:         120
        .size:           2
        .value_kind:     hidden_grid_dims
    .group_segment_fixed_size: 0
    .kernarg_segment_align: 8
    .kernarg_segment_size: 312
    .language:       OpenCL C
    .language_version:
      - 2
      - 0
    .max_flat_workgroup_size: 64
    .name:           _ZN7rocprim17ROCPRIM_400000_NS6detail17trampoline_kernelINS0_14default_configENS1_25transform_config_selectorIhLb0EEEZNS1_14transform_implILb0ES3_S5_NS0_18transform_iteratorINS0_17counting_iteratorImlEEZNS1_24adjacent_difference_implIS3_Lb1ELb0EPhSB_N6thrust23THRUST_200600_302600_NS4plusIhEEEE10hipError_tPvRmT2_T3_mT4_P12ihipStream_tbEUlmE_hEESB_NS0_8identityIvEEEESG_SJ_SK_mSL_SN_bEUlT_E_NS1_11comp_targetILNS1_3genE4ELNS1_11target_archE910ELNS1_3gpuE8ELNS1_3repE0EEENS1_30default_config_static_selectorELNS0_4arch9wavefront6targetE1EEEvT1_
    .private_segment_fixed_size: 0
    .sgpr_count:     50
    .sgpr_spill_count: 0
    .symbol:         _ZN7rocprim17ROCPRIM_400000_NS6detail17trampoline_kernelINS0_14default_configENS1_25transform_config_selectorIhLb0EEEZNS1_14transform_implILb0ES3_S5_NS0_18transform_iteratorINS0_17counting_iteratorImlEEZNS1_24adjacent_difference_implIS3_Lb1ELb0EPhSB_N6thrust23THRUST_200600_302600_NS4plusIhEEEE10hipError_tPvRmT2_T3_mT4_P12ihipStream_tbEUlmE_hEESB_NS0_8identityIvEEEESG_SJ_SK_mSL_SN_bEUlT_E_NS1_11comp_targetILNS1_3genE4ELNS1_11target_archE910ELNS1_3gpuE8ELNS1_3repE0EEENS1_30default_config_static_selectorELNS0_4arch9wavefront6targetE1EEEvT1_.kd
    .uniform_work_group_size: 1
    .uses_dynamic_stack: false
    .vgpr_count:     20
    .vgpr_spill_count: 0
    .wavefront_size: 64
  - .agpr_count:     0
    .args:
      - .offset:         0
        .size:           56
        .value_kind:     by_value
    .group_segment_fixed_size: 0
    .kernarg_segment_align: 8
    .kernarg_segment_size: 56
    .language:       OpenCL C
    .language_version:
      - 2
      - 0
    .max_flat_workgroup_size: 128
    .name:           _ZN7rocprim17ROCPRIM_400000_NS6detail17trampoline_kernelINS0_14default_configENS1_25transform_config_selectorIhLb0EEEZNS1_14transform_implILb0ES3_S5_NS0_18transform_iteratorINS0_17counting_iteratorImlEEZNS1_24adjacent_difference_implIS3_Lb1ELb0EPhSB_N6thrust23THRUST_200600_302600_NS4plusIhEEEE10hipError_tPvRmT2_T3_mT4_P12ihipStream_tbEUlmE_hEESB_NS0_8identityIvEEEESG_SJ_SK_mSL_SN_bEUlT_E_NS1_11comp_targetILNS1_3genE3ELNS1_11target_archE908ELNS1_3gpuE7ELNS1_3repE0EEENS1_30default_config_static_selectorELNS0_4arch9wavefront6targetE1EEEvT1_
    .private_segment_fixed_size: 0
    .sgpr_count:     4
    .sgpr_spill_count: 0
    .symbol:         _ZN7rocprim17ROCPRIM_400000_NS6detail17trampoline_kernelINS0_14default_configENS1_25transform_config_selectorIhLb0EEEZNS1_14transform_implILb0ES3_S5_NS0_18transform_iteratorINS0_17counting_iteratorImlEEZNS1_24adjacent_difference_implIS3_Lb1ELb0EPhSB_N6thrust23THRUST_200600_302600_NS4plusIhEEEE10hipError_tPvRmT2_T3_mT4_P12ihipStream_tbEUlmE_hEESB_NS0_8identityIvEEEESG_SJ_SK_mSL_SN_bEUlT_E_NS1_11comp_targetILNS1_3genE3ELNS1_11target_archE908ELNS1_3gpuE7ELNS1_3repE0EEENS1_30default_config_static_selectorELNS0_4arch9wavefront6targetE1EEEvT1_.kd
    .uniform_work_group_size: 1
    .uses_dynamic_stack: false
    .vgpr_count:     0
    .vgpr_spill_count: 0
    .wavefront_size: 64
  - .agpr_count:     0
    .args:
      - .offset:         0
        .size:           56
        .value_kind:     by_value
    .group_segment_fixed_size: 0
    .kernarg_segment_align: 8
    .kernarg_segment_size: 56
    .language:       OpenCL C
    .language_version:
      - 2
      - 0
    .max_flat_workgroup_size: 64
    .name:           _ZN7rocprim17ROCPRIM_400000_NS6detail17trampoline_kernelINS0_14default_configENS1_25transform_config_selectorIhLb0EEEZNS1_14transform_implILb0ES3_S5_NS0_18transform_iteratorINS0_17counting_iteratorImlEEZNS1_24adjacent_difference_implIS3_Lb1ELb0EPhSB_N6thrust23THRUST_200600_302600_NS4plusIhEEEE10hipError_tPvRmT2_T3_mT4_P12ihipStream_tbEUlmE_hEESB_NS0_8identityIvEEEESG_SJ_SK_mSL_SN_bEUlT_E_NS1_11comp_targetILNS1_3genE2ELNS1_11target_archE906ELNS1_3gpuE6ELNS1_3repE0EEENS1_30default_config_static_selectorELNS0_4arch9wavefront6targetE1EEEvT1_
    .private_segment_fixed_size: 0
    .sgpr_count:     4
    .sgpr_spill_count: 0
    .symbol:         _ZN7rocprim17ROCPRIM_400000_NS6detail17trampoline_kernelINS0_14default_configENS1_25transform_config_selectorIhLb0EEEZNS1_14transform_implILb0ES3_S5_NS0_18transform_iteratorINS0_17counting_iteratorImlEEZNS1_24adjacent_difference_implIS3_Lb1ELb0EPhSB_N6thrust23THRUST_200600_302600_NS4plusIhEEEE10hipError_tPvRmT2_T3_mT4_P12ihipStream_tbEUlmE_hEESB_NS0_8identityIvEEEESG_SJ_SK_mSL_SN_bEUlT_E_NS1_11comp_targetILNS1_3genE2ELNS1_11target_archE906ELNS1_3gpuE6ELNS1_3repE0EEENS1_30default_config_static_selectorELNS0_4arch9wavefront6targetE1EEEvT1_.kd
    .uniform_work_group_size: 1
    .uses_dynamic_stack: false
    .vgpr_count:     0
    .vgpr_spill_count: 0
    .wavefront_size: 64
  - .agpr_count:     0
    .args:
      - .offset:         0
        .size:           56
        .value_kind:     by_value
    .group_segment_fixed_size: 0
    .kernarg_segment_align: 8
    .kernarg_segment_size: 56
    .language:       OpenCL C
    .language_version:
      - 2
      - 0
    .max_flat_workgroup_size: 256
    .name:           _ZN7rocprim17ROCPRIM_400000_NS6detail17trampoline_kernelINS0_14default_configENS1_25transform_config_selectorIhLb0EEEZNS1_14transform_implILb0ES3_S5_NS0_18transform_iteratorINS0_17counting_iteratorImlEEZNS1_24adjacent_difference_implIS3_Lb1ELb0EPhSB_N6thrust23THRUST_200600_302600_NS4plusIhEEEE10hipError_tPvRmT2_T3_mT4_P12ihipStream_tbEUlmE_hEESB_NS0_8identityIvEEEESG_SJ_SK_mSL_SN_bEUlT_E_NS1_11comp_targetILNS1_3genE10ELNS1_11target_archE1201ELNS1_3gpuE5ELNS1_3repE0EEENS1_30default_config_static_selectorELNS0_4arch9wavefront6targetE1EEEvT1_
    .private_segment_fixed_size: 0
    .sgpr_count:     4
    .sgpr_spill_count: 0
    .symbol:         _ZN7rocprim17ROCPRIM_400000_NS6detail17trampoline_kernelINS0_14default_configENS1_25transform_config_selectorIhLb0EEEZNS1_14transform_implILb0ES3_S5_NS0_18transform_iteratorINS0_17counting_iteratorImlEEZNS1_24adjacent_difference_implIS3_Lb1ELb0EPhSB_N6thrust23THRUST_200600_302600_NS4plusIhEEEE10hipError_tPvRmT2_T3_mT4_P12ihipStream_tbEUlmE_hEESB_NS0_8identityIvEEEESG_SJ_SK_mSL_SN_bEUlT_E_NS1_11comp_targetILNS1_3genE10ELNS1_11target_archE1201ELNS1_3gpuE5ELNS1_3repE0EEENS1_30default_config_static_selectorELNS0_4arch9wavefront6targetE1EEEvT1_.kd
    .uniform_work_group_size: 1
    .uses_dynamic_stack: false
    .vgpr_count:     0
    .vgpr_spill_count: 0
    .wavefront_size: 64
  - .agpr_count:     0
    .args:
      - .offset:         0
        .size:           56
        .value_kind:     by_value
    .group_segment_fixed_size: 0
    .kernarg_segment_align: 8
    .kernarg_segment_size: 56
    .language:       OpenCL C
    .language_version:
      - 2
      - 0
    .max_flat_workgroup_size: 256
    .name:           _ZN7rocprim17ROCPRIM_400000_NS6detail17trampoline_kernelINS0_14default_configENS1_25transform_config_selectorIhLb0EEEZNS1_14transform_implILb0ES3_S5_NS0_18transform_iteratorINS0_17counting_iteratorImlEEZNS1_24adjacent_difference_implIS3_Lb1ELb0EPhSB_N6thrust23THRUST_200600_302600_NS4plusIhEEEE10hipError_tPvRmT2_T3_mT4_P12ihipStream_tbEUlmE_hEESB_NS0_8identityIvEEEESG_SJ_SK_mSL_SN_bEUlT_E_NS1_11comp_targetILNS1_3genE10ELNS1_11target_archE1200ELNS1_3gpuE4ELNS1_3repE0EEENS1_30default_config_static_selectorELNS0_4arch9wavefront6targetE1EEEvT1_
    .private_segment_fixed_size: 0
    .sgpr_count:     4
    .sgpr_spill_count: 0
    .symbol:         _ZN7rocprim17ROCPRIM_400000_NS6detail17trampoline_kernelINS0_14default_configENS1_25transform_config_selectorIhLb0EEEZNS1_14transform_implILb0ES3_S5_NS0_18transform_iteratorINS0_17counting_iteratorImlEEZNS1_24adjacent_difference_implIS3_Lb1ELb0EPhSB_N6thrust23THRUST_200600_302600_NS4plusIhEEEE10hipError_tPvRmT2_T3_mT4_P12ihipStream_tbEUlmE_hEESB_NS0_8identityIvEEEESG_SJ_SK_mSL_SN_bEUlT_E_NS1_11comp_targetILNS1_3genE10ELNS1_11target_archE1200ELNS1_3gpuE4ELNS1_3repE0EEENS1_30default_config_static_selectorELNS0_4arch9wavefront6targetE1EEEvT1_.kd
    .uniform_work_group_size: 1
    .uses_dynamic_stack: false
    .vgpr_count:     0
    .vgpr_spill_count: 0
    .wavefront_size: 64
  - .agpr_count:     0
    .args:
      - .offset:         0
        .size:           56
        .value_kind:     by_value
    .group_segment_fixed_size: 0
    .kernarg_segment_align: 8
    .kernarg_segment_size: 56
    .language:       OpenCL C
    .language_version:
      - 2
      - 0
    .max_flat_workgroup_size: 1024
    .name:           _ZN7rocprim17ROCPRIM_400000_NS6detail17trampoline_kernelINS0_14default_configENS1_25transform_config_selectorIhLb0EEEZNS1_14transform_implILb0ES3_S5_NS0_18transform_iteratorINS0_17counting_iteratorImlEEZNS1_24adjacent_difference_implIS3_Lb1ELb0EPhSB_N6thrust23THRUST_200600_302600_NS4plusIhEEEE10hipError_tPvRmT2_T3_mT4_P12ihipStream_tbEUlmE_hEESB_NS0_8identityIvEEEESG_SJ_SK_mSL_SN_bEUlT_E_NS1_11comp_targetILNS1_3genE9ELNS1_11target_archE1100ELNS1_3gpuE3ELNS1_3repE0EEENS1_30default_config_static_selectorELNS0_4arch9wavefront6targetE1EEEvT1_
    .private_segment_fixed_size: 0
    .sgpr_count:     4
    .sgpr_spill_count: 0
    .symbol:         _ZN7rocprim17ROCPRIM_400000_NS6detail17trampoline_kernelINS0_14default_configENS1_25transform_config_selectorIhLb0EEEZNS1_14transform_implILb0ES3_S5_NS0_18transform_iteratorINS0_17counting_iteratorImlEEZNS1_24adjacent_difference_implIS3_Lb1ELb0EPhSB_N6thrust23THRUST_200600_302600_NS4plusIhEEEE10hipError_tPvRmT2_T3_mT4_P12ihipStream_tbEUlmE_hEESB_NS0_8identityIvEEEESG_SJ_SK_mSL_SN_bEUlT_E_NS1_11comp_targetILNS1_3genE9ELNS1_11target_archE1100ELNS1_3gpuE3ELNS1_3repE0EEENS1_30default_config_static_selectorELNS0_4arch9wavefront6targetE1EEEvT1_.kd
    .uniform_work_group_size: 1
    .uses_dynamic_stack: false
    .vgpr_count:     0
    .vgpr_spill_count: 0
    .wavefront_size: 64
  - .agpr_count:     0
    .args:
      - .offset:         0
        .size:           56
        .value_kind:     by_value
    .group_segment_fixed_size: 0
    .kernarg_segment_align: 8
    .kernarg_segment_size: 56
    .language:       OpenCL C
    .language_version:
      - 2
      - 0
    .max_flat_workgroup_size: 128
    .name:           _ZN7rocprim17ROCPRIM_400000_NS6detail17trampoline_kernelINS0_14default_configENS1_25transform_config_selectorIhLb0EEEZNS1_14transform_implILb0ES3_S5_NS0_18transform_iteratorINS0_17counting_iteratorImlEEZNS1_24adjacent_difference_implIS3_Lb1ELb0EPhSB_N6thrust23THRUST_200600_302600_NS4plusIhEEEE10hipError_tPvRmT2_T3_mT4_P12ihipStream_tbEUlmE_hEESB_NS0_8identityIvEEEESG_SJ_SK_mSL_SN_bEUlT_E_NS1_11comp_targetILNS1_3genE8ELNS1_11target_archE1030ELNS1_3gpuE2ELNS1_3repE0EEENS1_30default_config_static_selectorELNS0_4arch9wavefront6targetE1EEEvT1_
    .private_segment_fixed_size: 0
    .sgpr_count:     4
    .sgpr_spill_count: 0
    .symbol:         _ZN7rocprim17ROCPRIM_400000_NS6detail17trampoline_kernelINS0_14default_configENS1_25transform_config_selectorIhLb0EEEZNS1_14transform_implILb0ES3_S5_NS0_18transform_iteratorINS0_17counting_iteratorImlEEZNS1_24adjacent_difference_implIS3_Lb1ELb0EPhSB_N6thrust23THRUST_200600_302600_NS4plusIhEEEE10hipError_tPvRmT2_T3_mT4_P12ihipStream_tbEUlmE_hEESB_NS0_8identityIvEEEESG_SJ_SK_mSL_SN_bEUlT_E_NS1_11comp_targetILNS1_3genE8ELNS1_11target_archE1030ELNS1_3gpuE2ELNS1_3repE0EEENS1_30default_config_static_selectorELNS0_4arch9wavefront6targetE1EEEvT1_.kd
    .uniform_work_group_size: 1
    .uses_dynamic_stack: false
    .vgpr_count:     0
    .vgpr_spill_count: 0
    .wavefront_size: 64
  - .agpr_count:     0
    .args:
      - .offset:         0
        .size:           56
        .value_kind:     by_value
    .group_segment_fixed_size: 0
    .kernarg_segment_align: 8
    .kernarg_segment_size: 56
    .language:       OpenCL C
    .language_version:
      - 2
      - 0
    .max_flat_workgroup_size: 64
    .name:           _ZN7rocprim17ROCPRIM_400000_NS6detail17trampoline_kernelINS0_14default_configENS1_35adjacent_difference_config_selectorILb1EhEEZNS1_24adjacent_difference_implIS3_Lb1ELb0EPhS7_N6thrust23THRUST_200600_302600_NS4plusIhEEEE10hipError_tPvRmT2_T3_mT4_P12ihipStream_tbEUlT_E_NS1_11comp_targetILNS1_3genE0ELNS1_11target_archE4294967295ELNS1_3gpuE0ELNS1_3repE0EEENS1_30default_config_static_selectorELNS0_4arch9wavefront6targetE1EEEvT1_
    .private_segment_fixed_size: 0
    .sgpr_count:     4
    .sgpr_spill_count: 0
    .symbol:         _ZN7rocprim17ROCPRIM_400000_NS6detail17trampoline_kernelINS0_14default_configENS1_35adjacent_difference_config_selectorILb1EhEEZNS1_24adjacent_difference_implIS3_Lb1ELb0EPhS7_N6thrust23THRUST_200600_302600_NS4plusIhEEEE10hipError_tPvRmT2_T3_mT4_P12ihipStream_tbEUlT_E_NS1_11comp_targetILNS1_3genE0ELNS1_11target_archE4294967295ELNS1_3gpuE0ELNS1_3repE0EEENS1_30default_config_static_selectorELNS0_4arch9wavefront6targetE1EEEvT1_.kd
    .uniform_work_group_size: 1
    .uses_dynamic_stack: false
    .vgpr_count:     0
    .vgpr_spill_count: 0
    .wavefront_size: 64
  - .agpr_count:     0
    .args:
      - .offset:         0
        .size:           56
        .value_kind:     by_value
    .group_segment_fixed_size: 0
    .kernarg_segment_align: 8
    .kernarg_segment_size: 56
    .language:       OpenCL C
    .language_version:
      - 2
      - 0
    .max_flat_workgroup_size: 128
    .name:           _ZN7rocprim17ROCPRIM_400000_NS6detail17trampoline_kernelINS0_14default_configENS1_35adjacent_difference_config_selectorILb1EhEEZNS1_24adjacent_difference_implIS3_Lb1ELb0EPhS7_N6thrust23THRUST_200600_302600_NS4plusIhEEEE10hipError_tPvRmT2_T3_mT4_P12ihipStream_tbEUlT_E_NS1_11comp_targetILNS1_3genE10ELNS1_11target_archE1201ELNS1_3gpuE5ELNS1_3repE0EEENS1_30default_config_static_selectorELNS0_4arch9wavefront6targetE1EEEvT1_
    .private_segment_fixed_size: 0
    .sgpr_count:     4
    .sgpr_spill_count: 0
    .symbol:         _ZN7rocprim17ROCPRIM_400000_NS6detail17trampoline_kernelINS0_14default_configENS1_35adjacent_difference_config_selectorILb1EhEEZNS1_24adjacent_difference_implIS3_Lb1ELb0EPhS7_N6thrust23THRUST_200600_302600_NS4plusIhEEEE10hipError_tPvRmT2_T3_mT4_P12ihipStream_tbEUlT_E_NS1_11comp_targetILNS1_3genE10ELNS1_11target_archE1201ELNS1_3gpuE5ELNS1_3repE0EEENS1_30default_config_static_selectorELNS0_4arch9wavefront6targetE1EEEvT1_.kd
    .uniform_work_group_size: 1
    .uses_dynamic_stack: false
    .vgpr_count:     0
    .vgpr_spill_count: 0
    .wavefront_size: 64
  - .agpr_count:     0
    .args:
      - .offset:         0
        .size:           56
        .value_kind:     by_value
    .group_segment_fixed_size: 0
    .kernarg_segment_align: 8
    .kernarg_segment_size: 56
    .language:       OpenCL C
    .language_version:
      - 2
      - 0
    .max_flat_workgroup_size: 128
    .name:           _ZN7rocprim17ROCPRIM_400000_NS6detail17trampoline_kernelINS0_14default_configENS1_35adjacent_difference_config_selectorILb1EhEEZNS1_24adjacent_difference_implIS3_Lb1ELb0EPhS7_N6thrust23THRUST_200600_302600_NS4plusIhEEEE10hipError_tPvRmT2_T3_mT4_P12ihipStream_tbEUlT_E_NS1_11comp_targetILNS1_3genE5ELNS1_11target_archE942ELNS1_3gpuE9ELNS1_3repE0EEENS1_30default_config_static_selectorELNS0_4arch9wavefront6targetE1EEEvT1_
    .private_segment_fixed_size: 0
    .sgpr_count:     4
    .sgpr_spill_count: 0
    .symbol:         _ZN7rocprim17ROCPRIM_400000_NS6detail17trampoline_kernelINS0_14default_configENS1_35adjacent_difference_config_selectorILb1EhEEZNS1_24adjacent_difference_implIS3_Lb1ELb0EPhS7_N6thrust23THRUST_200600_302600_NS4plusIhEEEE10hipError_tPvRmT2_T3_mT4_P12ihipStream_tbEUlT_E_NS1_11comp_targetILNS1_3genE5ELNS1_11target_archE942ELNS1_3gpuE9ELNS1_3repE0EEENS1_30default_config_static_selectorELNS0_4arch9wavefront6targetE1EEEvT1_.kd
    .uniform_work_group_size: 1
    .uses_dynamic_stack: false
    .vgpr_count:     0
    .vgpr_spill_count: 0
    .wavefront_size: 64
  - .agpr_count:     0
    .args:
      - .offset:         0
        .size:           56
        .value_kind:     by_value
    .group_segment_fixed_size: 2432
    .kernarg_segment_align: 8
    .kernarg_segment_size: 56
    .language:       OpenCL C
    .language_version:
      - 2
      - 0
    .max_flat_workgroup_size: 128
    .name:           _ZN7rocprim17ROCPRIM_400000_NS6detail17trampoline_kernelINS0_14default_configENS1_35adjacent_difference_config_selectorILb1EhEEZNS1_24adjacent_difference_implIS3_Lb1ELb0EPhS7_N6thrust23THRUST_200600_302600_NS4plusIhEEEE10hipError_tPvRmT2_T3_mT4_P12ihipStream_tbEUlT_E_NS1_11comp_targetILNS1_3genE4ELNS1_11target_archE910ELNS1_3gpuE8ELNS1_3repE0EEENS1_30default_config_static_selectorELNS0_4arch9wavefront6targetE1EEEvT1_
    .private_segment_fixed_size: 0
    .sgpr_count:     52
    .sgpr_spill_count: 0
    .symbol:         _ZN7rocprim17ROCPRIM_400000_NS6detail17trampoline_kernelINS0_14default_configENS1_35adjacent_difference_config_selectorILb1EhEEZNS1_24adjacent_difference_implIS3_Lb1ELb0EPhS7_N6thrust23THRUST_200600_302600_NS4plusIhEEEE10hipError_tPvRmT2_T3_mT4_P12ihipStream_tbEUlT_E_NS1_11comp_targetILNS1_3genE4ELNS1_11target_archE910ELNS1_3gpuE8ELNS1_3repE0EEENS1_30default_config_static_selectorELNS0_4arch9wavefront6targetE1EEEvT1_.kd
    .uniform_work_group_size: 1
    .uses_dynamic_stack: false
    .vgpr_count:     42
    .vgpr_spill_count: 0
    .wavefront_size: 64
  - .agpr_count:     0
    .args:
      - .offset:         0
        .size:           56
        .value_kind:     by_value
    .group_segment_fixed_size: 0
    .kernarg_segment_align: 8
    .kernarg_segment_size: 56
    .language:       OpenCL C
    .language_version:
      - 2
      - 0
    .max_flat_workgroup_size: 64
    .name:           _ZN7rocprim17ROCPRIM_400000_NS6detail17trampoline_kernelINS0_14default_configENS1_35adjacent_difference_config_selectorILb1EhEEZNS1_24adjacent_difference_implIS3_Lb1ELb0EPhS7_N6thrust23THRUST_200600_302600_NS4plusIhEEEE10hipError_tPvRmT2_T3_mT4_P12ihipStream_tbEUlT_E_NS1_11comp_targetILNS1_3genE3ELNS1_11target_archE908ELNS1_3gpuE7ELNS1_3repE0EEENS1_30default_config_static_selectorELNS0_4arch9wavefront6targetE1EEEvT1_
    .private_segment_fixed_size: 0
    .sgpr_count:     4
    .sgpr_spill_count: 0
    .symbol:         _ZN7rocprim17ROCPRIM_400000_NS6detail17trampoline_kernelINS0_14default_configENS1_35adjacent_difference_config_selectorILb1EhEEZNS1_24adjacent_difference_implIS3_Lb1ELb0EPhS7_N6thrust23THRUST_200600_302600_NS4plusIhEEEE10hipError_tPvRmT2_T3_mT4_P12ihipStream_tbEUlT_E_NS1_11comp_targetILNS1_3genE3ELNS1_11target_archE908ELNS1_3gpuE7ELNS1_3repE0EEENS1_30default_config_static_selectorELNS0_4arch9wavefront6targetE1EEEvT1_.kd
    .uniform_work_group_size: 1
    .uses_dynamic_stack: false
    .vgpr_count:     0
    .vgpr_spill_count: 0
    .wavefront_size: 64
  - .agpr_count:     0
    .args:
      - .offset:         0
        .size:           56
        .value_kind:     by_value
    .group_segment_fixed_size: 0
    .kernarg_segment_align: 8
    .kernarg_segment_size: 56
    .language:       OpenCL C
    .language_version:
      - 2
      - 0
    .max_flat_workgroup_size: 64
    .name:           _ZN7rocprim17ROCPRIM_400000_NS6detail17trampoline_kernelINS0_14default_configENS1_35adjacent_difference_config_selectorILb1EhEEZNS1_24adjacent_difference_implIS3_Lb1ELb0EPhS7_N6thrust23THRUST_200600_302600_NS4plusIhEEEE10hipError_tPvRmT2_T3_mT4_P12ihipStream_tbEUlT_E_NS1_11comp_targetILNS1_3genE2ELNS1_11target_archE906ELNS1_3gpuE6ELNS1_3repE0EEENS1_30default_config_static_selectorELNS0_4arch9wavefront6targetE1EEEvT1_
    .private_segment_fixed_size: 0
    .sgpr_count:     4
    .sgpr_spill_count: 0
    .symbol:         _ZN7rocprim17ROCPRIM_400000_NS6detail17trampoline_kernelINS0_14default_configENS1_35adjacent_difference_config_selectorILb1EhEEZNS1_24adjacent_difference_implIS3_Lb1ELb0EPhS7_N6thrust23THRUST_200600_302600_NS4plusIhEEEE10hipError_tPvRmT2_T3_mT4_P12ihipStream_tbEUlT_E_NS1_11comp_targetILNS1_3genE2ELNS1_11target_archE906ELNS1_3gpuE6ELNS1_3repE0EEENS1_30default_config_static_selectorELNS0_4arch9wavefront6targetE1EEEvT1_.kd
    .uniform_work_group_size: 1
    .uses_dynamic_stack: false
    .vgpr_count:     0
    .vgpr_spill_count: 0
    .wavefront_size: 64
  - .agpr_count:     0
    .args:
      - .offset:         0
        .size:           56
        .value_kind:     by_value
    .group_segment_fixed_size: 0
    .kernarg_segment_align: 8
    .kernarg_segment_size: 56
    .language:       OpenCL C
    .language_version:
      - 2
      - 0
    .max_flat_workgroup_size: 512
    .name:           _ZN7rocprim17ROCPRIM_400000_NS6detail17trampoline_kernelINS0_14default_configENS1_35adjacent_difference_config_selectorILb1EhEEZNS1_24adjacent_difference_implIS3_Lb1ELb0EPhS7_N6thrust23THRUST_200600_302600_NS4plusIhEEEE10hipError_tPvRmT2_T3_mT4_P12ihipStream_tbEUlT_E_NS1_11comp_targetILNS1_3genE9ELNS1_11target_archE1100ELNS1_3gpuE3ELNS1_3repE0EEENS1_30default_config_static_selectorELNS0_4arch9wavefront6targetE1EEEvT1_
    .private_segment_fixed_size: 0
    .sgpr_count:     4
    .sgpr_spill_count: 0
    .symbol:         _ZN7rocprim17ROCPRIM_400000_NS6detail17trampoline_kernelINS0_14default_configENS1_35adjacent_difference_config_selectorILb1EhEEZNS1_24adjacent_difference_implIS3_Lb1ELb0EPhS7_N6thrust23THRUST_200600_302600_NS4plusIhEEEE10hipError_tPvRmT2_T3_mT4_P12ihipStream_tbEUlT_E_NS1_11comp_targetILNS1_3genE9ELNS1_11target_archE1100ELNS1_3gpuE3ELNS1_3repE0EEENS1_30default_config_static_selectorELNS0_4arch9wavefront6targetE1EEEvT1_.kd
    .uniform_work_group_size: 1
    .uses_dynamic_stack: false
    .vgpr_count:     0
    .vgpr_spill_count: 0
    .wavefront_size: 64
  - .agpr_count:     0
    .args:
      - .offset:         0
        .size:           56
        .value_kind:     by_value
    .group_segment_fixed_size: 0
    .kernarg_segment_align: 8
    .kernarg_segment_size: 56
    .language:       OpenCL C
    .language_version:
      - 2
      - 0
    .max_flat_workgroup_size: 1024
    .name:           _ZN7rocprim17ROCPRIM_400000_NS6detail17trampoline_kernelINS0_14default_configENS1_35adjacent_difference_config_selectorILb1EhEEZNS1_24adjacent_difference_implIS3_Lb1ELb0EPhS7_N6thrust23THRUST_200600_302600_NS4plusIhEEEE10hipError_tPvRmT2_T3_mT4_P12ihipStream_tbEUlT_E_NS1_11comp_targetILNS1_3genE8ELNS1_11target_archE1030ELNS1_3gpuE2ELNS1_3repE0EEENS1_30default_config_static_selectorELNS0_4arch9wavefront6targetE1EEEvT1_
    .private_segment_fixed_size: 0
    .sgpr_count:     4
    .sgpr_spill_count: 0
    .symbol:         _ZN7rocprim17ROCPRIM_400000_NS6detail17trampoline_kernelINS0_14default_configENS1_35adjacent_difference_config_selectorILb1EhEEZNS1_24adjacent_difference_implIS3_Lb1ELb0EPhS7_N6thrust23THRUST_200600_302600_NS4plusIhEEEE10hipError_tPvRmT2_T3_mT4_P12ihipStream_tbEUlT_E_NS1_11comp_targetILNS1_3genE8ELNS1_11target_archE1030ELNS1_3gpuE2ELNS1_3repE0EEENS1_30default_config_static_selectorELNS0_4arch9wavefront6targetE1EEEvT1_.kd
    .uniform_work_group_size: 1
    .uses_dynamic_stack: false
    .vgpr_count:     0
    .vgpr_spill_count: 0
    .wavefront_size: 64
  - .agpr_count:     0
    .args:
      - .offset:         0
        .size:           16
        .value_kind:     by_value
      - .offset:         16
        .size:           8
        .value_kind:     by_value
      - .offset:         24
        .size:           8
        .value_kind:     by_value
    .group_segment_fixed_size: 0
    .kernarg_segment_align: 8
    .kernarg_segment_size: 32
    .language:       OpenCL C
    .language_version:
      - 2
      - 0
    .max_flat_workgroup_size: 256
    .name:           _ZN6thrust23THRUST_200600_302600_NS11hip_rocprim14__parallel_for6kernelILj256ENS1_20__uninitialized_fill7functorINS0_10device_ptrItEEtEEmLj1EEEvT0_T1_SA_
    .private_segment_fixed_size: 0
    .sgpr_count:     16
    .sgpr_spill_count: 0
    .symbol:         _ZN6thrust23THRUST_200600_302600_NS11hip_rocprim14__parallel_for6kernelILj256ENS1_20__uninitialized_fill7functorINS0_10device_ptrItEEtEEmLj1EEEvT0_T1_SA_.kd
    .uniform_work_group_size: 1
    .uses_dynamic_stack: false
    .vgpr_count:     4
    .vgpr_spill_count: 0
    .wavefront_size: 64
  - .agpr_count:     0
    .args:
      - .offset:         0
        .size:           56
        .value_kind:     by_value
    .group_segment_fixed_size: 0
    .kernarg_segment_align: 8
    .kernarg_segment_size: 56
    .language:       OpenCL C
    .language_version:
      - 2
      - 0
    .max_flat_workgroup_size: 64
    .name:           _ZN7rocprim17ROCPRIM_400000_NS6detail17trampoline_kernelINS0_14default_configENS1_35adjacent_difference_config_selectorILb0EtEEZNS1_24adjacent_difference_implIS3_Lb0ELb0EPtS7_N6thrust23THRUST_200600_302600_NS5minusItEEEE10hipError_tPvRmT2_T3_mT4_P12ihipStream_tbEUlT_E_NS1_11comp_targetILNS1_3genE0ELNS1_11target_archE4294967295ELNS1_3gpuE0ELNS1_3repE0EEENS1_30default_config_static_selectorELNS0_4arch9wavefront6targetE1EEEvT1_
    .private_segment_fixed_size: 0
    .sgpr_count:     4
    .sgpr_spill_count: 0
    .symbol:         _ZN7rocprim17ROCPRIM_400000_NS6detail17trampoline_kernelINS0_14default_configENS1_35adjacent_difference_config_selectorILb0EtEEZNS1_24adjacent_difference_implIS3_Lb0ELb0EPtS7_N6thrust23THRUST_200600_302600_NS5minusItEEEE10hipError_tPvRmT2_T3_mT4_P12ihipStream_tbEUlT_E_NS1_11comp_targetILNS1_3genE0ELNS1_11target_archE4294967295ELNS1_3gpuE0ELNS1_3repE0EEENS1_30default_config_static_selectorELNS0_4arch9wavefront6targetE1EEEvT1_.kd
    .uniform_work_group_size: 1
    .uses_dynamic_stack: false
    .vgpr_count:     0
    .vgpr_spill_count: 0
    .wavefront_size: 64
  - .agpr_count:     0
    .args:
      - .offset:         0
        .size:           56
        .value_kind:     by_value
    .group_segment_fixed_size: 0
    .kernarg_segment_align: 8
    .kernarg_segment_size: 56
    .language:       OpenCL C
    .language_version:
      - 2
      - 0
    .max_flat_workgroup_size: 128
    .name:           _ZN7rocprim17ROCPRIM_400000_NS6detail17trampoline_kernelINS0_14default_configENS1_35adjacent_difference_config_selectorILb0EtEEZNS1_24adjacent_difference_implIS3_Lb0ELb0EPtS7_N6thrust23THRUST_200600_302600_NS5minusItEEEE10hipError_tPvRmT2_T3_mT4_P12ihipStream_tbEUlT_E_NS1_11comp_targetILNS1_3genE10ELNS1_11target_archE1201ELNS1_3gpuE5ELNS1_3repE0EEENS1_30default_config_static_selectorELNS0_4arch9wavefront6targetE1EEEvT1_
    .private_segment_fixed_size: 0
    .sgpr_count:     4
    .sgpr_spill_count: 0
    .symbol:         _ZN7rocprim17ROCPRIM_400000_NS6detail17trampoline_kernelINS0_14default_configENS1_35adjacent_difference_config_selectorILb0EtEEZNS1_24adjacent_difference_implIS3_Lb0ELb0EPtS7_N6thrust23THRUST_200600_302600_NS5minusItEEEE10hipError_tPvRmT2_T3_mT4_P12ihipStream_tbEUlT_E_NS1_11comp_targetILNS1_3genE10ELNS1_11target_archE1201ELNS1_3gpuE5ELNS1_3repE0EEENS1_30default_config_static_selectorELNS0_4arch9wavefront6targetE1EEEvT1_.kd
    .uniform_work_group_size: 1
    .uses_dynamic_stack: false
    .vgpr_count:     0
    .vgpr_spill_count: 0
    .wavefront_size: 64
  - .agpr_count:     0
    .args:
      - .offset:         0
        .size:           56
        .value_kind:     by_value
    .group_segment_fixed_size: 0
    .kernarg_segment_align: 8
    .kernarg_segment_size: 56
    .language:       OpenCL C
    .language_version:
      - 2
      - 0
    .max_flat_workgroup_size: 256
    .name:           _ZN7rocprim17ROCPRIM_400000_NS6detail17trampoline_kernelINS0_14default_configENS1_35adjacent_difference_config_selectorILb0EtEEZNS1_24adjacent_difference_implIS3_Lb0ELb0EPtS7_N6thrust23THRUST_200600_302600_NS5minusItEEEE10hipError_tPvRmT2_T3_mT4_P12ihipStream_tbEUlT_E_NS1_11comp_targetILNS1_3genE5ELNS1_11target_archE942ELNS1_3gpuE9ELNS1_3repE0EEENS1_30default_config_static_selectorELNS0_4arch9wavefront6targetE1EEEvT1_
    .private_segment_fixed_size: 0
    .sgpr_count:     4
    .sgpr_spill_count: 0
    .symbol:         _ZN7rocprim17ROCPRIM_400000_NS6detail17trampoline_kernelINS0_14default_configENS1_35adjacent_difference_config_selectorILb0EtEEZNS1_24adjacent_difference_implIS3_Lb0ELb0EPtS7_N6thrust23THRUST_200600_302600_NS5minusItEEEE10hipError_tPvRmT2_T3_mT4_P12ihipStream_tbEUlT_E_NS1_11comp_targetILNS1_3genE5ELNS1_11target_archE942ELNS1_3gpuE9ELNS1_3repE0EEENS1_30default_config_static_selectorELNS0_4arch9wavefront6targetE1EEEvT1_.kd
    .uniform_work_group_size: 1
    .uses_dynamic_stack: false
    .vgpr_count:     0
    .vgpr_spill_count: 0
    .wavefront_size: 64
  - .agpr_count:     0
    .args:
      - .offset:         0
        .size:           56
        .value_kind:     by_value
    .group_segment_fixed_size: 2176
    .kernarg_segment_align: 8
    .kernarg_segment_size: 56
    .language:       OpenCL C
    .language_version:
      - 2
      - 0
    .max_flat_workgroup_size: 64
    .name:           _ZN7rocprim17ROCPRIM_400000_NS6detail17trampoline_kernelINS0_14default_configENS1_35adjacent_difference_config_selectorILb0EtEEZNS1_24adjacent_difference_implIS3_Lb0ELb0EPtS7_N6thrust23THRUST_200600_302600_NS5minusItEEEE10hipError_tPvRmT2_T3_mT4_P12ihipStream_tbEUlT_E_NS1_11comp_targetILNS1_3genE4ELNS1_11target_archE910ELNS1_3gpuE8ELNS1_3repE0EEENS1_30default_config_static_selectorELNS0_4arch9wavefront6targetE1EEEvT1_
    .private_segment_fixed_size: 0
    .sgpr_count:     27
    .sgpr_spill_count: 0
    .symbol:         _ZN7rocprim17ROCPRIM_400000_NS6detail17trampoline_kernelINS0_14default_configENS1_35adjacent_difference_config_selectorILb0EtEEZNS1_24adjacent_difference_implIS3_Lb0ELb0EPtS7_N6thrust23THRUST_200600_302600_NS5minusItEEEE10hipError_tPvRmT2_T3_mT4_P12ihipStream_tbEUlT_E_NS1_11comp_targetILNS1_3genE4ELNS1_11target_archE910ELNS1_3gpuE8ELNS1_3repE0EEENS1_30default_config_static_selectorELNS0_4arch9wavefront6targetE1EEEvT1_.kd
    .uniform_work_group_size: 1
    .uses_dynamic_stack: false
    .vgpr_count:     34
    .vgpr_spill_count: 0
    .wavefront_size: 64
  - .agpr_count:     0
    .args:
      - .offset:         0
        .size:           56
        .value_kind:     by_value
    .group_segment_fixed_size: 0
    .kernarg_segment_align: 8
    .kernarg_segment_size: 56
    .language:       OpenCL C
    .language_version:
      - 2
      - 0
    .max_flat_workgroup_size: 64
    .name:           _ZN7rocprim17ROCPRIM_400000_NS6detail17trampoline_kernelINS0_14default_configENS1_35adjacent_difference_config_selectorILb0EtEEZNS1_24adjacent_difference_implIS3_Lb0ELb0EPtS7_N6thrust23THRUST_200600_302600_NS5minusItEEEE10hipError_tPvRmT2_T3_mT4_P12ihipStream_tbEUlT_E_NS1_11comp_targetILNS1_3genE3ELNS1_11target_archE908ELNS1_3gpuE7ELNS1_3repE0EEENS1_30default_config_static_selectorELNS0_4arch9wavefront6targetE1EEEvT1_
    .private_segment_fixed_size: 0
    .sgpr_count:     4
    .sgpr_spill_count: 0
    .symbol:         _ZN7rocprim17ROCPRIM_400000_NS6detail17trampoline_kernelINS0_14default_configENS1_35adjacent_difference_config_selectorILb0EtEEZNS1_24adjacent_difference_implIS3_Lb0ELb0EPtS7_N6thrust23THRUST_200600_302600_NS5minusItEEEE10hipError_tPvRmT2_T3_mT4_P12ihipStream_tbEUlT_E_NS1_11comp_targetILNS1_3genE3ELNS1_11target_archE908ELNS1_3gpuE7ELNS1_3repE0EEENS1_30default_config_static_selectorELNS0_4arch9wavefront6targetE1EEEvT1_.kd
    .uniform_work_group_size: 1
    .uses_dynamic_stack: false
    .vgpr_count:     0
    .vgpr_spill_count: 0
    .wavefront_size: 64
  - .agpr_count:     0
    .args:
      - .offset:         0
        .size:           56
        .value_kind:     by_value
    .group_segment_fixed_size: 0
    .kernarg_segment_align: 8
    .kernarg_segment_size: 56
    .language:       OpenCL C
    .language_version:
      - 2
      - 0
    .max_flat_workgroup_size: 64
    .name:           _ZN7rocprim17ROCPRIM_400000_NS6detail17trampoline_kernelINS0_14default_configENS1_35adjacent_difference_config_selectorILb0EtEEZNS1_24adjacent_difference_implIS3_Lb0ELb0EPtS7_N6thrust23THRUST_200600_302600_NS5minusItEEEE10hipError_tPvRmT2_T3_mT4_P12ihipStream_tbEUlT_E_NS1_11comp_targetILNS1_3genE2ELNS1_11target_archE906ELNS1_3gpuE6ELNS1_3repE0EEENS1_30default_config_static_selectorELNS0_4arch9wavefront6targetE1EEEvT1_
    .private_segment_fixed_size: 0
    .sgpr_count:     4
    .sgpr_spill_count: 0
    .symbol:         _ZN7rocprim17ROCPRIM_400000_NS6detail17trampoline_kernelINS0_14default_configENS1_35adjacent_difference_config_selectorILb0EtEEZNS1_24adjacent_difference_implIS3_Lb0ELb0EPtS7_N6thrust23THRUST_200600_302600_NS5minusItEEEE10hipError_tPvRmT2_T3_mT4_P12ihipStream_tbEUlT_E_NS1_11comp_targetILNS1_3genE2ELNS1_11target_archE906ELNS1_3gpuE6ELNS1_3repE0EEENS1_30default_config_static_selectorELNS0_4arch9wavefront6targetE1EEEvT1_.kd
    .uniform_work_group_size: 1
    .uses_dynamic_stack: false
    .vgpr_count:     0
    .vgpr_spill_count: 0
    .wavefront_size: 64
  - .agpr_count:     0
    .args:
      - .offset:         0
        .size:           56
        .value_kind:     by_value
    .group_segment_fixed_size: 0
    .kernarg_segment_align: 8
    .kernarg_segment_size: 56
    .language:       OpenCL C
    .language_version:
      - 2
      - 0
    .max_flat_workgroup_size: 64
    .name:           _ZN7rocprim17ROCPRIM_400000_NS6detail17trampoline_kernelINS0_14default_configENS1_35adjacent_difference_config_selectorILb0EtEEZNS1_24adjacent_difference_implIS3_Lb0ELb0EPtS7_N6thrust23THRUST_200600_302600_NS5minusItEEEE10hipError_tPvRmT2_T3_mT4_P12ihipStream_tbEUlT_E_NS1_11comp_targetILNS1_3genE9ELNS1_11target_archE1100ELNS1_3gpuE3ELNS1_3repE0EEENS1_30default_config_static_selectorELNS0_4arch9wavefront6targetE1EEEvT1_
    .private_segment_fixed_size: 0
    .sgpr_count:     4
    .sgpr_spill_count: 0
    .symbol:         _ZN7rocprim17ROCPRIM_400000_NS6detail17trampoline_kernelINS0_14default_configENS1_35adjacent_difference_config_selectorILb0EtEEZNS1_24adjacent_difference_implIS3_Lb0ELb0EPtS7_N6thrust23THRUST_200600_302600_NS5minusItEEEE10hipError_tPvRmT2_T3_mT4_P12ihipStream_tbEUlT_E_NS1_11comp_targetILNS1_3genE9ELNS1_11target_archE1100ELNS1_3gpuE3ELNS1_3repE0EEENS1_30default_config_static_selectorELNS0_4arch9wavefront6targetE1EEEvT1_.kd
    .uniform_work_group_size: 1
    .uses_dynamic_stack: false
    .vgpr_count:     0
    .vgpr_spill_count: 0
    .wavefront_size: 64
  - .agpr_count:     0
    .args:
      - .offset:         0
        .size:           56
        .value_kind:     by_value
    .group_segment_fixed_size: 0
    .kernarg_segment_align: 8
    .kernarg_segment_size: 56
    .language:       OpenCL C
    .language_version:
      - 2
      - 0
    .max_flat_workgroup_size: 1024
    .name:           _ZN7rocprim17ROCPRIM_400000_NS6detail17trampoline_kernelINS0_14default_configENS1_35adjacent_difference_config_selectorILb0EtEEZNS1_24adjacent_difference_implIS3_Lb0ELb0EPtS7_N6thrust23THRUST_200600_302600_NS5minusItEEEE10hipError_tPvRmT2_T3_mT4_P12ihipStream_tbEUlT_E_NS1_11comp_targetILNS1_3genE8ELNS1_11target_archE1030ELNS1_3gpuE2ELNS1_3repE0EEENS1_30default_config_static_selectorELNS0_4arch9wavefront6targetE1EEEvT1_
    .private_segment_fixed_size: 0
    .sgpr_count:     4
    .sgpr_spill_count: 0
    .symbol:         _ZN7rocprim17ROCPRIM_400000_NS6detail17trampoline_kernelINS0_14default_configENS1_35adjacent_difference_config_selectorILb0EtEEZNS1_24adjacent_difference_implIS3_Lb0ELb0EPtS7_N6thrust23THRUST_200600_302600_NS5minusItEEEE10hipError_tPvRmT2_T3_mT4_P12ihipStream_tbEUlT_E_NS1_11comp_targetILNS1_3genE8ELNS1_11target_archE1030ELNS1_3gpuE2ELNS1_3repE0EEENS1_30default_config_static_selectorELNS0_4arch9wavefront6targetE1EEEvT1_.kd
    .uniform_work_group_size: 1
    .uses_dynamic_stack: false
    .vgpr_count:     0
    .vgpr_spill_count: 0
    .wavefront_size: 64
  - .agpr_count:     0
    .args:
      - .offset:         0
        .size:           56
        .value_kind:     by_value
    .group_segment_fixed_size: 0
    .kernarg_segment_align: 8
    .kernarg_segment_size: 56
    .language:       OpenCL C
    .language_version:
      - 2
      - 0
    .max_flat_workgroup_size: 128
    .name:           _ZN7rocprim17ROCPRIM_400000_NS6detail17trampoline_kernelINS0_14default_configENS1_25transform_config_selectorItLb0EEEZNS1_14transform_implILb0ES3_S5_NS0_18transform_iteratorINS0_17counting_iteratorImlEEZNS1_24adjacent_difference_implIS3_Lb1ELb0EPtSB_N6thrust23THRUST_200600_302600_NS5minusItEEEE10hipError_tPvRmT2_T3_mT4_P12ihipStream_tbEUlmE_tEESB_NS0_8identityIvEEEESG_SJ_SK_mSL_SN_bEUlT_E_NS1_11comp_targetILNS1_3genE0ELNS1_11target_archE4294967295ELNS1_3gpuE0ELNS1_3repE0EEENS1_30default_config_static_selectorELNS0_4arch9wavefront6targetE1EEEvT1_
    .private_segment_fixed_size: 0
    .sgpr_count:     4
    .sgpr_spill_count: 0
    .symbol:         _ZN7rocprim17ROCPRIM_400000_NS6detail17trampoline_kernelINS0_14default_configENS1_25transform_config_selectorItLb0EEEZNS1_14transform_implILb0ES3_S5_NS0_18transform_iteratorINS0_17counting_iteratorImlEEZNS1_24adjacent_difference_implIS3_Lb1ELb0EPtSB_N6thrust23THRUST_200600_302600_NS5minusItEEEE10hipError_tPvRmT2_T3_mT4_P12ihipStream_tbEUlmE_tEESB_NS0_8identityIvEEEESG_SJ_SK_mSL_SN_bEUlT_E_NS1_11comp_targetILNS1_3genE0ELNS1_11target_archE4294967295ELNS1_3gpuE0ELNS1_3repE0EEENS1_30default_config_static_selectorELNS0_4arch9wavefront6targetE1EEEvT1_.kd
    .uniform_work_group_size: 1
    .uses_dynamic_stack: false
    .vgpr_count:     0
    .vgpr_spill_count: 0
    .wavefront_size: 64
  - .agpr_count:     0
    .args:
      - .offset:         0
        .size:           56
        .value_kind:     by_value
    .group_segment_fixed_size: 0
    .kernarg_segment_align: 8
    .kernarg_segment_size: 56
    .language:       OpenCL C
    .language_version:
      - 2
      - 0
    .max_flat_workgroup_size: 256
    .name:           _ZN7rocprim17ROCPRIM_400000_NS6detail17trampoline_kernelINS0_14default_configENS1_25transform_config_selectorItLb0EEEZNS1_14transform_implILb0ES3_S5_NS0_18transform_iteratorINS0_17counting_iteratorImlEEZNS1_24adjacent_difference_implIS3_Lb1ELb0EPtSB_N6thrust23THRUST_200600_302600_NS5minusItEEEE10hipError_tPvRmT2_T3_mT4_P12ihipStream_tbEUlmE_tEESB_NS0_8identityIvEEEESG_SJ_SK_mSL_SN_bEUlT_E_NS1_11comp_targetILNS1_3genE5ELNS1_11target_archE942ELNS1_3gpuE9ELNS1_3repE0EEENS1_30default_config_static_selectorELNS0_4arch9wavefront6targetE1EEEvT1_
    .private_segment_fixed_size: 0
    .sgpr_count:     4
    .sgpr_spill_count: 0
    .symbol:         _ZN7rocprim17ROCPRIM_400000_NS6detail17trampoline_kernelINS0_14default_configENS1_25transform_config_selectorItLb0EEEZNS1_14transform_implILb0ES3_S5_NS0_18transform_iteratorINS0_17counting_iteratorImlEEZNS1_24adjacent_difference_implIS3_Lb1ELb0EPtSB_N6thrust23THRUST_200600_302600_NS5minusItEEEE10hipError_tPvRmT2_T3_mT4_P12ihipStream_tbEUlmE_tEESB_NS0_8identityIvEEEESG_SJ_SK_mSL_SN_bEUlT_E_NS1_11comp_targetILNS1_3genE5ELNS1_11target_archE942ELNS1_3gpuE9ELNS1_3repE0EEENS1_30default_config_static_selectorELNS0_4arch9wavefront6targetE1EEEvT1_.kd
    .uniform_work_group_size: 1
    .uses_dynamic_stack: false
    .vgpr_count:     0
    .vgpr_spill_count: 0
    .wavefront_size: 64
  - .agpr_count:     0
    .args:
      - .offset:         0
        .size:           56
        .value_kind:     by_value
      - .offset:         56
        .size:           4
        .value_kind:     hidden_block_count_x
      - .offset:         60
        .size:           4
        .value_kind:     hidden_block_count_y
      - .offset:         64
        .size:           4
        .value_kind:     hidden_block_count_z
      - .offset:         68
        .size:           2
        .value_kind:     hidden_group_size_x
      - .offset:         70
        .size:           2
        .value_kind:     hidden_group_size_y
      - .offset:         72
        .size:           2
        .value_kind:     hidden_group_size_z
      - .offset:         74
        .size:           2
        .value_kind:     hidden_remainder_x
      - .offset:         76
        .size:           2
        .value_kind:     hidden_remainder_y
      - .offset:         78
        .size:           2
        .value_kind:     hidden_remainder_z
      - .offset:         96
        .size:           8
        .value_kind:     hidden_global_offset_x
      - .offset:         104
        .size:           8
        .value_kind:     hidden_global_offset_y
      - .offset:         112
        .size:           8
        .value_kind:     hidden_global_offset_z
      - .offset:         120
        .size:           2
        .value_kind:     hidden_grid_dims
    .group_segment_fixed_size: 0
    .kernarg_segment_align: 8
    .kernarg_segment_size: 312
    .language:       OpenCL C
    .language_version:
      - 2
      - 0
    .max_flat_workgroup_size: 64
    .name:           _ZN7rocprim17ROCPRIM_400000_NS6detail17trampoline_kernelINS0_14default_configENS1_25transform_config_selectorItLb0EEEZNS1_14transform_implILb0ES3_S5_NS0_18transform_iteratorINS0_17counting_iteratorImlEEZNS1_24adjacent_difference_implIS3_Lb1ELb0EPtSB_N6thrust23THRUST_200600_302600_NS5minusItEEEE10hipError_tPvRmT2_T3_mT4_P12ihipStream_tbEUlmE_tEESB_NS0_8identityIvEEEESG_SJ_SK_mSL_SN_bEUlT_E_NS1_11comp_targetILNS1_3genE4ELNS1_11target_archE910ELNS1_3gpuE8ELNS1_3repE0EEENS1_30default_config_static_selectorELNS0_4arch9wavefront6targetE1EEEvT1_
    .private_segment_fixed_size: 0
    .sgpr_count:     34
    .sgpr_spill_count: 0
    .symbol:         _ZN7rocprim17ROCPRIM_400000_NS6detail17trampoline_kernelINS0_14default_configENS1_25transform_config_selectorItLb0EEEZNS1_14transform_implILb0ES3_S5_NS0_18transform_iteratorINS0_17counting_iteratorImlEEZNS1_24adjacent_difference_implIS3_Lb1ELb0EPtSB_N6thrust23THRUST_200600_302600_NS5minusItEEEE10hipError_tPvRmT2_T3_mT4_P12ihipStream_tbEUlmE_tEESB_NS0_8identityIvEEEESG_SJ_SK_mSL_SN_bEUlT_E_NS1_11comp_targetILNS1_3genE4ELNS1_11target_archE910ELNS1_3gpuE8ELNS1_3repE0EEENS1_30default_config_static_selectorELNS0_4arch9wavefront6targetE1EEEvT1_.kd
    .uniform_work_group_size: 1
    .uses_dynamic_stack: false
    .vgpr_count:     18
    .vgpr_spill_count: 0
    .wavefront_size: 64
  - .agpr_count:     0
    .args:
      - .offset:         0
        .size:           56
        .value_kind:     by_value
    .group_segment_fixed_size: 0
    .kernarg_segment_align: 8
    .kernarg_segment_size: 56
    .language:       OpenCL C
    .language_version:
      - 2
      - 0
    .max_flat_workgroup_size: 128
    .name:           _ZN7rocprim17ROCPRIM_400000_NS6detail17trampoline_kernelINS0_14default_configENS1_25transform_config_selectorItLb0EEEZNS1_14transform_implILb0ES3_S5_NS0_18transform_iteratorINS0_17counting_iteratorImlEEZNS1_24adjacent_difference_implIS3_Lb1ELb0EPtSB_N6thrust23THRUST_200600_302600_NS5minusItEEEE10hipError_tPvRmT2_T3_mT4_P12ihipStream_tbEUlmE_tEESB_NS0_8identityIvEEEESG_SJ_SK_mSL_SN_bEUlT_E_NS1_11comp_targetILNS1_3genE3ELNS1_11target_archE908ELNS1_3gpuE7ELNS1_3repE0EEENS1_30default_config_static_selectorELNS0_4arch9wavefront6targetE1EEEvT1_
    .private_segment_fixed_size: 0
    .sgpr_count:     4
    .sgpr_spill_count: 0
    .symbol:         _ZN7rocprim17ROCPRIM_400000_NS6detail17trampoline_kernelINS0_14default_configENS1_25transform_config_selectorItLb0EEEZNS1_14transform_implILb0ES3_S5_NS0_18transform_iteratorINS0_17counting_iteratorImlEEZNS1_24adjacent_difference_implIS3_Lb1ELb0EPtSB_N6thrust23THRUST_200600_302600_NS5minusItEEEE10hipError_tPvRmT2_T3_mT4_P12ihipStream_tbEUlmE_tEESB_NS0_8identityIvEEEESG_SJ_SK_mSL_SN_bEUlT_E_NS1_11comp_targetILNS1_3genE3ELNS1_11target_archE908ELNS1_3gpuE7ELNS1_3repE0EEENS1_30default_config_static_selectorELNS0_4arch9wavefront6targetE1EEEvT1_.kd
    .uniform_work_group_size: 1
    .uses_dynamic_stack: false
    .vgpr_count:     0
    .vgpr_spill_count: 0
    .wavefront_size: 64
  - .agpr_count:     0
    .args:
      - .offset:         0
        .size:           56
        .value_kind:     by_value
    .group_segment_fixed_size: 0
    .kernarg_segment_align: 8
    .kernarg_segment_size: 56
    .language:       OpenCL C
    .language_version:
      - 2
      - 0
    .max_flat_workgroup_size: 512
    .name:           _ZN7rocprim17ROCPRIM_400000_NS6detail17trampoline_kernelINS0_14default_configENS1_25transform_config_selectorItLb0EEEZNS1_14transform_implILb0ES3_S5_NS0_18transform_iteratorINS0_17counting_iteratorImlEEZNS1_24adjacent_difference_implIS3_Lb1ELb0EPtSB_N6thrust23THRUST_200600_302600_NS5minusItEEEE10hipError_tPvRmT2_T3_mT4_P12ihipStream_tbEUlmE_tEESB_NS0_8identityIvEEEESG_SJ_SK_mSL_SN_bEUlT_E_NS1_11comp_targetILNS1_3genE2ELNS1_11target_archE906ELNS1_3gpuE6ELNS1_3repE0EEENS1_30default_config_static_selectorELNS0_4arch9wavefront6targetE1EEEvT1_
    .private_segment_fixed_size: 0
    .sgpr_count:     4
    .sgpr_spill_count: 0
    .symbol:         _ZN7rocprim17ROCPRIM_400000_NS6detail17trampoline_kernelINS0_14default_configENS1_25transform_config_selectorItLb0EEEZNS1_14transform_implILb0ES3_S5_NS0_18transform_iteratorINS0_17counting_iteratorImlEEZNS1_24adjacent_difference_implIS3_Lb1ELb0EPtSB_N6thrust23THRUST_200600_302600_NS5minusItEEEE10hipError_tPvRmT2_T3_mT4_P12ihipStream_tbEUlmE_tEESB_NS0_8identityIvEEEESG_SJ_SK_mSL_SN_bEUlT_E_NS1_11comp_targetILNS1_3genE2ELNS1_11target_archE906ELNS1_3gpuE6ELNS1_3repE0EEENS1_30default_config_static_selectorELNS0_4arch9wavefront6targetE1EEEvT1_.kd
    .uniform_work_group_size: 1
    .uses_dynamic_stack: false
    .vgpr_count:     0
    .vgpr_spill_count: 0
    .wavefront_size: 64
  - .agpr_count:     0
    .args:
      - .offset:         0
        .size:           56
        .value_kind:     by_value
    .group_segment_fixed_size: 0
    .kernarg_segment_align: 8
    .kernarg_segment_size: 56
    .language:       OpenCL C
    .language_version:
      - 2
      - 0
    .max_flat_workgroup_size: 1024
    .name:           _ZN7rocprim17ROCPRIM_400000_NS6detail17trampoline_kernelINS0_14default_configENS1_25transform_config_selectorItLb0EEEZNS1_14transform_implILb0ES3_S5_NS0_18transform_iteratorINS0_17counting_iteratorImlEEZNS1_24adjacent_difference_implIS3_Lb1ELb0EPtSB_N6thrust23THRUST_200600_302600_NS5minusItEEEE10hipError_tPvRmT2_T3_mT4_P12ihipStream_tbEUlmE_tEESB_NS0_8identityIvEEEESG_SJ_SK_mSL_SN_bEUlT_E_NS1_11comp_targetILNS1_3genE10ELNS1_11target_archE1201ELNS1_3gpuE5ELNS1_3repE0EEENS1_30default_config_static_selectorELNS0_4arch9wavefront6targetE1EEEvT1_
    .private_segment_fixed_size: 0
    .sgpr_count:     4
    .sgpr_spill_count: 0
    .symbol:         _ZN7rocprim17ROCPRIM_400000_NS6detail17trampoline_kernelINS0_14default_configENS1_25transform_config_selectorItLb0EEEZNS1_14transform_implILb0ES3_S5_NS0_18transform_iteratorINS0_17counting_iteratorImlEEZNS1_24adjacent_difference_implIS3_Lb1ELb0EPtSB_N6thrust23THRUST_200600_302600_NS5minusItEEEE10hipError_tPvRmT2_T3_mT4_P12ihipStream_tbEUlmE_tEESB_NS0_8identityIvEEEESG_SJ_SK_mSL_SN_bEUlT_E_NS1_11comp_targetILNS1_3genE10ELNS1_11target_archE1201ELNS1_3gpuE5ELNS1_3repE0EEENS1_30default_config_static_selectorELNS0_4arch9wavefront6targetE1EEEvT1_.kd
    .uniform_work_group_size: 1
    .uses_dynamic_stack: false
    .vgpr_count:     0
    .vgpr_spill_count: 0
    .wavefront_size: 64
  - .agpr_count:     0
    .args:
      - .offset:         0
        .size:           56
        .value_kind:     by_value
    .group_segment_fixed_size: 0
    .kernarg_segment_align: 8
    .kernarg_segment_size: 56
    .language:       OpenCL C
    .language_version:
      - 2
      - 0
    .max_flat_workgroup_size: 512
    .name:           _ZN7rocprim17ROCPRIM_400000_NS6detail17trampoline_kernelINS0_14default_configENS1_25transform_config_selectorItLb0EEEZNS1_14transform_implILb0ES3_S5_NS0_18transform_iteratorINS0_17counting_iteratorImlEEZNS1_24adjacent_difference_implIS3_Lb1ELb0EPtSB_N6thrust23THRUST_200600_302600_NS5minusItEEEE10hipError_tPvRmT2_T3_mT4_P12ihipStream_tbEUlmE_tEESB_NS0_8identityIvEEEESG_SJ_SK_mSL_SN_bEUlT_E_NS1_11comp_targetILNS1_3genE10ELNS1_11target_archE1200ELNS1_3gpuE4ELNS1_3repE0EEENS1_30default_config_static_selectorELNS0_4arch9wavefront6targetE1EEEvT1_
    .private_segment_fixed_size: 0
    .sgpr_count:     4
    .sgpr_spill_count: 0
    .symbol:         _ZN7rocprim17ROCPRIM_400000_NS6detail17trampoline_kernelINS0_14default_configENS1_25transform_config_selectorItLb0EEEZNS1_14transform_implILb0ES3_S5_NS0_18transform_iteratorINS0_17counting_iteratorImlEEZNS1_24adjacent_difference_implIS3_Lb1ELb0EPtSB_N6thrust23THRUST_200600_302600_NS5minusItEEEE10hipError_tPvRmT2_T3_mT4_P12ihipStream_tbEUlmE_tEESB_NS0_8identityIvEEEESG_SJ_SK_mSL_SN_bEUlT_E_NS1_11comp_targetILNS1_3genE10ELNS1_11target_archE1200ELNS1_3gpuE4ELNS1_3repE0EEENS1_30default_config_static_selectorELNS0_4arch9wavefront6targetE1EEEvT1_.kd
    .uniform_work_group_size: 1
    .uses_dynamic_stack: false
    .vgpr_count:     0
    .vgpr_spill_count: 0
    .wavefront_size: 64
  - .agpr_count:     0
    .args:
      - .offset:         0
        .size:           56
        .value_kind:     by_value
    .group_segment_fixed_size: 0
    .kernarg_segment_align: 8
    .kernarg_segment_size: 56
    .language:       OpenCL C
    .language_version:
      - 2
      - 0
    .max_flat_workgroup_size: 1024
    .name:           _ZN7rocprim17ROCPRIM_400000_NS6detail17trampoline_kernelINS0_14default_configENS1_25transform_config_selectorItLb0EEEZNS1_14transform_implILb0ES3_S5_NS0_18transform_iteratorINS0_17counting_iteratorImlEEZNS1_24adjacent_difference_implIS3_Lb1ELb0EPtSB_N6thrust23THRUST_200600_302600_NS5minusItEEEE10hipError_tPvRmT2_T3_mT4_P12ihipStream_tbEUlmE_tEESB_NS0_8identityIvEEEESG_SJ_SK_mSL_SN_bEUlT_E_NS1_11comp_targetILNS1_3genE9ELNS1_11target_archE1100ELNS1_3gpuE3ELNS1_3repE0EEENS1_30default_config_static_selectorELNS0_4arch9wavefront6targetE1EEEvT1_
    .private_segment_fixed_size: 0
    .sgpr_count:     4
    .sgpr_spill_count: 0
    .symbol:         _ZN7rocprim17ROCPRIM_400000_NS6detail17trampoline_kernelINS0_14default_configENS1_25transform_config_selectorItLb0EEEZNS1_14transform_implILb0ES3_S5_NS0_18transform_iteratorINS0_17counting_iteratorImlEEZNS1_24adjacent_difference_implIS3_Lb1ELb0EPtSB_N6thrust23THRUST_200600_302600_NS5minusItEEEE10hipError_tPvRmT2_T3_mT4_P12ihipStream_tbEUlmE_tEESB_NS0_8identityIvEEEESG_SJ_SK_mSL_SN_bEUlT_E_NS1_11comp_targetILNS1_3genE9ELNS1_11target_archE1100ELNS1_3gpuE3ELNS1_3repE0EEENS1_30default_config_static_selectorELNS0_4arch9wavefront6targetE1EEEvT1_.kd
    .uniform_work_group_size: 1
    .uses_dynamic_stack: false
    .vgpr_count:     0
    .vgpr_spill_count: 0
    .wavefront_size: 64
  - .agpr_count:     0
    .args:
      - .offset:         0
        .size:           56
        .value_kind:     by_value
    .group_segment_fixed_size: 0
    .kernarg_segment_align: 8
    .kernarg_segment_size: 56
    .language:       OpenCL C
    .language_version:
      - 2
      - 0
    .max_flat_workgroup_size: 1024
    .name:           _ZN7rocprim17ROCPRIM_400000_NS6detail17trampoline_kernelINS0_14default_configENS1_25transform_config_selectorItLb0EEEZNS1_14transform_implILb0ES3_S5_NS0_18transform_iteratorINS0_17counting_iteratorImlEEZNS1_24adjacent_difference_implIS3_Lb1ELb0EPtSB_N6thrust23THRUST_200600_302600_NS5minusItEEEE10hipError_tPvRmT2_T3_mT4_P12ihipStream_tbEUlmE_tEESB_NS0_8identityIvEEEESG_SJ_SK_mSL_SN_bEUlT_E_NS1_11comp_targetILNS1_3genE8ELNS1_11target_archE1030ELNS1_3gpuE2ELNS1_3repE0EEENS1_30default_config_static_selectorELNS0_4arch9wavefront6targetE1EEEvT1_
    .private_segment_fixed_size: 0
    .sgpr_count:     4
    .sgpr_spill_count: 0
    .symbol:         _ZN7rocprim17ROCPRIM_400000_NS6detail17trampoline_kernelINS0_14default_configENS1_25transform_config_selectorItLb0EEEZNS1_14transform_implILb0ES3_S5_NS0_18transform_iteratorINS0_17counting_iteratorImlEEZNS1_24adjacent_difference_implIS3_Lb1ELb0EPtSB_N6thrust23THRUST_200600_302600_NS5minusItEEEE10hipError_tPvRmT2_T3_mT4_P12ihipStream_tbEUlmE_tEESB_NS0_8identityIvEEEESG_SJ_SK_mSL_SN_bEUlT_E_NS1_11comp_targetILNS1_3genE8ELNS1_11target_archE1030ELNS1_3gpuE2ELNS1_3repE0EEENS1_30default_config_static_selectorELNS0_4arch9wavefront6targetE1EEEvT1_.kd
    .uniform_work_group_size: 1
    .uses_dynamic_stack: false
    .vgpr_count:     0
    .vgpr_spill_count: 0
    .wavefront_size: 64
  - .agpr_count:     0
    .args:
      - .offset:         0
        .size:           56
        .value_kind:     by_value
    .group_segment_fixed_size: 0
    .kernarg_segment_align: 8
    .kernarg_segment_size: 56
    .language:       OpenCL C
    .language_version:
      - 2
      - 0
    .max_flat_workgroup_size: 32
    .name:           _ZN7rocprim17ROCPRIM_400000_NS6detail17trampoline_kernelINS0_14default_configENS1_35adjacent_difference_config_selectorILb1EtEEZNS1_24adjacent_difference_implIS3_Lb1ELb0EPtS7_N6thrust23THRUST_200600_302600_NS5minusItEEEE10hipError_tPvRmT2_T3_mT4_P12ihipStream_tbEUlT_E_NS1_11comp_targetILNS1_3genE0ELNS1_11target_archE4294967295ELNS1_3gpuE0ELNS1_3repE0EEENS1_30default_config_static_selectorELNS0_4arch9wavefront6targetE1EEEvT1_
    .private_segment_fixed_size: 0
    .sgpr_count:     4
    .sgpr_spill_count: 0
    .symbol:         _ZN7rocprim17ROCPRIM_400000_NS6detail17trampoline_kernelINS0_14default_configENS1_35adjacent_difference_config_selectorILb1EtEEZNS1_24adjacent_difference_implIS3_Lb1ELb0EPtS7_N6thrust23THRUST_200600_302600_NS5minusItEEEE10hipError_tPvRmT2_T3_mT4_P12ihipStream_tbEUlT_E_NS1_11comp_targetILNS1_3genE0ELNS1_11target_archE4294967295ELNS1_3gpuE0ELNS1_3repE0EEENS1_30default_config_static_selectorELNS0_4arch9wavefront6targetE1EEEvT1_.kd
    .uniform_work_group_size: 1
    .uses_dynamic_stack: false
    .vgpr_count:     0
    .vgpr_spill_count: 0
    .wavefront_size: 64
  - .agpr_count:     0
    .args:
      - .offset:         0
        .size:           56
        .value_kind:     by_value
    .group_segment_fixed_size: 0
    .kernarg_segment_align: 8
    .kernarg_segment_size: 56
    .language:       OpenCL C
    .language_version:
      - 2
      - 0
    .max_flat_workgroup_size: 512
    .name:           _ZN7rocprim17ROCPRIM_400000_NS6detail17trampoline_kernelINS0_14default_configENS1_35adjacent_difference_config_selectorILb1EtEEZNS1_24adjacent_difference_implIS3_Lb1ELb0EPtS7_N6thrust23THRUST_200600_302600_NS5minusItEEEE10hipError_tPvRmT2_T3_mT4_P12ihipStream_tbEUlT_E_NS1_11comp_targetILNS1_3genE10ELNS1_11target_archE1201ELNS1_3gpuE5ELNS1_3repE0EEENS1_30default_config_static_selectorELNS0_4arch9wavefront6targetE1EEEvT1_
    .private_segment_fixed_size: 0
    .sgpr_count:     4
    .sgpr_spill_count: 0
    .symbol:         _ZN7rocprim17ROCPRIM_400000_NS6detail17trampoline_kernelINS0_14default_configENS1_35adjacent_difference_config_selectorILb1EtEEZNS1_24adjacent_difference_implIS3_Lb1ELb0EPtS7_N6thrust23THRUST_200600_302600_NS5minusItEEEE10hipError_tPvRmT2_T3_mT4_P12ihipStream_tbEUlT_E_NS1_11comp_targetILNS1_3genE10ELNS1_11target_archE1201ELNS1_3gpuE5ELNS1_3repE0EEENS1_30default_config_static_selectorELNS0_4arch9wavefront6targetE1EEEvT1_.kd
    .uniform_work_group_size: 1
    .uses_dynamic_stack: false
    .vgpr_count:     0
    .vgpr_spill_count: 0
    .wavefront_size: 64
  - .agpr_count:     0
    .args:
      - .offset:         0
        .size:           56
        .value_kind:     by_value
    .group_segment_fixed_size: 0
    .kernarg_segment_align: 8
    .kernarg_segment_size: 56
    .language:       OpenCL C
    .language_version:
      - 2
      - 0
    .max_flat_workgroup_size: 64
    .name:           _ZN7rocprim17ROCPRIM_400000_NS6detail17trampoline_kernelINS0_14default_configENS1_35adjacent_difference_config_selectorILb1EtEEZNS1_24adjacent_difference_implIS3_Lb1ELb0EPtS7_N6thrust23THRUST_200600_302600_NS5minusItEEEE10hipError_tPvRmT2_T3_mT4_P12ihipStream_tbEUlT_E_NS1_11comp_targetILNS1_3genE5ELNS1_11target_archE942ELNS1_3gpuE9ELNS1_3repE0EEENS1_30default_config_static_selectorELNS0_4arch9wavefront6targetE1EEEvT1_
    .private_segment_fixed_size: 0
    .sgpr_count:     4
    .sgpr_spill_count: 0
    .symbol:         _ZN7rocprim17ROCPRIM_400000_NS6detail17trampoline_kernelINS0_14default_configENS1_35adjacent_difference_config_selectorILb1EtEEZNS1_24adjacent_difference_implIS3_Lb1ELb0EPtS7_N6thrust23THRUST_200600_302600_NS5minusItEEEE10hipError_tPvRmT2_T3_mT4_P12ihipStream_tbEUlT_E_NS1_11comp_targetILNS1_3genE5ELNS1_11target_archE942ELNS1_3gpuE9ELNS1_3repE0EEENS1_30default_config_static_selectorELNS0_4arch9wavefront6targetE1EEEvT1_.kd
    .uniform_work_group_size: 1
    .uses_dynamic_stack: false
    .vgpr_count:     0
    .vgpr_spill_count: 0
    .wavefront_size: 64
  - .agpr_count:     0
    .args:
      - .offset:         0
        .size:           56
        .value_kind:     by_value
    .group_segment_fixed_size: 2176
    .kernarg_segment_align: 8
    .kernarg_segment_size: 56
    .language:       OpenCL C
    .language_version:
      - 2
      - 0
    .max_flat_workgroup_size: 64
    .name:           _ZN7rocprim17ROCPRIM_400000_NS6detail17trampoline_kernelINS0_14default_configENS1_35adjacent_difference_config_selectorILb1EtEEZNS1_24adjacent_difference_implIS3_Lb1ELb0EPtS7_N6thrust23THRUST_200600_302600_NS5minusItEEEE10hipError_tPvRmT2_T3_mT4_P12ihipStream_tbEUlT_E_NS1_11comp_targetILNS1_3genE4ELNS1_11target_archE910ELNS1_3gpuE8ELNS1_3repE0EEENS1_30default_config_static_selectorELNS0_4arch9wavefront6targetE1EEEvT1_
    .private_segment_fixed_size: 0
    .sgpr_count:     33
    .sgpr_spill_count: 0
    .symbol:         _ZN7rocprim17ROCPRIM_400000_NS6detail17trampoline_kernelINS0_14default_configENS1_35adjacent_difference_config_selectorILb1EtEEZNS1_24adjacent_difference_implIS3_Lb1ELb0EPtS7_N6thrust23THRUST_200600_302600_NS5minusItEEEE10hipError_tPvRmT2_T3_mT4_P12ihipStream_tbEUlT_E_NS1_11comp_targetILNS1_3genE4ELNS1_11target_archE910ELNS1_3gpuE8ELNS1_3repE0EEENS1_30default_config_static_selectorELNS0_4arch9wavefront6targetE1EEEvT1_.kd
    .uniform_work_group_size: 1
    .uses_dynamic_stack: false
    .vgpr_count:     34
    .vgpr_spill_count: 0
    .wavefront_size: 64
  - .agpr_count:     0
    .args:
      - .offset:         0
        .size:           56
        .value_kind:     by_value
    .group_segment_fixed_size: 0
    .kernarg_segment_align: 8
    .kernarg_segment_size: 56
    .language:       OpenCL C
    .language_version:
      - 2
      - 0
    .max_flat_workgroup_size: 32
    .name:           _ZN7rocprim17ROCPRIM_400000_NS6detail17trampoline_kernelINS0_14default_configENS1_35adjacent_difference_config_selectorILb1EtEEZNS1_24adjacent_difference_implIS3_Lb1ELb0EPtS7_N6thrust23THRUST_200600_302600_NS5minusItEEEE10hipError_tPvRmT2_T3_mT4_P12ihipStream_tbEUlT_E_NS1_11comp_targetILNS1_3genE3ELNS1_11target_archE908ELNS1_3gpuE7ELNS1_3repE0EEENS1_30default_config_static_selectorELNS0_4arch9wavefront6targetE1EEEvT1_
    .private_segment_fixed_size: 0
    .sgpr_count:     4
    .sgpr_spill_count: 0
    .symbol:         _ZN7rocprim17ROCPRIM_400000_NS6detail17trampoline_kernelINS0_14default_configENS1_35adjacent_difference_config_selectorILb1EtEEZNS1_24adjacent_difference_implIS3_Lb1ELb0EPtS7_N6thrust23THRUST_200600_302600_NS5minusItEEEE10hipError_tPvRmT2_T3_mT4_P12ihipStream_tbEUlT_E_NS1_11comp_targetILNS1_3genE3ELNS1_11target_archE908ELNS1_3gpuE7ELNS1_3repE0EEENS1_30default_config_static_selectorELNS0_4arch9wavefront6targetE1EEEvT1_.kd
    .uniform_work_group_size: 1
    .uses_dynamic_stack: false
    .vgpr_count:     0
    .vgpr_spill_count: 0
    .wavefront_size: 64
  - .agpr_count:     0
    .args:
      - .offset:         0
        .size:           56
        .value_kind:     by_value
    .group_segment_fixed_size: 0
    .kernarg_segment_align: 8
    .kernarg_segment_size: 56
    .language:       OpenCL C
    .language_version:
      - 2
      - 0
    .max_flat_workgroup_size: 64
    .name:           _ZN7rocprim17ROCPRIM_400000_NS6detail17trampoline_kernelINS0_14default_configENS1_35adjacent_difference_config_selectorILb1EtEEZNS1_24adjacent_difference_implIS3_Lb1ELb0EPtS7_N6thrust23THRUST_200600_302600_NS5minusItEEEE10hipError_tPvRmT2_T3_mT4_P12ihipStream_tbEUlT_E_NS1_11comp_targetILNS1_3genE2ELNS1_11target_archE906ELNS1_3gpuE6ELNS1_3repE0EEENS1_30default_config_static_selectorELNS0_4arch9wavefront6targetE1EEEvT1_
    .private_segment_fixed_size: 0
    .sgpr_count:     4
    .sgpr_spill_count: 0
    .symbol:         _ZN7rocprim17ROCPRIM_400000_NS6detail17trampoline_kernelINS0_14default_configENS1_35adjacent_difference_config_selectorILb1EtEEZNS1_24adjacent_difference_implIS3_Lb1ELb0EPtS7_N6thrust23THRUST_200600_302600_NS5minusItEEEE10hipError_tPvRmT2_T3_mT4_P12ihipStream_tbEUlT_E_NS1_11comp_targetILNS1_3genE2ELNS1_11target_archE906ELNS1_3gpuE6ELNS1_3repE0EEENS1_30default_config_static_selectorELNS0_4arch9wavefront6targetE1EEEvT1_.kd
    .uniform_work_group_size: 1
    .uses_dynamic_stack: false
    .vgpr_count:     0
    .vgpr_spill_count: 0
    .wavefront_size: 64
  - .agpr_count:     0
    .args:
      - .offset:         0
        .size:           56
        .value_kind:     by_value
    .group_segment_fixed_size: 0
    .kernarg_segment_align: 8
    .kernarg_segment_size: 56
    .language:       OpenCL C
    .language_version:
      - 2
      - 0
    .max_flat_workgroup_size: 128
    .name:           _ZN7rocprim17ROCPRIM_400000_NS6detail17trampoline_kernelINS0_14default_configENS1_35adjacent_difference_config_selectorILb1EtEEZNS1_24adjacent_difference_implIS3_Lb1ELb0EPtS7_N6thrust23THRUST_200600_302600_NS5minusItEEEE10hipError_tPvRmT2_T3_mT4_P12ihipStream_tbEUlT_E_NS1_11comp_targetILNS1_3genE9ELNS1_11target_archE1100ELNS1_3gpuE3ELNS1_3repE0EEENS1_30default_config_static_selectorELNS0_4arch9wavefront6targetE1EEEvT1_
    .private_segment_fixed_size: 0
    .sgpr_count:     4
    .sgpr_spill_count: 0
    .symbol:         _ZN7rocprim17ROCPRIM_400000_NS6detail17trampoline_kernelINS0_14default_configENS1_35adjacent_difference_config_selectorILb1EtEEZNS1_24adjacent_difference_implIS3_Lb1ELb0EPtS7_N6thrust23THRUST_200600_302600_NS5minusItEEEE10hipError_tPvRmT2_T3_mT4_P12ihipStream_tbEUlT_E_NS1_11comp_targetILNS1_3genE9ELNS1_11target_archE1100ELNS1_3gpuE3ELNS1_3repE0EEENS1_30default_config_static_selectorELNS0_4arch9wavefront6targetE1EEEvT1_.kd
    .uniform_work_group_size: 1
    .uses_dynamic_stack: false
    .vgpr_count:     0
    .vgpr_spill_count: 0
    .wavefront_size: 64
  - .agpr_count:     0
    .args:
      - .offset:         0
        .size:           56
        .value_kind:     by_value
    .group_segment_fixed_size: 0
    .kernarg_segment_align: 8
    .kernarg_segment_size: 56
    .language:       OpenCL C
    .language_version:
      - 2
      - 0
    .max_flat_workgroup_size: 512
    .name:           _ZN7rocprim17ROCPRIM_400000_NS6detail17trampoline_kernelINS0_14default_configENS1_35adjacent_difference_config_selectorILb1EtEEZNS1_24adjacent_difference_implIS3_Lb1ELb0EPtS7_N6thrust23THRUST_200600_302600_NS5minusItEEEE10hipError_tPvRmT2_T3_mT4_P12ihipStream_tbEUlT_E_NS1_11comp_targetILNS1_3genE8ELNS1_11target_archE1030ELNS1_3gpuE2ELNS1_3repE0EEENS1_30default_config_static_selectorELNS0_4arch9wavefront6targetE1EEEvT1_
    .private_segment_fixed_size: 0
    .sgpr_count:     4
    .sgpr_spill_count: 0
    .symbol:         _ZN7rocprim17ROCPRIM_400000_NS6detail17trampoline_kernelINS0_14default_configENS1_35adjacent_difference_config_selectorILb1EtEEZNS1_24adjacent_difference_implIS3_Lb1ELb0EPtS7_N6thrust23THRUST_200600_302600_NS5minusItEEEE10hipError_tPvRmT2_T3_mT4_P12ihipStream_tbEUlT_E_NS1_11comp_targetILNS1_3genE8ELNS1_11target_archE1030ELNS1_3gpuE2ELNS1_3repE0EEENS1_30default_config_static_selectorELNS0_4arch9wavefront6targetE1EEEvT1_.kd
    .uniform_work_group_size: 1
    .uses_dynamic_stack: false
    .vgpr_count:     0
    .vgpr_spill_count: 0
    .wavefront_size: 64
  - .agpr_count:     0
    .args:
      - .offset:         0
        .size:           56
        .value_kind:     by_value
    .group_segment_fixed_size: 0
    .kernarg_segment_align: 8
    .kernarg_segment_size: 56
    .language:       OpenCL C
    .language_version:
      - 2
      - 0
    .max_flat_workgroup_size: 64
    .name:           _ZN7rocprim17ROCPRIM_400000_NS6detail17trampoline_kernelINS0_14default_configENS1_35adjacent_difference_config_selectorILb0EtEEZNS1_24adjacent_difference_implIS3_Lb0ELb0EPtS7_N6thrust23THRUST_200600_302600_NS4plusItEEEE10hipError_tPvRmT2_T3_mT4_P12ihipStream_tbEUlT_E_NS1_11comp_targetILNS1_3genE0ELNS1_11target_archE4294967295ELNS1_3gpuE0ELNS1_3repE0EEENS1_30default_config_static_selectorELNS0_4arch9wavefront6targetE1EEEvT1_
    .private_segment_fixed_size: 0
    .sgpr_count:     4
    .sgpr_spill_count: 0
    .symbol:         _ZN7rocprim17ROCPRIM_400000_NS6detail17trampoline_kernelINS0_14default_configENS1_35adjacent_difference_config_selectorILb0EtEEZNS1_24adjacent_difference_implIS3_Lb0ELb0EPtS7_N6thrust23THRUST_200600_302600_NS4plusItEEEE10hipError_tPvRmT2_T3_mT4_P12ihipStream_tbEUlT_E_NS1_11comp_targetILNS1_3genE0ELNS1_11target_archE4294967295ELNS1_3gpuE0ELNS1_3repE0EEENS1_30default_config_static_selectorELNS0_4arch9wavefront6targetE1EEEvT1_.kd
    .uniform_work_group_size: 1
    .uses_dynamic_stack: false
    .vgpr_count:     0
    .vgpr_spill_count: 0
    .wavefront_size: 64
  - .agpr_count:     0
    .args:
      - .offset:         0
        .size:           56
        .value_kind:     by_value
    .group_segment_fixed_size: 0
    .kernarg_segment_align: 8
    .kernarg_segment_size: 56
    .language:       OpenCL C
    .language_version:
      - 2
      - 0
    .max_flat_workgroup_size: 128
    .name:           _ZN7rocprim17ROCPRIM_400000_NS6detail17trampoline_kernelINS0_14default_configENS1_35adjacent_difference_config_selectorILb0EtEEZNS1_24adjacent_difference_implIS3_Lb0ELb0EPtS7_N6thrust23THRUST_200600_302600_NS4plusItEEEE10hipError_tPvRmT2_T3_mT4_P12ihipStream_tbEUlT_E_NS1_11comp_targetILNS1_3genE10ELNS1_11target_archE1201ELNS1_3gpuE5ELNS1_3repE0EEENS1_30default_config_static_selectorELNS0_4arch9wavefront6targetE1EEEvT1_
    .private_segment_fixed_size: 0
    .sgpr_count:     4
    .sgpr_spill_count: 0
    .symbol:         _ZN7rocprim17ROCPRIM_400000_NS6detail17trampoline_kernelINS0_14default_configENS1_35adjacent_difference_config_selectorILb0EtEEZNS1_24adjacent_difference_implIS3_Lb0ELb0EPtS7_N6thrust23THRUST_200600_302600_NS4plusItEEEE10hipError_tPvRmT2_T3_mT4_P12ihipStream_tbEUlT_E_NS1_11comp_targetILNS1_3genE10ELNS1_11target_archE1201ELNS1_3gpuE5ELNS1_3repE0EEENS1_30default_config_static_selectorELNS0_4arch9wavefront6targetE1EEEvT1_.kd
    .uniform_work_group_size: 1
    .uses_dynamic_stack: false
    .vgpr_count:     0
    .vgpr_spill_count: 0
    .wavefront_size: 64
  - .agpr_count:     0
    .args:
      - .offset:         0
        .size:           56
        .value_kind:     by_value
    .group_segment_fixed_size: 0
    .kernarg_segment_align: 8
    .kernarg_segment_size: 56
    .language:       OpenCL C
    .language_version:
      - 2
      - 0
    .max_flat_workgroup_size: 256
    .name:           _ZN7rocprim17ROCPRIM_400000_NS6detail17trampoline_kernelINS0_14default_configENS1_35adjacent_difference_config_selectorILb0EtEEZNS1_24adjacent_difference_implIS3_Lb0ELb0EPtS7_N6thrust23THRUST_200600_302600_NS4plusItEEEE10hipError_tPvRmT2_T3_mT4_P12ihipStream_tbEUlT_E_NS1_11comp_targetILNS1_3genE5ELNS1_11target_archE942ELNS1_3gpuE9ELNS1_3repE0EEENS1_30default_config_static_selectorELNS0_4arch9wavefront6targetE1EEEvT1_
    .private_segment_fixed_size: 0
    .sgpr_count:     4
    .sgpr_spill_count: 0
    .symbol:         _ZN7rocprim17ROCPRIM_400000_NS6detail17trampoline_kernelINS0_14default_configENS1_35adjacent_difference_config_selectorILb0EtEEZNS1_24adjacent_difference_implIS3_Lb0ELb0EPtS7_N6thrust23THRUST_200600_302600_NS4plusItEEEE10hipError_tPvRmT2_T3_mT4_P12ihipStream_tbEUlT_E_NS1_11comp_targetILNS1_3genE5ELNS1_11target_archE942ELNS1_3gpuE9ELNS1_3repE0EEENS1_30default_config_static_selectorELNS0_4arch9wavefront6targetE1EEEvT1_.kd
    .uniform_work_group_size: 1
    .uses_dynamic_stack: false
    .vgpr_count:     0
    .vgpr_spill_count: 0
    .wavefront_size: 64
  - .agpr_count:     0
    .args:
      - .offset:         0
        .size:           56
        .value_kind:     by_value
    .group_segment_fixed_size: 2176
    .kernarg_segment_align: 8
    .kernarg_segment_size: 56
    .language:       OpenCL C
    .language_version:
      - 2
      - 0
    .max_flat_workgroup_size: 64
    .name:           _ZN7rocprim17ROCPRIM_400000_NS6detail17trampoline_kernelINS0_14default_configENS1_35adjacent_difference_config_selectorILb0EtEEZNS1_24adjacent_difference_implIS3_Lb0ELb0EPtS7_N6thrust23THRUST_200600_302600_NS4plusItEEEE10hipError_tPvRmT2_T3_mT4_P12ihipStream_tbEUlT_E_NS1_11comp_targetILNS1_3genE4ELNS1_11target_archE910ELNS1_3gpuE8ELNS1_3repE0EEENS1_30default_config_static_selectorELNS0_4arch9wavefront6targetE1EEEvT1_
    .private_segment_fixed_size: 0
    .sgpr_count:     27
    .sgpr_spill_count: 0
    .symbol:         _ZN7rocprim17ROCPRIM_400000_NS6detail17trampoline_kernelINS0_14default_configENS1_35adjacent_difference_config_selectorILb0EtEEZNS1_24adjacent_difference_implIS3_Lb0ELb0EPtS7_N6thrust23THRUST_200600_302600_NS4plusItEEEE10hipError_tPvRmT2_T3_mT4_P12ihipStream_tbEUlT_E_NS1_11comp_targetILNS1_3genE4ELNS1_11target_archE910ELNS1_3gpuE8ELNS1_3repE0EEENS1_30default_config_static_selectorELNS0_4arch9wavefront6targetE1EEEvT1_.kd
    .uniform_work_group_size: 1
    .uses_dynamic_stack: false
    .vgpr_count:     32
    .vgpr_spill_count: 0
    .wavefront_size: 64
  - .agpr_count:     0
    .args:
      - .offset:         0
        .size:           56
        .value_kind:     by_value
    .group_segment_fixed_size: 0
    .kernarg_segment_align: 8
    .kernarg_segment_size: 56
    .language:       OpenCL C
    .language_version:
      - 2
      - 0
    .max_flat_workgroup_size: 64
    .name:           _ZN7rocprim17ROCPRIM_400000_NS6detail17trampoline_kernelINS0_14default_configENS1_35adjacent_difference_config_selectorILb0EtEEZNS1_24adjacent_difference_implIS3_Lb0ELb0EPtS7_N6thrust23THRUST_200600_302600_NS4plusItEEEE10hipError_tPvRmT2_T3_mT4_P12ihipStream_tbEUlT_E_NS1_11comp_targetILNS1_3genE3ELNS1_11target_archE908ELNS1_3gpuE7ELNS1_3repE0EEENS1_30default_config_static_selectorELNS0_4arch9wavefront6targetE1EEEvT1_
    .private_segment_fixed_size: 0
    .sgpr_count:     4
    .sgpr_spill_count: 0
    .symbol:         _ZN7rocprim17ROCPRIM_400000_NS6detail17trampoline_kernelINS0_14default_configENS1_35adjacent_difference_config_selectorILb0EtEEZNS1_24adjacent_difference_implIS3_Lb0ELb0EPtS7_N6thrust23THRUST_200600_302600_NS4plusItEEEE10hipError_tPvRmT2_T3_mT4_P12ihipStream_tbEUlT_E_NS1_11comp_targetILNS1_3genE3ELNS1_11target_archE908ELNS1_3gpuE7ELNS1_3repE0EEENS1_30default_config_static_selectorELNS0_4arch9wavefront6targetE1EEEvT1_.kd
    .uniform_work_group_size: 1
    .uses_dynamic_stack: false
    .vgpr_count:     0
    .vgpr_spill_count: 0
    .wavefront_size: 64
  - .agpr_count:     0
    .args:
      - .offset:         0
        .size:           56
        .value_kind:     by_value
    .group_segment_fixed_size: 0
    .kernarg_segment_align: 8
    .kernarg_segment_size: 56
    .language:       OpenCL C
    .language_version:
      - 2
      - 0
    .max_flat_workgroup_size: 64
    .name:           _ZN7rocprim17ROCPRIM_400000_NS6detail17trampoline_kernelINS0_14default_configENS1_35adjacent_difference_config_selectorILb0EtEEZNS1_24adjacent_difference_implIS3_Lb0ELb0EPtS7_N6thrust23THRUST_200600_302600_NS4plusItEEEE10hipError_tPvRmT2_T3_mT4_P12ihipStream_tbEUlT_E_NS1_11comp_targetILNS1_3genE2ELNS1_11target_archE906ELNS1_3gpuE6ELNS1_3repE0EEENS1_30default_config_static_selectorELNS0_4arch9wavefront6targetE1EEEvT1_
    .private_segment_fixed_size: 0
    .sgpr_count:     4
    .sgpr_spill_count: 0
    .symbol:         _ZN7rocprim17ROCPRIM_400000_NS6detail17trampoline_kernelINS0_14default_configENS1_35adjacent_difference_config_selectorILb0EtEEZNS1_24adjacent_difference_implIS3_Lb0ELb0EPtS7_N6thrust23THRUST_200600_302600_NS4plusItEEEE10hipError_tPvRmT2_T3_mT4_P12ihipStream_tbEUlT_E_NS1_11comp_targetILNS1_3genE2ELNS1_11target_archE906ELNS1_3gpuE6ELNS1_3repE0EEENS1_30default_config_static_selectorELNS0_4arch9wavefront6targetE1EEEvT1_.kd
    .uniform_work_group_size: 1
    .uses_dynamic_stack: false
    .vgpr_count:     0
    .vgpr_spill_count: 0
    .wavefront_size: 64
  - .agpr_count:     0
    .args:
      - .offset:         0
        .size:           56
        .value_kind:     by_value
    .group_segment_fixed_size: 0
    .kernarg_segment_align: 8
    .kernarg_segment_size: 56
    .language:       OpenCL C
    .language_version:
      - 2
      - 0
    .max_flat_workgroup_size: 64
    .name:           _ZN7rocprim17ROCPRIM_400000_NS6detail17trampoline_kernelINS0_14default_configENS1_35adjacent_difference_config_selectorILb0EtEEZNS1_24adjacent_difference_implIS3_Lb0ELb0EPtS7_N6thrust23THRUST_200600_302600_NS4plusItEEEE10hipError_tPvRmT2_T3_mT4_P12ihipStream_tbEUlT_E_NS1_11comp_targetILNS1_3genE9ELNS1_11target_archE1100ELNS1_3gpuE3ELNS1_3repE0EEENS1_30default_config_static_selectorELNS0_4arch9wavefront6targetE1EEEvT1_
    .private_segment_fixed_size: 0
    .sgpr_count:     4
    .sgpr_spill_count: 0
    .symbol:         _ZN7rocprim17ROCPRIM_400000_NS6detail17trampoline_kernelINS0_14default_configENS1_35adjacent_difference_config_selectorILb0EtEEZNS1_24adjacent_difference_implIS3_Lb0ELb0EPtS7_N6thrust23THRUST_200600_302600_NS4plusItEEEE10hipError_tPvRmT2_T3_mT4_P12ihipStream_tbEUlT_E_NS1_11comp_targetILNS1_3genE9ELNS1_11target_archE1100ELNS1_3gpuE3ELNS1_3repE0EEENS1_30default_config_static_selectorELNS0_4arch9wavefront6targetE1EEEvT1_.kd
    .uniform_work_group_size: 1
    .uses_dynamic_stack: false
    .vgpr_count:     0
    .vgpr_spill_count: 0
    .wavefront_size: 64
  - .agpr_count:     0
    .args:
      - .offset:         0
        .size:           56
        .value_kind:     by_value
    .group_segment_fixed_size: 0
    .kernarg_segment_align: 8
    .kernarg_segment_size: 56
    .language:       OpenCL C
    .language_version:
      - 2
      - 0
    .max_flat_workgroup_size: 1024
    .name:           _ZN7rocprim17ROCPRIM_400000_NS6detail17trampoline_kernelINS0_14default_configENS1_35adjacent_difference_config_selectorILb0EtEEZNS1_24adjacent_difference_implIS3_Lb0ELb0EPtS7_N6thrust23THRUST_200600_302600_NS4plusItEEEE10hipError_tPvRmT2_T3_mT4_P12ihipStream_tbEUlT_E_NS1_11comp_targetILNS1_3genE8ELNS1_11target_archE1030ELNS1_3gpuE2ELNS1_3repE0EEENS1_30default_config_static_selectorELNS0_4arch9wavefront6targetE1EEEvT1_
    .private_segment_fixed_size: 0
    .sgpr_count:     4
    .sgpr_spill_count: 0
    .symbol:         _ZN7rocprim17ROCPRIM_400000_NS6detail17trampoline_kernelINS0_14default_configENS1_35adjacent_difference_config_selectorILb0EtEEZNS1_24adjacent_difference_implIS3_Lb0ELb0EPtS7_N6thrust23THRUST_200600_302600_NS4plusItEEEE10hipError_tPvRmT2_T3_mT4_P12ihipStream_tbEUlT_E_NS1_11comp_targetILNS1_3genE8ELNS1_11target_archE1030ELNS1_3gpuE2ELNS1_3repE0EEENS1_30default_config_static_selectorELNS0_4arch9wavefront6targetE1EEEvT1_.kd
    .uniform_work_group_size: 1
    .uses_dynamic_stack: false
    .vgpr_count:     0
    .vgpr_spill_count: 0
    .wavefront_size: 64
  - .agpr_count:     0
    .args:
      - .offset:         0
        .size:           56
        .value_kind:     by_value
    .group_segment_fixed_size: 0
    .kernarg_segment_align: 8
    .kernarg_segment_size: 56
    .language:       OpenCL C
    .language_version:
      - 2
      - 0
    .max_flat_workgroup_size: 128
    .name:           _ZN7rocprim17ROCPRIM_400000_NS6detail17trampoline_kernelINS0_14default_configENS1_25transform_config_selectorItLb0EEEZNS1_14transform_implILb0ES3_S5_NS0_18transform_iteratorINS0_17counting_iteratorImlEEZNS1_24adjacent_difference_implIS3_Lb1ELb0EPtSB_N6thrust23THRUST_200600_302600_NS4plusItEEEE10hipError_tPvRmT2_T3_mT4_P12ihipStream_tbEUlmE_tEESB_NS0_8identityIvEEEESG_SJ_SK_mSL_SN_bEUlT_E_NS1_11comp_targetILNS1_3genE0ELNS1_11target_archE4294967295ELNS1_3gpuE0ELNS1_3repE0EEENS1_30default_config_static_selectorELNS0_4arch9wavefront6targetE1EEEvT1_
    .private_segment_fixed_size: 0
    .sgpr_count:     4
    .sgpr_spill_count: 0
    .symbol:         _ZN7rocprim17ROCPRIM_400000_NS6detail17trampoline_kernelINS0_14default_configENS1_25transform_config_selectorItLb0EEEZNS1_14transform_implILb0ES3_S5_NS0_18transform_iteratorINS0_17counting_iteratorImlEEZNS1_24adjacent_difference_implIS3_Lb1ELb0EPtSB_N6thrust23THRUST_200600_302600_NS4plusItEEEE10hipError_tPvRmT2_T3_mT4_P12ihipStream_tbEUlmE_tEESB_NS0_8identityIvEEEESG_SJ_SK_mSL_SN_bEUlT_E_NS1_11comp_targetILNS1_3genE0ELNS1_11target_archE4294967295ELNS1_3gpuE0ELNS1_3repE0EEENS1_30default_config_static_selectorELNS0_4arch9wavefront6targetE1EEEvT1_.kd
    .uniform_work_group_size: 1
    .uses_dynamic_stack: false
    .vgpr_count:     0
    .vgpr_spill_count: 0
    .wavefront_size: 64
  - .agpr_count:     0
    .args:
      - .offset:         0
        .size:           56
        .value_kind:     by_value
    .group_segment_fixed_size: 0
    .kernarg_segment_align: 8
    .kernarg_segment_size: 56
    .language:       OpenCL C
    .language_version:
      - 2
      - 0
    .max_flat_workgroup_size: 256
    .name:           _ZN7rocprim17ROCPRIM_400000_NS6detail17trampoline_kernelINS0_14default_configENS1_25transform_config_selectorItLb0EEEZNS1_14transform_implILb0ES3_S5_NS0_18transform_iteratorINS0_17counting_iteratorImlEEZNS1_24adjacent_difference_implIS3_Lb1ELb0EPtSB_N6thrust23THRUST_200600_302600_NS4plusItEEEE10hipError_tPvRmT2_T3_mT4_P12ihipStream_tbEUlmE_tEESB_NS0_8identityIvEEEESG_SJ_SK_mSL_SN_bEUlT_E_NS1_11comp_targetILNS1_3genE5ELNS1_11target_archE942ELNS1_3gpuE9ELNS1_3repE0EEENS1_30default_config_static_selectorELNS0_4arch9wavefront6targetE1EEEvT1_
    .private_segment_fixed_size: 0
    .sgpr_count:     4
    .sgpr_spill_count: 0
    .symbol:         _ZN7rocprim17ROCPRIM_400000_NS6detail17trampoline_kernelINS0_14default_configENS1_25transform_config_selectorItLb0EEEZNS1_14transform_implILb0ES3_S5_NS0_18transform_iteratorINS0_17counting_iteratorImlEEZNS1_24adjacent_difference_implIS3_Lb1ELb0EPtSB_N6thrust23THRUST_200600_302600_NS4plusItEEEE10hipError_tPvRmT2_T3_mT4_P12ihipStream_tbEUlmE_tEESB_NS0_8identityIvEEEESG_SJ_SK_mSL_SN_bEUlT_E_NS1_11comp_targetILNS1_3genE5ELNS1_11target_archE942ELNS1_3gpuE9ELNS1_3repE0EEENS1_30default_config_static_selectorELNS0_4arch9wavefront6targetE1EEEvT1_.kd
    .uniform_work_group_size: 1
    .uses_dynamic_stack: false
    .vgpr_count:     0
    .vgpr_spill_count: 0
    .wavefront_size: 64
  - .agpr_count:     0
    .args:
      - .offset:         0
        .size:           56
        .value_kind:     by_value
      - .offset:         56
        .size:           4
        .value_kind:     hidden_block_count_x
      - .offset:         60
        .size:           4
        .value_kind:     hidden_block_count_y
      - .offset:         64
        .size:           4
        .value_kind:     hidden_block_count_z
      - .offset:         68
        .size:           2
        .value_kind:     hidden_group_size_x
      - .offset:         70
        .size:           2
        .value_kind:     hidden_group_size_y
      - .offset:         72
        .size:           2
        .value_kind:     hidden_group_size_z
      - .offset:         74
        .size:           2
        .value_kind:     hidden_remainder_x
      - .offset:         76
        .size:           2
        .value_kind:     hidden_remainder_y
      - .offset:         78
        .size:           2
        .value_kind:     hidden_remainder_z
      - .offset:         96
        .size:           8
        .value_kind:     hidden_global_offset_x
      - .offset:         104
        .size:           8
        .value_kind:     hidden_global_offset_y
      - .offset:         112
        .size:           8
        .value_kind:     hidden_global_offset_z
      - .offset:         120
        .size:           2
        .value_kind:     hidden_grid_dims
    .group_segment_fixed_size: 0
    .kernarg_segment_align: 8
    .kernarg_segment_size: 312
    .language:       OpenCL C
    .language_version:
      - 2
      - 0
    .max_flat_workgroup_size: 64
    .name:           _ZN7rocprim17ROCPRIM_400000_NS6detail17trampoline_kernelINS0_14default_configENS1_25transform_config_selectorItLb0EEEZNS1_14transform_implILb0ES3_S5_NS0_18transform_iteratorINS0_17counting_iteratorImlEEZNS1_24adjacent_difference_implIS3_Lb1ELb0EPtSB_N6thrust23THRUST_200600_302600_NS4plusItEEEE10hipError_tPvRmT2_T3_mT4_P12ihipStream_tbEUlmE_tEESB_NS0_8identityIvEEEESG_SJ_SK_mSL_SN_bEUlT_E_NS1_11comp_targetILNS1_3genE4ELNS1_11target_archE910ELNS1_3gpuE8ELNS1_3repE0EEENS1_30default_config_static_selectorELNS0_4arch9wavefront6targetE1EEEvT1_
    .private_segment_fixed_size: 0
    .sgpr_count:     34
    .sgpr_spill_count: 0
    .symbol:         _ZN7rocprim17ROCPRIM_400000_NS6detail17trampoline_kernelINS0_14default_configENS1_25transform_config_selectorItLb0EEEZNS1_14transform_implILb0ES3_S5_NS0_18transform_iteratorINS0_17counting_iteratorImlEEZNS1_24adjacent_difference_implIS3_Lb1ELb0EPtSB_N6thrust23THRUST_200600_302600_NS4plusItEEEE10hipError_tPvRmT2_T3_mT4_P12ihipStream_tbEUlmE_tEESB_NS0_8identityIvEEEESG_SJ_SK_mSL_SN_bEUlT_E_NS1_11comp_targetILNS1_3genE4ELNS1_11target_archE910ELNS1_3gpuE8ELNS1_3repE0EEENS1_30default_config_static_selectorELNS0_4arch9wavefront6targetE1EEEvT1_.kd
    .uniform_work_group_size: 1
    .uses_dynamic_stack: false
    .vgpr_count:     18
    .vgpr_spill_count: 0
    .wavefront_size: 64
  - .agpr_count:     0
    .args:
      - .offset:         0
        .size:           56
        .value_kind:     by_value
    .group_segment_fixed_size: 0
    .kernarg_segment_align: 8
    .kernarg_segment_size: 56
    .language:       OpenCL C
    .language_version:
      - 2
      - 0
    .max_flat_workgroup_size: 128
    .name:           _ZN7rocprim17ROCPRIM_400000_NS6detail17trampoline_kernelINS0_14default_configENS1_25transform_config_selectorItLb0EEEZNS1_14transform_implILb0ES3_S5_NS0_18transform_iteratorINS0_17counting_iteratorImlEEZNS1_24adjacent_difference_implIS3_Lb1ELb0EPtSB_N6thrust23THRUST_200600_302600_NS4plusItEEEE10hipError_tPvRmT2_T3_mT4_P12ihipStream_tbEUlmE_tEESB_NS0_8identityIvEEEESG_SJ_SK_mSL_SN_bEUlT_E_NS1_11comp_targetILNS1_3genE3ELNS1_11target_archE908ELNS1_3gpuE7ELNS1_3repE0EEENS1_30default_config_static_selectorELNS0_4arch9wavefront6targetE1EEEvT1_
    .private_segment_fixed_size: 0
    .sgpr_count:     4
    .sgpr_spill_count: 0
    .symbol:         _ZN7rocprim17ROCPRIM_400000_NS6detail17trampoline_kernelINS0_14default_configENS1_25transform_config_selectorItLb0EEEZNS1_14transform_implILb0ES3_S5_NS0_18transform_iteratorINS0_17counting_iteratorImlEEZNS1_24adjacent_difference_implIS3_Lb1ELb0EPtSB_N6thrust23THRUST_200600_302600_NS4plusItEEEE10hipError_tPvRmT2_T3_mT4_P12ihipStream_tbEUlmE_tEESB_NS0_8identityIvEEEESG_SJ_SK_mSL_SN_bEUlT_E_NS1_11comp_targetILNS1_3genE3ELNS1_11target_archE908ELNS1_3gpuE7ELNS1_3repE0EEENS1_30default_config_static_selectorELNS0_4arch9wavefront6targetE1EEEvT1_.kd
    .uniform_work_group_size: 1
    .uses_dynamic_stack: false
    .vgpr_count:     0
    .vgpr_spill_count: 0
    .wavefront_size: 64
  - .agpr_count:     0
    .args:
      - .offset:         0
        .size:           56
        .value_kind:     by_value
    .group_segment_fixed_size: 0
    .kernarg_segment_align: 8
    .kernarg_segment_size: 56
    .language:       OpenCL C
    .language_version:
      - 2
      - 0
    .max_flat_workgroup_size: 512
    .name:           _ZN7rocprim17ROCPRIM_400000_NS6detail17trampoline_kernelINS0_14default_configENS1_25transform_config_selectorItLb0EEEZNS1_14transform_implILb0ES3_S5_NS0_18transform_iteratorINS0_17counting_iteratorImlEEZNS1_24adjacent_difference_implIS3_Lb1ELb0EPtSB_N6thrust23THRUST_200600_302600_NS4plusItEEEE10hipError_tPvRmT2_T3_mT4_P12ihipStream_tbEUlmE_tEESB_NS0_8identityIvEEEESG_SJ_SK_mSL_SN_bEUlT_E_NS1_11comp_targetILNS1_3genE2ELNS1_11target_archE906ELNS1_3gpuE6ELNS1_3repE0EEENS1_30default_config_static_selectorELNS0_4arch9wavefront6targetE1EEEvT1_
    .private_segment_fixed_size: 0
    .sgpr_count:     4
    .sgpr_spill_count: 0
    .symbol:         _ZN7rocprim17ROCPRIM_400000_NS6detail17trampoline_kernelINS0_14default_configENS1_25transform_config_selectorItLb0EEEZNS1_14transform_implILb0ES3_S5_NS0_18transform_iteratorINS0_17counting_iteratorImlEEZNS1_24adjacent_difference_implIS3_Lb1ELb0EPtSB_N6thrust23THRUST_200600_302600_NS4plusItEEEE10hipError_tPvRmT2_T3_mT4_P12ihipStream_tbEUlmE_tEESB_NS0_8identityIvEEEESG_SJ_SK_mSL_SN_bEUlT_E_NS1_11comp_targetILNS1_3genE2ELNS1_11target_archE906ELNS1_3gpuE6ELNS1_3repE0EEENS1_30default_config_static_selectorELNS0_4arch9wavefront6targetE1EEEvT1_.kd
    .uniform_work_group_size: 1
    .uses_dynamic_stack: false
    .vgpr_count:     0
    .vgpr_spill_count: 0
    .wavefront_size: 64
  - .agpr_count:     0
    .args:
      - .offset:         0
        .size:           56
        .value_kind:     by_value
    .group_segment_fixed_size: 0
    .kernarg_segment_align: 8
    .kernarg_segment_size: 56
    .language:       OpenCL C
    .language_version:
      - 2
      - 0
    .max_flat_workgroup_size: 1024
    .name:           _ZN7rocprim17ROCPRIM_400000_NS6detail17trampoline_kernelINS0_14default_configENS1_25transform_config_selectorItLb0EEEZNS1_14transform_implILb0ES3_S5_NS0_18transform_iteratorINS0_17counting_iteratorImlEEZNS1_24adjacent_difference_implIS3_Lb1ELb0EPtSB_N6thrust23THRUST_200600_302600_NS4plusItEEEE10hipError_tPvRmT2_T3_mT4_P12ihipStream_tbEUlmE_tEESB_NS0_8identityIvEEEESG_SJ_SK_mSL_SN_bEUlT_E_NS1_11comp_targetILNS1_3genE10ELNS1_11target_archE1201ELNS1_3gpuE5ELNS1_3repE0EEENS1_30default_config_static_selectorELNS0_4arch9wavefront6targetE1EEEvT1_
    .private_segment_fixed_size: 0
    .sgpr_count:     4
    .sgpr_spill_count: 0
    .symbol:         _ZN7rocprim17ROCPRIM_400000_NS6detail17trampoline_kernelINS0_14default_configENS1_25transform_config_selectorItLb0EEEZNS1_14transform_implILb0ES3_S5_NS0_18transform_iteratorINS0_17counting_iteratorImlEEZNS1_24adjacent_difference_implIS3_Lb1ELb0EPtSB_N6thrust23THRUST_200600_302600_NS4plusItEEEE10hipError_tPvRmT2_T3_mT4_P12ihipStream_tbEUlmE_tEESB_NS0_8identityIvEEEESG_SJ_SK_mSL_SN_bEUlT_E_NS1_11comp_targetILNS1_3genE10ELNS1_11target_archE1201ELNS1_3gpuE5ELNS1_3repE0EEENS1_30default_config_static_selectorELNS0_4arch9wavefront6targetE1EEEvT1_.kd
    .uniform_work_group_size: 1
    .uses_dynamic_stack: false
    .vgpr_count:     0
    .vgpr_spill_count: 0
    .wavefront_size: 64
  - .agpr_count:     0
    .args:
      - .offset:         0
        .size:           56
        .value_kind:     by_value
    .group_segment_fixed_size: 0
    .kernarg_segment_align: 8
    .kernarg_segment_size: 56
    .language:       OpenCL C
    .language_version:
      - 2
      - 0
    .max_flat_workgroup_size: 512
    .name:           _ZN7rocprim17ROCPRIM_400000_NS6detail17trampoline_kernelINS0_14default_configENS1_25transform_config_selectorItLb0EEEZNS1_14transform_implILb0ES3_S5_NS0_18transform_iteratorINS0_17counting_iteratorImlEEZNS1_24adjacent_difference_implIS3_Lb1ELb0EPtSB_N6thrust23THRUST_200600_302600_NS4plusItEEEE10hipError_tPvRmT2_T3_mT4_P12ihipStream_tbEUlmE_tEESB_NS0_8identityIvEEEESG_SJ_SK_mSL_SN_bEUlT_E_NS1_11comp_targetILNS1_3genE10ELNS1_11target_archE1200ELNS1_3gpuE4ELNS1_3repE0EEENS1_30default_config_static_selectorELNS0_4arch9wavefront6targetE1EEEvT1_
    .private_segment_fixed_size: 0
    .sgpr_count:     4
    .sgpr_spill_count: 0
    .symbol:         _ZN7rocprim17ROCPRIM_400000_NS6detail17trampoline_kernelINS0_14default_configENS1_25transform_config_selectorItLb0EEEZNS1_14transform_implILb0ES3_S5_NS0_18transform_iteratorINS0_17counting_iteratorImlEEZNS1_24adjacent_difference_implIS3_Lb1ELb0EPtSB_N6thrust23THRUST_200600_302600_NS4plusItEEEE10hipError_tPvRmT2_T3_mT4_P12ihipStream_tbEUlmE_tEESB_NS0_8identityIvEEEESG_SJ_SK_mSL_SN_bEUlT_E_NS1_11comp_targetILNS1_3genE10ELNS1_11target_archE1200ELNS1_3gpuE4ELNS1_3repE0EEENS1_30default_config_static_selectorELNS0_4arch9wavefront6targetE1EEEvT1_.kd
    .uniform_work_group_size: 1
    .uses_dynamic_stack: false
    .vgpr_count:     0
    .vgpr_spill_count: 0
    .wavefront_size: 64
  - .agpr_count:     0
    .args:
      - .offset:         0
        .size:           56
        .value_kind:     by_value
    .group_segment_fixed_size: 0
    .kernarg_segment_align: 8
    .kernarg_segment_size: 56
    .language:       OpenCL C
    .language_version:
      - 2
      - 0
    .max_flat_workgroup_size: 1024
    .name:           _ZN7rocprim17ROCPRIM_400000_NS6detail17trampoline_kernelINS0_14default_configENS1_25transform_config_selectorItLb0EEEZNS1_14transform_implILb0ES3_S5_NS0_18transform_iteratorINS0_17counting_iteratorImlEEZNS1_24adjacent_difference_implIS3_Lb1ELb0EPtSB_N6thrust23THRUST_200600_302600_NS4plusItEEEE10hipError_tPvRmT2_T3_mT4_P12ihipStream_tbEUlmE_tEESB_NS0_8identityIvEEEESG_SJ_SK_mSL_SN_bEUlT_E_NS1_11comp_targetILNS1_3genE9ELNS1_11target_archE1100ELNS1_3gpuE3ELNS1_3repE0EEENS1_30default_config_static_selectorELNS0_4arch9wavefront6targetE1EEEvT1_
    .private_segment_fixed_size: 0
    .sgpr_count:     4
    .sgpr_spill_count: 0
    .symbol:         _ZN7rocprim17ROCPRIM_400000_NS6detail17trampoline_kernelINS0_14default_configENS1_25transform_config_selectorItLb0EEEZNS1_14transform_implILb0ES3_S5_NS0_18transform_iteratorINS0_17counting_iteratorImlEEZNS1_24adjacent_difference_implIS3_Lb1ELb0EPtSB_N6thrust23THRUST_200600_302600_NS4plusItEEEE10hipError_tPvRmT2_T3_mT4_P12ihipStream_tbEUlmE_tEESB_NS0_8identityIvEEEESG_SJ_SK_mSL_SN_bEUlT_E_NS1_11comp_targetILNS1_3genE9ELNS1_11target_archE1100ELNS1_3gpuE3ELNS1_3repE0EEENS1_30default_config_static_selectorELNS0_4arch9wavefront6targetE1EEEvT1_.kd
    .uniform_work_group_size: 1
    .uses_dynamic_stack: false
    .vgpr_count:     0
    .vgpr_spill_count: 0
    .wavefront_size: 64
  - .agpr_count:     0
    .args:
      - .offset:         0
        .size:           56
        .value_kind:     by_value
    .group_segment_fixed_size: 0
    .kernarg_segment_align: 8
    .kernarg_segment_size: 56
    .language:       OpenCL C
    .language_version:
      - 2
      - 0
    .max_flat_workgroup_size: 1024
    .name:           _ZN7rocprim17ROCPRIM_400000_NS6detail17trampoline_kernelINS0_14default_configENS1_25transform_config_selectorItLb0EEEZNS1_14transform_implILb0ES3_S5_NS0_18transform_iteratorINS0_17counting_iteratorImlEEZNS1_24adjacent_difference_implIS3_Lb1ELb0EPtSB_N6thrust23THRUST_200600_302600_NS4plusItEEEE10hipError_tPvRmT2_T3_mT4_P12ihipStream_tbEUlmE_tEESB_NS0_8identityIvEEEESG_SJ_SK_mSL_SN_bEUlT_E_NS1_11comp_targetILNS1_3genE8ELNS1_11target_archE1030ELNS1_3gpuE2ELNS1_3repE0EEENS1_30default_config_static_selectorELNS0_4arch9wavefront6targetE1EEEvT1_
    .private_segment_fixed_size: 0
    .sgpr_count:     4
    .sgpr_spill_count: 0
    .symbol:         _ZN7rocprim17ROCPRIM_400000_NS6detail17trampoline_kernelINS0_14default_configENS1_25transform_config_selectorItLb0EEEZNS1_14transform_implILb0ES3_S5_NS0_18transform_iteratorINS0_17counting_iteratorImlEEZNS1_24adjacent_difference_implIS3_Lb1ELb0EPtSB_N6thrust23THRUST_200600_302600_NS4plusItEEEE10hipError_tPvRmT2_T3_mT4_P12ihipStream_tbEUlmE_tEESB_NS0_8identityIvEEEESG_SJ_SK_mSL_SN_bEUlT_E_NS1_11comp_targetILNS1_3genE8ELNS1_11target_archE1030ELNS1_3gpuE2ELNS1_3repE0EEENS1_30default_config_static_selectorELNS0_4arch9wavefront6targetE1EEEvT1_.kd
    .uniform_work_group_size: 1
    .uses_dynamic_stack: false
    .vgpr_count:     0
    .vgpr_spill_count: 0
    .wavefront_size: 64
  - .agpr_count:     0
    .args:
      - .offset:         0
        .size:           56
        .value_kind:     by_value
    .group_segment_fixed_size: 0
    .kernarg_segment_align: 8
    .kernarg_segment_size: 56
    .language:       OpenCL C
    .language_version:
      - 2
      - 0
    .max_flat_workgroup_size: 32
    .name:           _ZN7rocprim17ROCPRIM_400000_NS6detail17trampoline_kernelINS0_14default_configENS1_35adjacent_difference_config_selectorILb1EtEEZNS1_24adjacent_difference_implIS3_Lb1ELb0EPtS7_N6thrust23THRUST_200600_302600_NS4plusItEEEE10hipError_tPvRmT2_T3_mT4_P12ihipStream_tbEUlT_E_NS1_11comp_targetILNS1_3genE0ELNS1_11target_archE4294967295ELNS1_3gpuE0ELNS1_3repE0EEENS1_30default_config_static_selectorELNS0_4arch9wavefront6targetE1EEEvT1_
    .private_segment_fixed_size: 0
    .sgpr_count:     4
    .sgpr_spill_count: 0
    .symbol:         _ZN7rocprim17ROCPRIM_400000_NS6detail17trampoline_kernelINS0_14default_configENS1_35adjacent_difference_config_selectorILb1EtEEZNS1_24adjacent_difference_implIS3_Lb1ELb0EPtS7_N6thrust23THRUST_200600_302600_NS4plusItEEEE10hipError_tPvRmT2_T3_mT4_P12ihipStream_tbEUlT_E_NS1_11comp_targetILNS1_3genE0ELNS1_11target_archE4294967295ELNS1_3gpuE0ELNS1_3repE0EEENS1_30default_config_static_selectorELNS0_4arch9wavefront6targetE1EEEvT1_.kd
    .uniform_work_group_size: 1
    .uses_dynamic_stack: false
    .vgpr_count:     0
    .vgpr_spill_count: 0
    .wavefront_size: 64
  - .agpr_count:     0
    .args:
      - .offset:         0
        .size:           56
        .value_kind:     by_value
    .group_segment_fixed_size: 0
    .kernarg_segment_align: 8
    .kernarg_segment_size: 56
    .language:       OpenCL C
    .language_version:
      - 2
      - 0
    .max_flat_workgroup_size: 512
    .name:           _ZN7rocprim17ROCPRIM_400000_NS6detail17trampoline_kernelINS0_14default_configENS1_35adjacent_difference_config_selectorILb1EtEEZNS1_24adjacent_difference_implIS3_Lb1ELb0EPtS7_N6thrust23THRUST_200600_302600_NS4plusItEEEE10hipError_tPvRmT2_T3_mT4_P12ihipStream_tbEUlT_E_NS1_11comp_targetILNS1_3genE10ELNS1_11target_archE1201ELNS1_3gpuE5ELNS1_3repE0EEENS1_30default_config_static_selectorELNS0_4arch9wavefront6targetE1EEEvT1_
    .private_segment_fixed_size: 0
    .sgpr_count:     4
    .sgpr_spill_count: 0
    .symbol:         _ZN7rocprim17ROCPRIM_400000_NS6detail17trampoline_kernelINS0_14default_configENS1_35adjacent_difference_config_selectorILb1EtEEZNS1_24adjacent_difference_implIS3_Lb1ELb0EPtS7_N6thrust23THRUST_200600_302600_NS4plusItEEEE10hipError_tPvRmT2_T3_mT4_P12ihipStream_tbEUlT_E_NS1_11comp_targetILNS1_3genE10ELNS1_11target_archE1201ELNS1_3gpuE5ELNS1_3repE0EEENS1_30default_config_static_selectorELNS0_4arch9wavefront6targetE1EEEvT1_.kd
    .uniform_work_group_size: 1
    .uses_dynamic_stack: false
    .vgpr_count:     0
    .vgpr_spill_count: 0
    .wavefront_size: 64
  - .agpr_count:     0
    .args:
      - .offset:         0
        .size:           56
        .value_kind:     by_value
    .group_segment_fixed_size: 0
    .kernarg_segment_align: 8
    .kernarg_segment_size: 56
    .language:       OpenCL C
    .language_version:
      - 2
      - 0
    .max_flat_workgroup_size: 64
    .name:           _ZN7rocprim17ROCPRIM_400000_NS6detail17trampoline_kernelINS0_14default_configENS1_35adjacent_difference_config_selectorILb1EtEEZNS1_24adjacent_difference_implIS3_Lb1ELb0EPtS7_N6thrust23THRUST_200600_302600_NS4plusItEEEE10hipError_tPvRmT2_T3_mT4_P12ihipStream_tbEUlT_E_NS1_11comp_targetILNS1_3genE5ELNS1_11target_archE942ELNS1_3gpuE9ELNS1_3repE0EEENS1_30default_config_static_selectorELNS0_4arch9wavefront6targetE1EEEvT1_
    .private_segment_fixed_size: 0
    .sgpr_count:     4
    .sgpr_spill_count: 0
    .symbol:         _ZN7rocprim17ROCPRIM_400000_NS6detail17trampoline_kernelINS0_14default_configENS1_35adjacent_difference_config_selectorILb1EtEEZNS1_24adjacent_difference_implIS3_Lb1ELb0EPtS7_N6thrust23THRUST_200600_302600_NS4plusItEEEE10hipError_tPvRmT2_T3_mT4_P12ihipStream_tbEUlT_E_NS1_11comp_targetILNS1_3genE5ELNS1_11target_archE942ELNS1_3gpuE9ELNS1_3repE0EEENS1_30default_config_static_selectorELNS0_4arch9wavefront6targetE1EEEvT1_.kd
    .uniform_work_group_size: 1
    .uses_dynamic_stack: false
    .vgpr_count:     0
    .vgpr_spill_count: 0
    .wavefront_size: 64
  - .agpr_count:     0
    .args:
      - .offset:         0
        .size:           56
        .value_kind:     by_value
    .group_segment_fixed_size: 2176
    .kernarg_segment_align: 8
    .kernarg_segment_size: 56
    .language:       OpenCL C
    .language_version:
      - 2
      - 0
    .max_flat_workgroup_size: 64
    .name:           _ZN7rocprim17ROCPRIM_400000_NS6detail17trampoline_kernelINS0_14default_configENS1_35adjacent_difference_config_selectorILb1EtEEZNS1_24adjacent_difference_implIS3_Lb1ELb0EPtS7_N6thrust23THRUST_200600_302600_NS4plusItEEEE10hipError_tPvRmT2_T3_mT4_P12ihipStream_tbEUlT_E_NS1_11comp_targetILNS1_3genE4ELNS1_11target_archE910ELNS1_3gpuE8ELNS1_3repE0EEENS1_30default_config_static_selectorELNS0_4arch9wavefront6targetE1EEEvT1_
    .private_segment_fixed_size: 0
    .sgpr_count:     33
    .sgpr_spill_count: 0
    .symbol:         _ZN7rocprim17ROCPRIM_400000_NS6detail17trampoline_kernelINS0_14default_configENS1_35adjacent_difference_config_selectorILb1EtEEZNS1_24adjacent_difference_implIS3_Lb1ELb0EPtS7_N6thrust23THRUST_200600_302600_NS4plusItEEEE10hipError_tPvRmT2_T3_mT4_P12ihipStream_tbEUlT_E_NS1_11comp_targetILNS1_3genE4ELNS1_11target_archE910ELNS1_3gpuE8ELNS1_3repE0EEENS1_30default_config_static_selectorELNS0_4arch9wavefront6targetE1EEEvT1_.kd
    .uniform_work_group_size: 1
    .uses_dynamic_stack: false
    .vgpr_count:     32
    .vgpr_spill_count: 0
    .wavefront_size: 64
  - .agpr_count:     0
    .args:
      - .offset:         0
        .size:           56
        .value_kind:     by_value
    .group_segment_fixed_size: 0
    .kernarg_segment_align: 8
    .kernarg_segment_size: 56
    .language:       OpenCL C
    .language_version:
      - 2
      - 0
    .max_flat_workgroup_size: 32
    .name:           _ZN7rocprim17ROCPRIM_400000_NS6detail17trampoline_kernelINS0_14default_configENS1_35adjacent_difference_config_selectorILb1EtEEZNS1_24adjacent_difference_implIS3_Lb1ELb0EPtS7_N6thrust23THRUST_200600_302600_NS4plusItEEEE10hipError_tPvRmT2_T3_mT4_P12ihipStream_tbEUlT_E_NS1_11comp_targetILNS1_3genE3ELNS1_11target_archE908ELNS1_3gpuE7ELNS1_3repE0EEENS1_30default_config_static_selectorELNS0_4arch9wavefront6targetE1EEEvT1_
    .private_segment_fixed_size: 0
    .sgpr_count:     4
    .sgpr_spill_count: 0
    .symbol:         _ZN7rocprim17ROCPRIM_400000_NS6detail17trampoline_kernelINS0_14default_configENS1_35adjacent_difference_config_selectorILb1EtEEZNS1_24adjacent_difference_implIS3_Lb1ELb0EPtS7_N6thrust23THRUST_200600_302600_NS4plusItEEEE10hipError_tPvRmT2_T3_mT4_P12ihipStream_tbEUlT_E_NS1_11comp_targetILNS1_3genE3ELNS1_11target_archE908ELNS1_3gpuE7ELNS1_3repE0EEENS1_30default_config_static_selectorELNS0_4arch9wavefront6targetE1EEEvT1_.kd
    .uniform_work_group_size: 1
    .uses_dynamic_stack: false
    .vgpr_count:     0
    .vgpr_spill_count: 0
    .wavefront_size: 64
  - .agpr_count:     0
    .args:
      - .offset:         0
        .size:           56
        .value_kind:     by_value
    .group_segment_fixed_size: 0
    .kernarg_segment_align: 8
    .kernarg_segment_size: 56
    .language:       OpenCL C
    .language_version:
      - 2
      - 0
    .max_flat_workgroup_size: 64
    .name:           _ZN7rocprim17ROCPRIM_400000_NS6detail17trampoline_kernelINS0_14default_configENS1_35adjacent_difference_config_selectorILb1EtEEZNS1_24adjacent_difference_implIS3_Lb1ELb0EPtS7_N6thrust23THRUST_200600_302600_NS4plusItEEEE10hipError_tPvRmT2_T3_mT4_P12ihipStream_tbEUlT_E_NS1_11comp_targetILNS1_3genE2ELNS1_11target_archE906ELNS1_3gpuE6ELNS1_3repE0EEENS1_30default_config_static_selectorELNS0_4arch9wavefront6targetE1EEEvT1_
    .private_segment_fixed_size: 0
    .sgpr_count:     4
    .sgpr_spill_count: 0
    .symbol:         _ZN7rocprim17ROCPRIM_400000_NS6detail17trampoline_kernelINS0_14default_configENS1_35adjacent_difference_config_selectorILb1EtEEZNS1_24adjacent_difference_implIS3_Lb1ELb0EPtS7_N6thrust23THRUST_200600_302600_NS4plusItEEEE10hipError_tPvRmT2_T3_mT4_P12ihipStream_tbEUlT_E_NS1_11comp_targetILNS1_3genE2ELNS1_11target_archE906ELNS1_3gpuE6ELNS1_3repE0EEENS1_30default_config_static_selectorELNS0_4arch9wavefront6targetE1EEEvT1_.kd
    .uniform_work_group_size: 1
    .uses_dynamic_stack: false
    .vgpr_count:     0
    .vgpr_spill_count: 0
    .wavefront_size: 64
  - .agpr_count:     0
    .args:
      - .offset:         0
        .size:           56
        .value_kind:     by_value
    .group_segment_fixed_size: 0
    .kernarg_segment_align: 8
    .kernarg_segment_size: 56
    .language:       OpenCL C
    .language_version:
      - 2
      - 0
    .max_flat_workgroup_size: 128
    .name:           _ZN7rocprim17ROCPRIM_400000_NS6detail17trampoline_kernelINS0_14default_configENS1_35adjacent_difference_config_selectorILb1EtEEZNS1_24adjacent_difference_implIS3_Lb1ELb0EPtS7_N6thrust23THRUST_200600_302600_NS4plusItEEEE10hipError_tPvRmT2_T3_mT4_P12ihipStream_tbEUlT_E_NS1_11comp_targetILNS1_3genE9ELNS1_11target_archE1100ELNS1_3gpuE3ELNS1_3repE0EEENS1_30default_config_static_selectorELNS0_4arch9wavefront6targetE1EEEvT1_
    .private_segment_fixed_size: 0
    .sgpr_count:     4
    .sgpr_spill_count: 0
    .symbol:         _ZN7rocprim17ROCPRIM_400000_NS6detail17trampoline_kernelINS0_14default_configENS1_35adjacent_difference_config_selectorILb1EtEEZNS1_24adjacent_difference_implIS3_Lb1ELb0EPtS7_N6thrust23THRUST_200600_302600_NS4plusItEEEE10hipError_tPvRmT2_T3_mT4_P12ihipStream_tbEUlT_E_NS1_11comp_targetILNS1_3genE9ELNS1_11target_archE1100ELNS1_3gpuE3ELNS1_3repE0EEENS1_30default_config_static_selectorELNS0_4arch9wavefront6targetE1EEEvT1_.kd
    .uniform_work_group_size: 1
    .uses_dynamic_stack: false
    .vgpr_count:     0
    .vgpr_spill_count: 0
    .wavefront_size: 64
  - .agpr_count:     0
    .args:
      - .offset:         0
        .size:           56
        .value_kind:     by_value
    .group_segment_fixed_size: 0
    .kernarg_segment_align: 8
    .kernarg_segment_size: 56
    .language:       OpenCL C
    .language_version:
      - 2
      - 0
    .max_flat_workgroup_size: 512
    .name:           _ZN7rocprim17ROCPRIM_400000_NS6detail17trampoline_kernelINS0_14default_configENS1_35adjacent_difference_config_selectorILb1EtEEZNS1_24adjacent_difference_implIS3_Lb1ELb0EPtS7_N6thrust23THRUST_200600_302600_NS4plusItEEEE10hipError_tPvRmT2_T3_mT4_P12ihipStream_tbEUlT_E_NS1_11comp_targetILNS1_3genE8ELNS1_11target_archE1030ELNS1_3gpuE2ELNS1_3repE0EEENS1_30default_config_static_selectorELNS0_4arch9wavefront6targetE1EEEvT1_
    .private_segment_fixed_size: 0
    .sgpr_count:     4
    .sgpr_spill_count: 0
    .symbol:         _ZN7rocprim17ROCPRIM_400000_NS6detail17trampoline_kernelINS0_14default_configENS1_35adjacent_difference_config_selectorILb1EtEEZNS1_24adjacent_difference_implIS3_Lb1ELb0EPtS7_N6thrust23THRUST_200600_302600_NS4plusItEEEE10hipError_tPvRmT2_T3_mT4_P12ihipStream_tbEUlT_E_NS1_11comp_targetILNS1_3genE8ELNS1_11target_archE1030ELNS1_3gpuE2ELNS1_3repE0EEENS1_30default_config_static_selectorELNS0_4arch9wavefront6targetE1EEEvT1_.kd
    .uniform_work_group_size: 1
    .uses_dynamic_stack: false
    .vgpr_count:     0
    .vgpr_spill_count: 0
    .wavefront_size: 64
  - .agpr_count:     0
    .args:
      - .offset:         0
        .size:           16
        .value_kind:     by_value
      - .offset:         16
        .size:           8
        .value_kind:     by_value
      - .offset:         24
        .size:           8
        .value_kind:     by_value
    .group_segment_fixed_size: 0
    .kernarg_segment_align: 8
    .kernarg_segment_size: 32
    .language:       OpenCL C
    .language_version:
      - 2
      - 0
    .max_flat_workgroup_size: 256
    .name:           _ZN6thrust23THRUST_200600_302600_NS11hip_rocprim14__parallel_for6kernelILj256ENS1_20__uninitialized_fill7functorINS0_10device_ptrIjEEjEEmLj1EEEvT0_T1_SA_
    .private_segment_fixed_size: 0
    .sgpr_count:     16
    .sgpr_spill_count: 0
    .symbol:         _ZN6thrust23THRUST_200600_302600_NS11hip_rocprim14__parallel_for6kernelILj256ENS1_20__uninitialized_fill7functorINS0_10device_ptrIjEEjEEmLj1EEEvT0_T1_SA_.kd
    .uniform_work_group_size: 1
    .uses_dynamic_stack: false
    .vgpr_count:     4
    .vgpr_spill_count: 0
    .wavefront_size: 64
  - .agpr_count:     0
    .args:
      - .offset:         0
        .size:           56
        .value_kind:     by_value
    .group_segment_fixed_size: 0
    .kernarg_segment_align: 8
    .kernarg_segment_size: 56
    .language:       OpenCL C
    .language_version:
      - 2
      - 0
    .max_flat_workgroup_size: 128
    .name:           _ZN7rocprim17ROCPRIM_400000_NS6detail17trampoline_kernelINS0_14default_configENS1_35adjacent_difference_config_selectorILb0EjEEZNS1_24adjacent_difference_implIS3_Lb0ELb0EPjS7_N6thrust23THRUST_200600_302600_NS5minusIjEEEE10hipError_tPvRmT2_T3_mT4_P12ihipStream_tbEUlT_E_NS1_11comp_targetILNS1_3genE0ELNS1_11target_archE4294967295ELNS1_3gpuE0ELNS1_3repE0EEENS1_30default_config_static_selectorELNS0_4arch9wavefront6targetE1EEEvT1_
    .private_segment_fixed_size: 0
    .sgpr_count:     4
    .sgpr_spill_count: 0
    .symbol:         _ZN7rocprim17ROCPRIM_400000_NS6detail17trampoline_kernelINS0_14default_configENS1_35adjacent_difference_config_selectorILb0EjEEZNS1_24adjacent_difference_implIS3_Lb0ELb0EPjS7_N6thrust23THRUST_200600_302600_NS5minusIjEEEE10hipError_tPvRmT2_T3_mT4_P12ihipStream_tbEUlT_E_NS1_11comp_targetILNS1_3genE0ELNS1_11target_archE4294967295ELNS1_3gpuE0ELNS1_3repE0EEENS1_30default_config_static_selectorELNS0_4arch9wavefront6targetE1EEEvT1_.kd
    .uniform_work_group_size: 1
    .uses_dynamic_stack: false
    .vgpr_count:     0
    .vgpr_spill_count: 0
    .wavefront_size: 64
  - .agpr_count:     0
    .args:
      - .offset:         0
        .size:           56
        .value_kind:     by_value
    .group_segment_fixed_size: 0
    .kernarg_segment_align: 8
    .kernarg_segment_size: 56
    .language:       OpenCL C
    .language_version:
      - 2
      - 0
    .max_flat_workgroup_size: 128
    .name:           _ZN7rocprim17ROCPRIM_400000_NS6detail17trampoline_kernelINS0_14default_configENS1_35adjacent_difference_config_selectorILb0EjEEZNS1_24adjacent_difference_implIS3_Lb0ELb0EPjS7_N6thrust23THRUST_200600_302600_NS5minusIjEEEE10hipError_tPvRmT2_T3_mT4_P12ihipStream_tbEUlT_E_NS1_11comp_targetILNS1_3genE10ELNS1_11target_archE1201ELNS1_3gpuE5ELNS1_3repE0EEENS1_30default_config_static_selectorELNS0_4arch9wavefront6targetE1EEEvT1_
    .private_segment_fixed_size: 0
    .sgpr_count:     4
    .sgpr_spill_count: 0
    .symbol:         _ZN7rocprim17ROCPRIM_400000_NS6detail17trampoline_kernelINS0_14default_configENS1_35adjacent_difference_config_selectorILb0EjEEZNS1_24adjacent_difference_implIS3_Lb0ELb0EPjS7_N6thrust23THRUST_200600_302600_NS5minusIjEEEE10hipError_tPvRmT2_T3_mT4_P12ihipStream_tbEUlT_E_NS1_11comp_targetILNS1_3genE10ELNS1_11target_archE1201ELNS1_3gpuE5ELNS1_3repE0EEENS1_30default_config_static_selectorELNS0_4arch9wavefront6targetE1EEEvT1_.kd
    .uniform_work_group_size: 1
    .uses_dynamic_stack: false
    .vgpr_count:     0
    .vgpr_spill_count: 0
    .wavefront_size: 64
  - .agpr_count:     0
    .args:
      - .offset:         0
        .size:           56
        .value_kind:     by_value
    .group_segment_fixed_size: 0
    .kernarg_segment_align: 8
    .kernarg_segment_size: 56
    .language:       OpenCL C
    .language_version:
      - 2
      - 0
    .max_flat_workgroup_size: 64
    .name:           _ZN7rocprim17ROCPRIM_400000_NS6detail17trampoline_kernelINS0_14default_configENS1_35adjacent_difference_config_selectorILb0EjEEZNS1_24adjacent_difference_implIS3_Lb0ELb0EPjS7_N6thrust23THRUST_200600_302600_NS5minusIjEEEE10hipError_tPvRmT2_T3_mT4_P12ihipStream_tbEUlT_E_NS1_11comp_targetILNS1_3genE5ELNS1_11target_archE942ELNS1_3gpuE9ELNS1_3repE0EEENS1_30default_config_static_selectorELNS0_4arch9wavefront6targetE1EEEvT1_
    .private_segment_fixed_size: 0
    .sgpr_count:     4
    .sgpr_spill_count: 0
    .symbol:         _ZN7rocprim17ROCPRIM_400000_NS6detail17trampoline_kernelINS0_14default_configENS1_35adjacent_difference_config_selectorILb0EjEEZNS1_24adjacent_difference_implIS3_Lb0ELb0EPjS7_N6thrust23THRUST_200600_302600_NS5minusIjEEEE10hipError_tPvRmT2_T3_mT4_P12ihipStream_tbEUlT_E_NS1_11comp_targetILNS1_3genE5ELNS1_11target_archE942ELNS1_3gpuE9ELNS1_3repE0EEENS1_30default_config_static_selectorELNS0_4arch9wavefront6targetE1EEEvT1_.kd
    .uniform_work_group_size: 1
    .uses_dynamic_stack: false
    .vgpr_count:     0
    .vgpr_spill_count: 0
    .wavefront_size: 64
  - .agpr_count:     0
    .args:
      - .offset:         0
        .size:           56
        .value_kind:     by_value
    .group_segment_fixed_size: 10240
    .kernarg_segment_align: 8
    .kernarg_segment_size: 56
    .language:       OpenCL C
    .language_version:
      - 2
      - 0
    .max_flat_workgroup_size: 512
    .name:           _ZN7rocprim17ROCPRIM_400000_NS6detail17trampoline_kernelINS0_14default_configENS1_35adjacent_difference_config_selectorILb0EjEEZNS1_24adjacent_difference_implIS3_Lb0ELb0EPjS7_N6thrust23THRUST_200600_302600_NS5minusIjEEEE10hipError_tPvRmT2_T3_mT4_P12ihipStream_tbEUlT_E_NS1_11comp_targetILNS1_3genE4ELNS1_11target_archE910ELNS1_3gpuE8ELNS1_3repE0EEENS1_30default_config_static_selectorELNS0_4arch9wavefront6targetE1EEEvT1_
    .private_segment_fixed_size: 0
    .sgpr_count:     27
    .sgpr_spill_count: 0
    .symbol:         _ZN7rocprim17ROCPRIM_400000_NS6detail17trampoline_kernelINS0_14default_configENS1_35adjacent_difference_config_selectorILb0EjEEZNS1_24adjacent_difference_implIS3_Lb0ELb0EPjS7_N6thrust23THRUST_200600_302600_NS5minusIjEEEE10hipError_tPvRmT2_T3_mT4_P12ihipStream_tbEUlT_E_NS1_11comp_targetILNS1_3genE4ELNS1_11target_archE910ELNS1_3gpuE8ELNS1_3repE0EEENS1_30default_config_static_selectorELNS0_4arch9wavefront6targetE1EEEvT1_.kd
    .uniform_work_group_size: 1
    .uses_dynamic_stack: false
    .vgpr_count:     24
    .vgpr_spill_count: 0
    .wavefront_size: 64
  - .agpr_count:     0
    .args:
      - .offset:         0
        .size:           56
        .value_kind:     by_value
    .group_segment_fixed_size: 0
    .kernarg_segment_align: 8
    .kernarg_segment_size: 56
    .language:       OpenCL C
    .language_version:
      - 2
      - 0
    .max_flat_workgroup_size: 128
    .name:           _ZN7rocprim17ROCPRIM_400000_NS6detail17trampoline_kernelINS0_14default_configENS1_35adjacent_difference_config_selectorILb0EjEEZNS1_24adjacent_difference_implIS3_Lb0ELb0EPjS7_N6thrust23THRUST_200600_302600_NS5minusIjEEEE10hipError_tPvRmT2_T3_mT4_P12ihipStream_tbEUlT_E_NS1_11comp_targetILNS1_3genE3ELNS1_11target_archE908ELNS1_3gpuE7ELNS1_3repE0EEENS1_30default_config_static_selectorELNS0_4arch9wavefront6targetE1EEEvT1_
    .private_segment_fixed_size: 0
    .sgpr_count:     4
    .sgpr_spill_count: 0
    .symbol:         _ZN7rocprim17ROCPRIM_400000_NS6detail17trampoline_kernelINS0_14default_configENS1_35adjacent_difference_config_selectorILb0EjEEZNS1_24adjacent_difference_implIS3_Lb0ELb0EPjS7_N6thrust23THRUST_200600_302600_NS5minusIjEEEE10hipError_tPvRmT2_T3_mT4_P12ihipStream_tbEUlT_E_NS1_11comp_targetILNS1_3genE3ELNS1_11target_archE908ELNS1_3gpuE7ELNS1_3repE0EEENS1_30default_config_static_selectorELNS0_4arch9wavefront6targetE1EEEvT1_.kd
    .uniform_work_group_size: 1
    .uses_dynamic_stack: false
    .vgpr_count:     0
    .vgpr_spill_count: 0
    .wavefront_size: 64
  - .agpr_count:     0
    .args:
      - .offset:         0
        .size:           56
        .value_kind:     by_value
    .group_segment_fixed_size: 0
    .kernarg_segment_align: 8
    .kernarg_segment_size: 56
    .language:       OpenCL C
    .language_version:
      - 2
      - 0
    .max_flat_workgroup_size: 1024
    .name:           _ZN7rocprim17ROCPRIM_400000_NS6detail17trampoline_kernelINS0_14default_configENS1_35adjacent_difference_config_selectorILb0EjEEZNS1_24adjacent_difference_implIS3_Lb0ELb0EPjS7_N6thrust23THRUST_200600_302600_NS5minusIjEEEE10hipError_tPvRmT2_T3_mT4_P12ihipStream_tbEUlT_E_NS1_11comp_targetILNS1_3genE2ELNS1_11target_archE906ELNS1_3gpuE6ELNS1_3repE0EEENS1_30default_config_static_selectorELNS0_4arch9wavefront6targetE1EEEvT1_
    .private_segment_fixed_size: 0
    .sgpr_count:     4
    .sgpr_spill_count: 0
    .symbol:         _ZN7rocprim17ROCPRIM_400000_NS6detail17trampoline_kernelINS0_14default_configENS1_35adjacent_difference_config_selectorILb0EjEEZNS1_24adjacent_difference_implIS3_Lb0ELb0EPjS7_N6thrust23THRUST_200600_302600_NS5minusIjEEEE10hipError_tPvRmT2_T3_mT4_P12ihipStream_tbEUlT_E_NS1_11comp_targetILNS1_3genE2ELNS1_11target_archE906ELNS1_3gpuE6ELNS1_3repE0EEENS1_30default_config_static_selectorELNS0_4arch9wavefront6targetE1EEEvT1_.kd
    .uniform_work_group_size: 1
    .uses_dynamic_stack: false
    .vgpr_count:     0
    .vgpr_spill_count: 0
    .wavefront_size: 64
  - .agpr_count:     0
    .args:
      - .offset:         0
        .size:           56
        .value_kind:     by_value
    .group_segment_fixed_size: 0
    .kernarg_segment_align: 8
    .kernarg_segment_size: 56
    .language:       OpenCL C
    .language_version:
      - 2
      - 0
    .max_flat_workgroup_size: 1024
    .name:           _ZN7rocprim17ROCPRIM_400000_NS6detail17trampoline_kernelINS0_14default_configENS1_35adjacent_difference_config_selectorILb0EjEEZNS1_24adjacent_difference_implIS3_Lb0ELb0EPjS7_N6thrust23THRUST_200600_302600_NS5minusIjEEEE10hipError_tPvRmT2_T3_mT4_P12ihipStream_tbEUlT_E_NS1_11comp_targetILNS1_3genE9ELNS1_11target_archE1100ELNS1_3gpuE3ELNS1_3repE0EEENS1_30default_config_static_selectorELNS0_4arch9wavefront6targetE1EEEvT1_
    .private_segment_fixed_size: 0
    .sgpr_count:     4
    .sgpr_spill_count: 0
    .symbol:         _ZN7rocprim17ROCPRIM_400000_NS6detail17trampoline_kernelINS0_14default_configENS1_35adjacent_difference_config_selectorILb0EjEEZNS1_24adjacent_difference_implIS3_Lb0ELb0EPjS7_N6thrust23THRUST_200600_302600_NS5minusIjEEEE10hipError_tPvRmT2_T3_mT4_P12ihipStream_tbEUlT_E_NS1_11comp_targetILNS1_3genE9ELNS1_11target_archE1100ELNS1_3gpuE3ELNS1_3repE0EEENS1_30default_config_static_selectorELNS0_4arch9wavefront6targetE1EEEvT1_.kd
    .uniform_work_group_size: 1
    .uses_dynamic_stack: false
    .vgpr_count:     0
    .vgpr_spill_count: 0
    .wavefront_size: 64
  - .agpr_count:     0
    .args:
      - .offset:         0
        .size:           56
        .value_kind:     by_value
    .group_segment_fixed_size: 0
    .kernarg_segment_align: 8
    .kernarg_segment_size: 56
    .language:       OpenCL C
    .language_version:
      - 2
      - 0
    .max_flat_workgroup_size: 1024
    .name:           _ZN7rocprim17ROCPRIM_400000_NS6detail17trampoline_kernelINS0_14default_configENS1_35adjacent_difference_config_selectorILb0EjEEZNS1_24adjacent_difference_implIS3_Lb0ELb0EPjS7_N6thrust23THRUST_200600_302600_NS5minusIjEEEE10hipError_tPvRmT2_T3_mT4_P12ihipStream_tbEUlT_E_NS1_11comp_targetILNS1_3genE8ELNS1_11target_archE1030ELNS1_3gpuE2ELNS1_3repE0EEENS1_30default_config_static_selectorELNS0_4arch9wavefront6targetE1EEEvT1_
    .private_segment_fixed_size: 0
    .sgpr_count:     4
    .sgpr_spill_count: 0
    .symbol:         _ZN7rocprim17ROCPRIM_400000_NS6detail17trampoline_kernelINS0_14default_configENS1_35adjacent_difference_config_selectorILb0EjEEZNS1_24adjacent_difference_implIS3_Lb0ELb0EPjS7_N6thrust23THRUST_200600_302600_NS5minusIjEEEE10hipError_tPvRmT2_T3_mT4_P12ihipStream_tbEUlT_E_NS1_11comp_targetILNS1_3genE8ELNS1_11target_archE1030ELNS1_3gpuE2ELNS1_3repE0EEENS1_30default_config_static_selectorELNS0_4arch9wavefront6targetE1EEEvT1_.kd
    .uniform_work_group_size: 1
    .uses_dynamic_stack: false
    .vgpr_count:     0
    .vgpr_spill_count: 0
    .wavefront_size: 64
  - .agpr_count:     0
    .args:
      - .offset:         0
        .size:           56
        .value_kind:     by_value
    .group_segment_fixed_size: 0
    .kernarg_segment_align: 8
    .kernarg_segment_size: 56
    .language:       OpenCL C
    .language_version:
      - 2
      - 0
    .max_flat_workgroup_size: 128
    .name:           _ZN7rocprim17ROCPRIM_400000_NS6detail17trampoline_kernelINS0_14default_configENS1_25transform_config_selectorIjLb0EEEZNS1_14transform_implILb0ES3_S5_NS0_18transform_iteratorINS0_17counting_iteratorImlEEZNS1_24adjacent_difference_implIS3_Lb1ELb0EPjSB_N6thrust23THRUST_200600_302600_NS5minusIjEEEE10hipError_tPvRmT2_T3_mT4_P12ihipStream_tbEUlmE_jEESB_NS0_8identityIvEEEESG_SJ_SK_mSL_SN_bEUlT_E_NS1_11comp_targetILNS1_3genE0ELNS1_11target_archE4294967295ELNS1_3gpuE0ELNS1_3repE0EEENS1_30default_config_static_selectorELNS0_4arch9wavefront6targetE1EEEvT1_
    .private_segment_fixed_size: 0
    .sgpr_count:     4
    .sgpr_spill_count: 0
    .symbol:         _ZN7rocprim17ROCPRIM_400000_NS6detail17trampoline_kernelINS0_14default_configENS1_25transform_config_selectorIjLb0EEEZNS1_14transform_implILb0ES3_S5_NS0_18transform_iteratorINS0_17counting_iteratorImlEEZNS1_24adjacent_difference_implIS3_Lb1ELb0EPjSB_N6thrust23THRUST_200600_302600_NS5minusIjEEEE10hipError_tPvRmT2_T3_mT4_P12ihipStream_tbEUlmE_jEESB_NS0_8identityIvEEEESG_SJ_SK_mSL_SN_bEUlT_E_NS1_11comp_targetILNS1_3genE0ELNS1_11target_archE4294967295ELNS1_3gpuE0ELNS1_3repE0EEENS1_30default_config_static_selectorELNS0_4arch9wavefront6targetE1EEEvT1_.kd
    .uniform_work_group_size: 1
    .uses_dynamic_stack: false
    .vgpr_count:     0
    .vgpr_spill_count: 0
    .wavefront_size: 64
  - .agpr_count:     0
    .args:
      - .offset:         0
        .size:           56
        .value_kind:     by_value
    .group_segment_fixed_size: 0
    .kernarg_segment_align: 8
    .kernarg_segment_size: 56
    .language:       OpenCL C
    .language_version:
      - 2
      - 0
    .max_flat_workgroup_size: 512
    .name:           _ZN7rocprim17ROCPRIM_400000_NS6detail17trampoline_kernelINS0_14default_configENS1_25transform_config_selectorIjLb0EEEZNS1_14transform_implILb0ES3_S5_NS0_18transform_iteratorINS0_17counting_iteratorImlEEZNS1_24adjacent_difference_implIS3_Lb1ELb0EPjSB_N6thrust23THRUST_200600_302600_NS5minusIjEEEE10hipError_tPvRmT2_T3_mT4_P12ihipStream_tbEUlmE_jEESB_NS0_8identityIvEEEESG_SJ_SK_mSL_SN_bEUlT_E_NS1_11comp_targetILNS1_3genE5ELNS1_11target_archE942ELNS1_3gpuE9ELNS1_3repE0EEENS1_30default_config_static_selectorELNS0_4arch9wavefront6targetE1EEEvT1_
    .private_segment_fixed_size: 0
    .sgpr_count:     4
    .sgpr_spill_count: 0
    .symbol:         _ZN7rocprim17ROCPRIM_400000_NS6detail17trampoline_kernelINS0_14default_configENS1_25transform_config_selectorIjLb0EEEZNS1_14transform_implILb0ES3_S5_NS0_18transform_iteratorINS0_17counting_iteratorImlEEZNS1_24adjacent_difference_implIS3_Lb1ELb0EPjSB_N6thrust23THRUST_200600_302600_NS5minusIjEEEE10hipError_tPvRmT2_T3_mT4_P12ihipStream_tbEUlmE_jEESB_NS0_8identityIvEEEESG_SJ_SK_mSL_SN_bEUlT_E_NS1_11comp_targetILNS1_3genE5ELNS1_11target_archE942ELNS1_3gpuE9ELNS1_3repE0EEENS1_30default_config_static_selectorELNS0_4arch9wavefront6targetE1EEEvT1_.kd
    .uniform_work_group_size: 1
    .uses_dynamic_stack: false
    .vgpr_count:     0
    .vgpr_spill_count: 0
    .wavefront_size: 64
  - .agpr_count:     0
    .args:
      - .offset:         0
        .size:           56
        .value_kind:     by_value
      - .offset:         56
        .size:           4
        .value_kind:     hidden_block_count_x
      - .offset:         60
        .size:           4
        .value_kind:     hidden_block_count_y
      - .offset:         64
        .size:           4
        .value_kind:     hidden_block_count_z
      - .offset:         68
        .size:           2
        .value_kind:     hidden_group_size_x
      - .offset:         70
        .size:           2
        .value_kind:     hidden_group_size_y
      - .offset:         72
        .size:           2
        .value_kind:     hidden_group_size_z
      - .offset:         74
        .size:           2
        .value_kind:     hidden_remainder_x
      - .offset:         76
        .size:           2
        .value_kind:     hidden_remainder_y
      - .offset:         78
        .size:           2
        .value_kind:     hidden_remainder_z
      - .offset:         96
        .size:           8
        .value_kind:     hidden_global_offset_x
      - .offset:         104
        .size:           8
        .value_kind:     hidden_global_offset_y
      - .offset:         112
        .size:           8
        .value_kind:     hidden_global_offset_z
      - .offset:         120
        .size:           2
        .value_kind:     hidden_grid_dims
    .group_segment_fixed_size: 0
    .kernarg_segment_align: 8
    .kernarg_segment_size: 312
    .language:       OpenCL C
    .language_version:
      - 2
      - 0
    .max_flat_workgroup_size: 1024
    .name:           _ZN7rocprim17ROCPRIM_400000_NS6detail17trampoline_kernelINS0_14default_configENS1_25transform_config_selectorIjLb0EEEZNS1_14transform_implILb0ES3_S5_NS0_18transform_iteratorINS0_17counting_iteratorImlEEZNS1_24adjacent_difference_implIS3_Lb1ELb0EPjSB_N6thrust23THRUST_200600_302600_NS5minusIjEEEE10hipError_tPvRmT2_T3_mT4_P12ihipStream_tbEUlmE_jEESB_NS0_8identityIvEEEESG_SJ_SK_mSL_SN_bEUlT_E_NS1_11comp_targetILNS1_3genE4ELNS1_11target_archE910ELNS1_3gpuE8ELNS1_3repE0EEENS1_30default_config_static_selectorELNS0_4arch9wavefront6targetE1EEEvT1_
    .private_segment_fixed_size: 0
    .sgpr_count:     22
    .sgpr_spill_count: 0
    .symbol:         _ZN7rocprim17ROCPRIM_400000_NS6detail17trampoline_kernelINS0_14default_configENS1_25transform_config_selectorIjLb0EEEZNS1_14transform_implILb0ES3_S5_NS0_18transform_iteratorINS0_17counting_iteratorImlEEZNS1_24adjacent_difference_implIS3_Lb1ELb0EPjSB_N6thrust23THRUST_200600_302600_NS5minusIjEEEE10hipError_tPvRmT2_T3_mT4_P12ihipStream_tbEUlmE_jEESB_NS0_8identityIvEEEESG_SJ_SK_mSL_SN_bEUlT_E_NS1_11comp_targetILNS1_3genE4ELNS1_11target_archE910ELNS1_3gpuE8ELNS1_3repE0EEENS1_30default_config_static_selectorELNS0_4arch9wavefront6targetE1EEEvT1_.kd
    .uniform_work_group_size: 1
    .uses_dynamic_stack: false
    .vgpr_count:     8
    .vgpr_spill_count: 0
    .wavefront_size: 64
  - .agpr_count:     0
    .args:
      - .offset:         0
        .size:           56
        .value_kind:     by_value
    .group_segment_fixed_size: 0
    .kernarg_segment_align: 8
    .kernarg_segment_size: 56
    .language:       OpenCL C
    .language_version:
      - 2
      - 0
    .max_flat_workgroup_size: 128
    .name:           _ZN7rocprim17ROCPRIM_400000_NS6detail17trampoline_kernelINS0_14default_configENS1_25transform_config_selectorIjLb0EEEZNS1_14transform_implILb0ES3_S5_NS0_18transform_iteratorINS0_17counting_iteratorImlEEZNS1_24adjacent_difference_implIS3_Lb1ELb0EPjSB_N6thrust23THRUST_200600_302600_NS5minusIjEEEE10hipError_tPvRmT2_T3_mT4_P12ihipStream_tbEUlmE_jEESB_NS0_8identityIvEEEESG_SJ_SK_mSL_SN_bEUlT_E_NS1_11comp_targetILNS1_3genE3ELNS1_11target_archE908ELNS1_3gpuE7ELNS1_3repE0EEENS1_30default_config_static_selectorELNS0_4arch9wavefront6targetE1EEEvT1_
    .private_segment_fixed_size: 0
    .sgpr_count:     4
    .sgpr_spill_count: 0
    .symbol:         _ZN7rocprim17ROCPRIM_400000_NS6detail17trampoline_kernelINS0_14default_configENS1_25transform_config_selectorIjLb0EEEZNS1_14transform_implILb0ES3_S5_NS0_18transform_iteratorINS0_17counting_iteratorImlEEZNS1_24adjacent_difference_implIS3_Lb1ELb0EPjSB_N6thrust23THRUST_200600_302600_NS5minusIjEEEE10hipError_tPvRmT2_T3_mT4_P12ihipStream_tbEUlmE_jEESB_NS0_8identityIvEEEESG_SJ_SK_mSL_SN_bEUlT_E_NS1_11comp_targetILNS1_3genE3ELNS1_11target_archE908ELNS1_3gpuE7ELNS1_3repE0EEENS1_30default_config_static_selectorELNS0_4arch9wavefront6targetE1EEEvT1_.kd
    .uniform_work_group_size: 1
    .uses_dynamic_stack: false
    .vgpr_count:     0
    .vgpr_spill_count: 0
    .wavefront_size: 64
  - .agpr_count:     0
    .args:
      - .offset:         0
        .size:           56
        .value_kind:     by_value
    .group_segment_fixed_size: 0
    .kernarg_segment_align: 8
    .kernarg_segment_size: 56
    .language:       OpenCL C
    .language_version:
      - 2
      - 0
    .max_flat_workgroup_size: 1024
    .name:           _ZN7rocprim17ROCPRIM_400000_NS6detail17trampoline_kernelINS0_14default_configENS1_25transform_config_selectorIjLb0EEEZNS1_14transform_implILb0ES3_S5_NS0_18transform_iteratorINS0_17counting_iteratorImlEEZNS1_24adjacent_difference_implIS3_Lb1ELb0EPjSB_N6thrust23THRUST_200600_302600_NS5minusIjEEEE10hipError_tPvRmT2_T3_mT4_P12ihipStream_tbEUlmE_jEESB_NS0_8identityIvEEEESG_SJ_SK_mSL_SN_bEUlT_E_NS1_11comp_targetILNS1_3genE2ELNS1_11target_archE906ELNS1_3gpuE6ELNS1_3repE0EEENS1_30default_config_static_selectorELNS0_4arch9wavefront6targetE1EEEvT1_
    .private_segment_fixed_size: 0
    .sgpr_count:     4
    .sgpr_spill_count: 0
    .symbol:         _ZN7rocprim17ROCPRIM_400000_NS6detail17trampoline_kernelINS0_14default_configENS1_25transform_config_selectorIjLb0EEEZNS1_14transform_implILb0ES3_S5_NS0_18transform_iteratorINS0_17counting_iteratorImlEEZNS1_24adjacent_difference_implIS3_Lb1ELb0EPjSB_N6thrust23THRUST_200600_302600_NS5minusIjEEEE10hipError_tPvRmT2_T3_mT4_P12ihipStream_tbEUlmE_jEESB_NS0_8identityIvEEEESG_SJ_SK_mSL_SN_bEUlT_E_NS1_11comp_targetILNS1_3genE2ELNS1_11target_archE906ELNS1_3gpuE6ELNS1_3repE0EEENS1_30default_config_static_selectorELNS0_4arch9wavefront6targetE1EEEvT1_.kd
    .uniform_work_group_size: 1
    .uses_dynamic_stack: false
    .vgpr_count:     0
    .vgpr_spill_count: 0
    .wavefront_size: 64
  - .agpr_count:     0
    .args:
      - .offset:         0
        .size:           56
        .value_kind:     by_value
    .group_segment_fixed_size: 0
    .kernarg_segment_align: 8
    .kernarg_segment_size: 56
    .language:       OpenCL C
    .language_version:
      - 2
      - 0
    .max_flat_workgroup_size: 1024
    .name:           _ZN7rocprim17ROCPRIM_400000_NS6detail17trampoline_kernelINS0_14default_configENS1_25transform_config_selectorIjLb0EEEZNS1_14transform_implILb0ES3_S5_NS0_18transform_iteratorINS0_17counting_iteratorImlEEZNS1_24adjacent_difference_implIS3_Lb1ELb0EPjSB_N6thrust23THRUST_200600_302600_NS5minusIjEEEE10hipError_tPvRmT2_T3_mT4_P12ihipStream_tbEUlmE_jEESB_NS0_8identityIvEEEESG_SJ_SK_mSL_SN_bEUlT_E_NS1_11comp_targetILNS1_3genE10ELNS1_11target_archE1201ELNS1_3gpuE5ELNS1_3repE0EEENS1_30default_config_static_selectorELNS0_4arch9wavefront6targetE1EEEvT1_
    .private_segment_fixed_size: 0
    .sgpr_count:     4
    .sgpr_spill_count: 0
    .symbol:         _ZN7rocprim17ROCPRIM_400000_NS6detail17trampoline_kernelINS0_14default_configENS1_25transform_config_selectorIjLb0EEEZNS1_14transform_implILb0ES3_S5_NS0_18transform_iteratorINS0_17counting_iteratorImlEEZNS1_24adjacent_difference_implIS3_Lb1ELb0EPjSB_N6thrust23THRUST_200600_302600_NS5minusIjEEEE10hipError_tPvRmT2_T3_mT4_P12ihipStream_tbEUlmE_jEESB_NS0_8identityIvEEEESG_SJ_SK_mSL_SN_bEUlT_E_NS1_11comp_targetILNS1_3genE10ELNS1_11target_archE1201ELNS1_3gpuE5ELNS1_3repE0EEENS1_30default_config_static_selectorELNS0_4arch9wavefront6targetE1EEEvT1_.kd
    .uniform_work_group_size: 1
    .uses_dynamic_stack: false
    .vgpr_count:     0
    .vgpr_spill_count: 0
    .wavefront_size: 64
  - .agpr_count:     0
    .args:
      - .offset:         0
        .size:           56
        .value_kind:     by_value
    .group_segment_fixed_size: 0
    .kernarg_segment_align: 8
    .kernarg_segment_size: 56
    .language:       OpenCL C
    .language_version:
      - 2
      - 0
    .max_flat_workgroup_size: 512
    .name:           _ZN7rocprim17ROCPRIM_400000_NS6detail17trampoline_kernelINS0_14default_configENS1_25transform_config_selectorIjLb0EEEZNS1_14transform_implILb0ES3_S5_NS0_18transform_iteratorINS0_17counting_iteratorImlEEZNS1_24adjacent_difference_implIS3_Lb1ELb0EPjSB_N6thrust23THRUST_200600_302600_NS5minusIjEEEE10hipError_tPvRmT2_T3_mT4_P12ihipStream_tbEUlmE_jEESB_NS0_8identityIvEEEESG_SJ_SK_mSL_SN_bEUlT_E_NS1_11comp_targetILNS1_3genE10ELNS1_11target_archE1200ELNS1_3gpuE4ELNS1_3repE0EEENS1_30default_config_static_selectorELNS0_4arch9wavefront6targetE1EEEvT1_
    .private_segment_fixed_size: 0
    .sgpr_count:     4
    .sgpr_spill_count: 0
    .symbol:         _ZN7rocprim17ROCPRIM_400000_NS6detail17trampoline_kernelINS0_14default_configENS1_25transform_config_selectorIjLb0EEEZNS1_14transform_implILb0ES3_S5_NS0_18transform_iteratorINS0_17counting_iteratorImlEEZNS1_24adjacent_difference_implIS3_Lb1ELb0EPjSB_N6thrust23THRUST_200600_302600_NS5minusIjEEEE10hipError_tPvRmT2_T3_mT4_P12ihipStream_tbEUlmE_jEESB_NS0_8identityIvEEEESG_SJ_SK_mSL_SN_bEUlT_E_NS1_11comp_targetILNS1_3genE10ELNS1_11target_archE1200ELNS1_3gpuE4ELNS1_3repE0EEENS1_30default_config_static_selectorELNS0_4arch9wavefront6targetE1EEEvT1_.kd
    .uniform_work_group_size: 1
    .uses_dynamic_stack: false
    .vgpr_count:     0
    .vgpr_spill_count: 0
    .wavefront_size: 64
  - .agpr_count:     0
    .args:
      - .offset:         0
        .size:           56
        .value_kind:     by_value
    .group_segment_fixed_size: 0
    .kernarg_segment_align: 8
    .kernarg_segment_size: 56
    .language:       OpenCL C
    .language_version:
      - 2
      - 0
    .max_flat_workgroup_size: 64
    .name:           _ZN7rocprim17ROCPRIM_400000_NS6detail17trampoline_kernelINS0_14default_configENS1_25transform_config_selectorIjLb0EEEZNS1_14transform_implILb0ES3_S5_NS0_18transform_iteratorINS0_17counting_iteratorImlEEZNS1_24adjacent_difference_implIS3_Lb1ELb0EPjSB_N6thrust23THRUST_200600_302600_NS5minusIjEEEE10hipError_tPvRmT2_T3_mT4_P12ihipStream_tbEUlmE_jEESB_NS0_8identityIvEEEESG_SJ_SK_mSL_SN_bEUlT_E_NS1_11comp_targetILNS1_3genE9ELNS1_11target_archE1100ELNS1_3gpuE3ELNS1_3repE0EEENS1_30default_config_static_selectorELNS0_4arch9wavefront6targetE1EEEvT1_
    .private_segment_fixed_size: 0
    .sgpr_count:     4
    .sgpr_spill_count: 0
    .symbol:         _ZN7rocprim17ROCPRIM_400000_NS6detail17trampoline_kernelINS0_14default_configENS1_25transform_config_selectorIjLb0EEEZNS1_14transform_implILb0ES3_S5_NS0_18transform_iteratorINS0_17counting_iteratorImlEEZNS1_24adjacent_difference_implIS3_Lb1ELb0EPjSB_N6thrust23THRUST_200600_302600_NS5minusIjEEEE10hipError_tPvRmT2_T3_mT4_P12ihipStream_tbEUlmE_jEESB_NS0_8identityIvEEEESG_SJ_SK_mSL_SN_bEUlT_E_NS1_11comp_targetILNS1_3genE9ELNS1_11target_archE1100ELNS1_3gpuE3ELNS1_3repE0EEENS1_30default_config_static_selectorELNS0_4arch9wavefront6targetE1EEEvT1_.kd
    .uniform_work_group_size: 1
    .uses_dynamic_stack: false
    .vgpr_count:     0
    .vgpr_spill_count: 0
    .wavefront_size: 64
  - .agpr_count:     0
    .args:
      - .offset:         0
        .size:           56
        .value_kind:     by_value
    .group_segment_fixed_size: 0
    .kernarg_segment_align: 8
    .kernarg_segment_size: 56
    .language:       OpenCL C
    .language_version:
      - 2
      - 0
    .max_flat_workgroup_size: 256
    .name:           _ZN7rocprim17ROCPRIM_400000_NS6detail17trampoline_kernelINS0_14default_configENS1_25transform_config_selectorIjLb0EEEZNS1_14transform_implILb0ES3_S5_NS0_18transform_iteratorINS0_17counting_iteratorImlEEZNS1_24adjacent_difference_implIS3_Lb1ELb0EPjSB_N6thrust23THRUST_200600_302600_NS5minusIjEEEE10hipError_tPvRmT2_T3_mT4_P12ihipStream_tbEUlmE_jEESB_NS0_8identityIvEEEESG_SJ_SK_mSL_SN_bEUlT_E_NS1_11comp_targetILNS1_3genE8ELNS1_11target_archE1030ELNS1_3gpuE2ELNS1_3repE0EEENS1_30default_config_static_selectorELNS0_4arch9wavefront6targetE1EEEvT1_
    .private_segment_fixed_size: 0
    .sgpr_count:     4
    .sgpr_spill_count: 0
    .symbol:         _ZN7rocprim17ROCPRIM_400000_NS6detail17trampoline_kernelINS0_14default_configENS1_25transform_config_selectorIjLb0EEEZNS1_14transform_implILb0ES3_S5_NS0_18transform_iteratorINS0_17counting_iteratorImlEEZNS1_24adjacent_difference_implIS3_Lb1ELb0EPjSB_N6thrust23THRUST_200600_302600_NS5minusIjEEEE10hipError_tPvRmT2_T3_mT4_P12ihipStream_tbEUlmE_jEESB_NS0_8identityIvEEEESG_SJ_SK_mSL_SN_bEUlT_E_NS1_11comp_targetILNS1_3genE8ELNS1_11target_archE1030ELNS1_3gpuE2ELNS1_3repE0EEENS1_30default_config_static_selectorELNS0_4arch9wavefront6targetE1EEEvT1_.kd
    .uniform_work_group_size: 1
    .uses_dynamic_stack: false
    .vgpr_count:     0
    .vgpr_spill_count: 0
    .wavefront_size: 64
  - .agpr_count:     0
    .args:
      - .offset:         0
        .size:           56
        .value_kind:     by_value
    .group_segment_fixed_size: 0
    .kernarg_segment_align: 8
    .kernarg_segment_size: 56
    .language:       OpenCL C
    .language_version:
      - 2
      - 0
    .max_flat_workgroup_size: 1024
    .name:           _ZN7rocprim17ROCPRIM_400000_NS6detail17trampoline_kernelINS0_14default_configENS1_35adjacent_difference_config_selectorILb1EjEEZNS1_24adjacent_difference_implIS3_Lb1ELb0EPjS7_N6thrust23THRUST_200600_302600_NS5minusIjEEEE10hipError_tPvRmT2_T3_mT4_P12ihipStream_tbEUlT_E_NS1_11comp_targetILNS1_3genE0ELNS1_11target_archE4294967295ELNS1_3gpuE0ELNS1_3repE0EEENS1_30default_config_static_selectorELNS0_4arch9wavefront6targetE1EEEvT1_
    .private_segment_fixed_size: 0
    .sgpr_count:     4
    .sgpr_spill_count: 0
    .symbol:         _ZN7rocprim17ROCPRIM_400000_NS6detail17trampoline_kernelINS0_14default_configENS1_35adjacent_difference_config_selectorILb1EjEEZNS1_24adjacent_difference_implIS3_Lb1ELb0EPjS7_N6thrust23THRUST_200600_302600_NS5minusIjEEEE10hipError_tPvRmT2_T3_mT4_P12ihipStream_tbEUlT_E_NS1_11comp_targetILNS1_3genE0ELNS1_11target_archE4294967295ELNS1_3gpuE0ELNS1_3repE0EEENS1_30default_config_static_selectorELNS0_4arch9wavefront6targetE1EEEvT1_.kd
    .uniform_work_group_size: 1
    .uses_dynamic_stack: false
    .vgpr_count:     0
    .vgpr_spill_count: 0
    .wavefront_size: 64
  - .agpr_count:     0
    .args:
      - .offset:         0
        .size:           56
        .value_kind:     by_value
    .group_segment_fixed_size: 0
    .kernarg_segment_align: 8
    .kernarg_segment_size: 56
    .language:       OpenCL C
    .language_version:
      - 2
      - 0
    .max_flat_workgroup_size: 32
    .name:           _ZN7rocprim17ROCPRIM_400000_NS6detail17trampoline_kernelINS0_14default_configENS1_35adjacent_difference_config_selectorILb1EjEEZNS1_24adjacent_difference_implIS3_Lb1ELb0EPjS7_N6thrust23THRUST_200600_302600_NS5minusIjEEEE10hipError_tPvRmT2_T3_mT4_P12ihipStream_tbEUlT_E_NS1_11comp_targetILNS1_3genE10ELNS1_11target_archE1201ELNS1_3gpuE5ELNS1_3repE0EEENS1_30default_config_static_selectorELNS0_4arch9wavefront6targetE1EEEvT1_
    .private_segment_fixed_size: 0
    .sgpr_count:     4
    .sgpr_spill_count: 0
    .symbol:         _ZN7rocprim17ROCPRIM_400000_NS6detail17trampoline_kernelINS0_14default_configENS1_35adjacent_difference_config_selectorILb1EjEEZNS1_24adjacent_difference_implIS3_Lb1ELb0EPjS7_N6thrust23THRUST_200600_302600_NS5minusIjEEEE10hipError_tPvRmT2_T3_mT4_P12ihipStream_tbEUlT_E_NS1_11comp_targetILNS1_3genE10ELNS1_11target_archE1201ELNS1_3gpuE5ELNS1_3repE0EEENS1_30default_config_static_selectorELNS0_4arch9wavefront6targetE1EEEvT1_.kd
    .uniform_work_group_size: 1
    .uses_dynamic_stack: false
    .vgpr_count:     0
    .vgpr_spill_count: 0
    .wavefront_size: 64
  - .agpr_count:     0
    .args:
      - .offset:         0
        .size:           56
        .value_kind:     by_value
    .group_segment_fixed_size: 0
    .kernarg_segment_align: 8
    .kernarg_segment_size: 56
    .language:       OpenCL C
    .language_version:
      - 2
      - 0
    .max_flat_workgroup_size: 512
    .name:           _ZN7rocprim17ROCPRIM_400000_NS6detail17trampoline_kernelINS0_14default_configENS1_35adjacent_difference_config_selectorILb1EjEEZNS1_24adjacent_difference_implIS3_Lb1ELb0EPjS7_N6thrust23THRUST_200600_302600_NS5minusIjEEEE10hipError_tPvRmT2_T3_mT4_P12ihipStream_tbEUlT_E_NS1_11comp_targetILNS1_3genE5ELNS1_11target_archE942ELNS1_3gpuE9ELNS1_3repE0EEENS1_30default_config_static_selectorELNS0_4arch9wavefront6targetE1EEEvT1_
    .private_segment_fixed_size: 0
    .sgpr_count:     4
    .sgpr_spill_count: 0
    .symbol:         _ZN7rocprim17ROCPRIM_400000_NS6detail17trampoline_kernelINS0_14default_configENS1_35adjacent_difference_config_selectorILb1EjEEZNS1_24adjacent_difference_implIS3_Lb1ELb0EPjS7_N6thrust23THRUST_200600_302600_NS5minusIjEEEE10hipError_tPvRmT2_T3_mT4_P12ihipStream_tbEUlT_E_NS1_11comp_targetILNS1_3genE5ELNS1_11target_archE942ELNS1_3gpuE9ELNS1_3repE0EEENS1_30default_config_static_selectorELNS0_4arch9wavefront6targetE1EEEvT1_.kd
    .uniform_work_group_size: 1
    .uses_dynamic_stack: false
    .vgpr_count:     0
    .vgpr_spill_count: 0
    .wavefront_size: 64
  - .agpr_count:     0
    .args:
      - .offset:         0
        .size:           56
        .value_kind:     by_value
    .group_segment_fixed_size: 10240
    .kernarg_segment_align: 8
    .kernarg_segment_size: 56
    .language:       OpenCL C
    .language_version:
      - 2
      - 0
    .max_flat_workgroup_size: 512
    .name:           _ZN7rocprim17ROCPRIM_400000_NS6detail17trampoline_kernelINS0_14default_configENS1_35adjacent_difference_config_selectorILb1EjEEZNS1_24adjacent_difference_implIS3_Lb1ELb0EPjS7_N6thrust23THRUST_200600_302600_NS5minusIjEEEE10hipError_tPvRmT2_T3_mT4_P12ihipStream_tbEUlT_E_NS1_11comp_targetILNS1_3genE4ELNS1_11target_archE910ELNS1_3gpuE8ELNS1_3repE0EEENS1_30default_config_static_selectorELNS0_4arch9wavefront6targetE1EEEvT1_
    .private_segment_fixed_size: 0
    .sgpr_count:     33
    .sgpr_spill_count: 0
    .symbol:         _ZN7rocprim17ROCPRIM_400000_NS6detail17trampoline_kernelINS0_14default_configENS1_35adjacent_difference_config_selectorILb1EjEEZNS1_24adjacent_difference_implIS3_Lb1ELb0EPjS7_N6thrust23THRUST_200600_302600_NS5minusIjEEEE10hipError_tPvRmT2_T3_mT4_P12ihipStream_tbEUlT_E_NS1_11comp_targetILNS1_3genE4ELNS1_11target_archE910ELNS1_3gpuE8ELNS1_3repE0EEENS1_30default_config_static_selectorELNS0_4arch9wavefront6targetE1EEEvT1_.kd
    .uniform_work_group_size: 1
    .uses_dynamic_stack: false
    .vgpr_count:     24
    .vgpr_spill_count: 0
    .wavefront_size: 64
  - .agpr_count:     0
    .args:
      - .offset:         0
        .size:           56
        .value_kind:     by_value
    .group_segment_fixed_size: 0
    .kernarg_segment_align: 8
    .kernarg_segment_size: 56
    .language:       OpenCL C
    .language_version:
      - 2
      - 0
    .max_flat_workgroup_size: 1024
    .name:           _ZN7rocprim17ROCPRIM_400000_NS6detail17trampoline_kernelINS0_14default_configENS1_35adjacent_difference_config_selectorILb1EjEEZNS1_24adjacent_difference_implIS3_Lb1ELb0EPjS7_N6thrust23THRUST_200600_302600_NS5minusIjEEEE10hipError_tPvRmT2_T3_mT4_P12ihipStream_tbEUlT_E_NS1_11comp_targetILNS1_3genE3ELNS1_11target_archE908ELNS1_3gpuE7ELNS1_3repE0EEENS1_30default_config_static_selectorELNS0_4arch9wavefront6targetE1EEEvT1_
    .private_segment_fixed_size: 0
    .sgpr_count:     4
    .sgpr_spill_count: 0
    .symbol:         _ZN7rocprim17ROCPRIM_400000_NS6detail17trampoline_kernelINS0_14default_configENS1_35adjacent_difference_config_selectorILb1EjEEZNS1_24adjacent_difference_implIS3_Lb1ELb0EPjS7_N6thrust23THRUST_200600_302600_NS5minusIjEEEE10hipError_tPvRmT2_T3_mT4_P12ihipStream_tbEUlT_E_NS1_11comp_targetILNS1_3genE3ELNS1_11target_archE908ELNS1_3gpuE7ELNS1_3repE0EEENS1_30default_config_static_selectorELNS0_4arch9wavefront6targetE1EEEvT1_.kd
    .uniform_work_group_size: 1
    .uses_dynamic_stack: false
    .vgpr_count:     0
    .vgpr_spill_count: 0
    .wavefront_size: 64
  - .agpr_count:     0
    .args:
      - .offset:         0
        .size:           56
        .value_kind:     by_value
    .group_segment_fixed_size: 0
    .kernarg_segment_align: 8
    .kernarg_segment_size: 56
    .language:       OpenCL C
    .language_version:
      - 2
      - 0
    .max_flat_workgroup_size: 256
    .name:           _ZN7rocprim17ROCPRIM_400000_NS6detail17trampoline_kernelINS0_14default_configENS1_35adjacent_difference_config_selectorILb1EjEEZNS1_24adjacent_difference_implIS3_Lb1ELb0EPjS7_N6thrust23THRUST_200600_302600_NS5minusIjEEEE10hipError_tPvRmT2_T3_mT4_P12ihipStream_tbEUlT_E_NS1_11comp_targetILNS1_3genE2ELNS1_11target_archE906ELNS1_3gpuE6ELNS1_3repE0EEENS1_30default_config_static_selectorELNS0_4arch9wavefront6targetE1EEEvT1_
    .private_segment_fixed_size: 0
    .sgpr_count:     4
    .sgpr_spill_count: 0
    .symbol:         _ZN7rocprim17ROCPRIM_400000_NS6detail17trampoline_kernelINS0_14default_configENS1_35adjacent_difference_config_selectorILb1EjEEZNS1_24adjacent_difference_implIS3_Lb1ELb0EPjS7_N6thrust23THRUST_200600_302600_NS5minusIjEEEE10hipError_tPvRmT2_T3_mT4_P12ihipStream_tbEUlT_E_NS1_11comp_targetILNS1_3genE2ELNS1_11target_archE906ELNS1_3gpuE6ELNS1_3repE0EEENS1_30default_config_static_selectorELNS0_4arch9wavefront6targetE1EEEvT1_.kd
    .uniform_work_group_size: 1
    .uses_dynamic_stack: false
    .vgpr_count:     0
    .vgpr_spill_count: 0
    .wavefront_size: 64
  - .agpr_count:     0
    .args:
      - .offset:         0
        .size:           56
        .value_kind:     by_value
    .group_segment_fixed_size: 0
    .kernarg_segment_align: 8
    .kernarg_segment_size: 56
    .language:       OpenCL C
    .language_version:
      - 2
      - 0
    .max_flat_workgroup_size: 128
    .name:           _ZN7rocprim17ROCPRIM_400000_NS6detail17trampoline_kernelINS0_14default_configENS1_35adjacent_difference_config_selectorILb1EjEEZNS1_24adjacent_difference_implIS3_Lb1ELb0EPjS7_N6thrust23THRUST_200600_302600_NS5minusIjEEEE10hipError_tPvRmT2_T3_mT4_P12ihipStream_tbEUlT_E_NS1_11comp_targetILNS1_3genE9ELNS1_11target_archE1100ELNS1_3gpuE3ELNS1_3repE0EEENS1_30default_config_static_selectorELNS0_4arch9wavefront6targetE1EEEvT1_
    .private_segment_fixed_size: 0
    .sgpr_count:     4
    .sgpr_spill_count: 0
    .symbol:         _ZN7rocprim17ROCPRIM_400000_NS6detail17trampoline_kernelINS0_14default_configENS1_35adjacent_difference_config_selectorILb1EjEEZNS1_24adjacent_difference_implIS3_Lb1ELb0EPjS7_N6thrust23THRUST_200600_302600_NS5minusIjEEEE10hipError_tPvRmT2_T3_mT4_P12ihipStream_tbEUlT_E_NS1_11comp_targetILNS1_3genE9ELNS1_11target_archE1100ELNS1_3gpuE3ELNS1_3repE0EEENS1_30default_config_static_selectorELNS0_4arch9wavefront6targetE1EEEvT1_.kd
    .uniform_work_group_size: 1
    .uses_dynamic_stack: false
    .vgpr_count:     0
    .vgpr_spill_count: 0
    .wavefront_size: 64
  - .agpr_count:     0
    .args:
      - .offset:         0
        .size:           56
        .value_kind:     by_value
    .group_segment_fixed_size: 0
    .kernarg_segment_align: 8
    .kernarg_segment_size: 56
    .language:       OpenCL C
    .language_version:
      - 2
      - 0
    .max_flat_workgroup_size: 32
    .name:           _ZN7rocprim17ROCPRIM_400000_NS6detail17trampoline_kernelINS0_14default_configENS1_35adjacent_difference_config_selectorILb1EjEEZNS1_24adjacent_difference_implIS3_Lb1ELb0EPjS7_N6thrust23THRUST_200600_302600_NS5minusIjEEEE10hipError_tPvRmT2_T3_mT4_P12ihipStream_tbEUlT_E_NS1_11comp_targetILNS1_3genE8ELNS1_11target_archE1030ELNS1_3gpuE2ELNS1_3repE0EEENS1_30default_config_static_selectorELNS0_4arch9wavefront6targetE1EEEvT1_
    .private_segment_fixed_size: 0
    .sgpr_count:     4
    .sgpr_spill_count: 0
    .symbol:         _ZN7rocprim17ROCPRIM_400000_NS6detail17trampoline_kernelINS0_14default_configENS1_35adjacent_difference_config_selectorILb1EjEEZNS1_24adjacent_difference_implIS3_Lb1ELb0EPjS7_N6thrust23THRUST_200600_302600_NS5minusIjEEEE10hipError_tPvRmT2_T3_mT4_P12ihipStream_tbEUlT_E_NS1_11comp_targetILNS1_3genE8ELNS1_11target_archE1030ELNS1_3gpuE2ELNS1_3repE0EEENS1_30default_config_static_selectorELNS0_4arch9wavefront6targetE1EEEvT1_.kd
    .uniform_work_group_size: 1
    .uses_dynamic_stack: false
    .vgpr_count:     0
    .vgpr_spill_count: 0
    .wavefront_size: 64
  - .agpr_count:     0
    .args:
      - .offset:         0
        .size:           56
        .value_kind:     by_value
    .group_segment_fixed_size: 0
    .kernarg_segment_align: 8
    .kernarg_segment_size: 56
    .language:       OpenCL C
    .language_version:
      - 2
      - 0
    .max_flat_workgroup_size: 128
    .name:           _ZN7rocprim17ROCPRIM_400000_NS6detail17trampoline_kernelINS0_14default_configENS1_35adjacent_difference_config_selectorILb0EjEEZNS1_24adjacent_difference_implIS3_Lb0ELb0EPjS7_N6thrust23THRUST_200600_302600_NS4plusIjEEEE10hipError_tPvRmT2_T3_mT4_P12ihipStream_tbEUlT_E_NS1_11comp_targetILNS1_3genE0ELNS1_11target_archE4294967295ELNS1_3gpuE0ELNS1_3repE0EEENS1_30default_config_static_selectorELNS0_4arch9wavefront6targetE1EEEvT1_
    .private_segment_fixed_size: 0
    .sgpr_count:     4
    .sgpr_spill_count: 0
    .symbol:         _ZN7rocprim17ROCPRIM_400000_NS6detail17trampoline_kernelINS0_14default_configENS1_35adjacent_difference_config_selectorILb0EjEEZNS1_24adjacent_difference_implIS3_Lb0ELb0EPjS7_N6thrust23THRUST_200600_302600_NS4plusIjEEEE10hipError_tPvRmT2_T3_mT4_P12ihipStream_tbEUlT_E_NS1_11comp_targetILNS1_3genE0ELNS1_11target_archE4294967295ELNS1_3gpuE0ELNS1_3repE0EEENS1_30default_config_static_selectorELNS0_4arch9wavefront6targetE1EEEvT1_.kd
    .uniform_work_group_size: 1
    .uses_dynamic_stack: false
    .vgpr_count:     0
    .vgpr_spill_count: 0
    .wavefront_size: 64
  - .agpr_count:     0
    .args:
      - .offset:         0
        .size:           56
        .value_kind:     by_value
    .group_segment_fixed_size: 0
    .kernarg_segment_align: 8
    .kernarg_segment_size: 56
    .language:       OpenCL C
    .language_version:
      - 2
      - 0
    .max_flat_workgroup_size: 128
    .name:           _ZN7rocprim17ROCPRIM_400000_NS6detail17trampoline_kernelINS0_14default_configENS1_35adjacent_difference_config_selectorILb0EjEEZNS1_24adjacent_difference_implIS3_Lb0ELb0EPjS7_N6thrust23THRUST_200600_302600_NS4plusIjEEEE10hipError_tPvRmT2_T3_mT4_P12ihipStream_tbEUlT_E_NS1_11comp_targetILNS1_3genE10ELNS1_11target_archE1201ELNS1_3gpuE5ELNS1_3repE0EEENS1_30default_config_static_selectorELNS0_4arch9wavefront6targetE1EEEvT1_
    .private_segment_fixed_size: 0
    .sgpr_count:     4
    .sgpr_spill_count: 0
    .symbol:         _ZN7rocprim17ROCPRIM_400000_NS6detail17trampoline_kernelINS0_14default_configENS1_35adjacent_difference_config_selectorILb0EjEEZNS1_24adjacent_difference_implIS3_Lb0ELb0EPjS7_N6thrust23THRUST_200600_302600_NS4plusIjEEEE10hipError_tPvRmT2_T3_mT4_P12ihipStream_tbEUlT_E_NS1_11comp_targetILNS1_3genE10ELNS1_11target_archE1201ELNS1_3gpuE5ELNS1_3repE0EEENS1_30default_config_static_selectorELNS0_4arch9wavefront6targetE1EEEvT1_.kd
    .uniform_work_group_size: 1
    .uses_dynamic_stack: false
    .vgpr_count:     0
    .vgpr_spill_count: 0
    .wavefront_size: 64
  - .agpr_count:     0
    .args:
      - .offset:         0
        .size:           56
        .value_kind:     by_value
    .group_segment_fixed_size: 0
    .kernarg_segment_align: 8
    .kernarg_segment_size: 56
    .language:       OpenCL C
    .language_version:
      - 2
      - 0
    .max_flat_workgroup_size: 64
    .name:           _ZN7rocprim17ROCPRIM_400000_NS6detail17trampoline_kernelINS0_14default_configENS1_35adjacent_difference_config_selectorILb0EjEEZNS1_24adjacent_difference_implIS3_Lb0ELb0EPjS7_N6thrust23THRUST_200600_302600_NS4plusIjEEEE10hipError_tPvRmT2_T3_mT4_P12ihipStream_tbEUlT_E_NS1_11comp_targetILNS1_3genE5ELNS1_11target_archE942ELNS1_3gpuE9ELNS1_3repE0EEENS1_30default_config_static_selectorELNS0_4arch9wavefront6targetE1EEEvT1_
    .private_segment_fixed_size: 0
    .sgpr_count:     4
    .sgpr_spill_count: 0
    .symbol:         _ZN7rocprim17ROCPRIM_400000_NS6detail17trampoline_kernelINS0_14default_configENS1_35adjacent_difference_config_selectorILb0EjEEZNS1_24adjacent_difference_implIS3_Lb0ELb0EPjS7_N6thrust23THRUST_200600_302600_NS4plusIjEEEE10hipError_tPvRmT2_T3_mT4_P12ihipStream_tbEUlT_E_NS1_11comp_targetILNS1_3genE5ELNS1_11target_archE942ELNS1_3gpuE9ELNS1_3repE0EEENS1_30default_config_static_selectorELNS0_4arch9wavefront6targetE1EEEvT1_.kd
    .uniform_work_group_size: 1
    .uses_dynamic_stack: false
    .vgpr_count:     0
    .vgpr_spill_count: 0
    .wavefront_size: 64
  - .agpr_count:     0
    .args:
      - .offset:         0
        .size:           56
        .value_kind:     by_value
    .group_segment_fixed_size: 10240
    .kernarg_segment_align: 8
    .kernarg_segment_size: 56
    .language:       OpenCL C
    .language_version:
      - 2
      - 0
    .max_flat_workgroup_size: 512
    .name:           _ZN7rocprim17ROCPRIM_400000_NS6detail17trampoline_kernelINS0_14default_configENS1_35adjacent_difference_config_selectorILb0EjEEZNS1_24adjacent_difference_implIS3_Lb0ELb0EPjS7_N6thrust23THRUST_200600_302600_NS4plusIjEEEE10hipError_tPvRmT2_T3_mT4_P12ihipStream_tbEUlT_E_NS1_11comp_targetILNS1_3genE4ELNS1_11target_archE910ELNS1_3gpuE8ELNS1_3repE0EEENS1_30default_config_static_selectorELNS0_4arch9wavefront6targetE1EEEvT1_
    .private_segment_fixed_size: 0
    .sgpr_count:     27
    .sgpr_spill_count: 0
    .symbol:         _ZN7rocprim17ROCPRIM_400000_NS6detail17trampoline_kernelINS0_14default_configENS1_35adjacent_difference_config_selectorILb0EjEEZNS1_24adjacent_difference_implIS3_Lb0ELb0EPjS7_N6thrust23THRUST_200600_302600_NS4plusIjEEEE10hipError_tPvRmT2_T3_mT4_P12ihipStream_tbEUlT_E_NS1_11comp_targetILNS1_3genE4ELNS1_11target_archE910ELNS1_3gpuE8ELNS1_3repE0EEENS1_30default_config_static_selectorELNS0_4arch9wavefront6targetE1EEEvT1_.kd
    .uniform_work_group_size: 1
    .uses_dynamic_stack: false
    .vgpr_count:     24
    .vgpr_spill_count: 0
    .wavefront_size: 64
  - .agpr_count:     0
    .args:
      - .offset:         0
        .size:           56
        .value_kind:     by_value
    .group_segment_fixed_size: 0
    .kernarg_segment_align: 8
    .kernarg_segment_size: 56
    .language:       OpenCL C
    .language_version:
      - 2
      - 0
    .max_flat_workgroup_size: 128
    .name:           _ZN7rocprim17ROCPRIM_400000_NS6detail17trampoline_kernelINS0_14default_configENS1_35adjacent_difference_config_selectorILb0EjEEZNS1_24adjacent_difference_implIS3_Lb0ELb0EPjS7_N6thrust23THRUST_200600_302600_NS4plusIjEEEE10hipError_tPvRmT2_T3_mT4_P12ihipStream_tbEUlT_E_NS1_11comp_targetILNS1_3genE3ELNS1_11target_archE908ELNS1_3gpuE7ELNS1_3repE0EEENS1_30default_config_static_selectorELNS0_4arch9wavefront6targetE1EEEvT1_
    .private_segment_fixed_size: 0
    .sgpr_count:     4
    .sgpr_spill_count: 0
    .symbol:         _ZN7rocprim17ROCPRIM_400000_NS6detail17trampoline_kernelINS0_14default_configENS1_35adjacent_difference_config_selectorILb0EjEEZNS1_24adjacent_difference_implIS3_Lb0ELb0EPjS7_N6thrust23THRUST_200600_302600_NS4plusIjEEEE10hipError_tPvRmT2_T3_mT4_P12ihipStream_tbEUlT_E_NS1_11comp_targetILNS1_3genE3ELNS1_11target_archE908ELNS1_3gpuE7ELNS1_3repE0EEENS1_30default_config_static_selectorELNS0_4arch9wavefront6targetE1EEEvT1_.kd
    .uniform_work_group_size: 1
    .uses_dynamic_stack: false
    .vgpr_count:     0
    .vgpr_spill_count: 0
    .wavefront_size: 64
  - .agpr_count:     0
    .args:
      - .offset:         0
        .size:           56
        .value_kind:     by_value
    .group_segment_fixed_size: 0
    .kernarg_segment_align: 8
    .kernarg_segment_size: 56
    .language:       OpenCL C
    .language_version:
      - 2
      - 0
    .max_flat_workgroup_size: 1024
    .name:           _ZN7rocprim17ROCPRIM_400000_NS6detail17trampoline_kernelINS0_14default_configENS1_35adjacent_difference_config_selectorILb0EjEEZNS1_24adjacent_difference_implIS3_Lb0ELb0EPjS7_N6thrust23THRUST_200600_302600_NS4plusIjEEEE10hipError_tPvRmT2_T3_mT4_P12ihipStream_tbEUlT_E_NS1_11comp_targetILNS1_3genE2ELNS1_11target_archE906ELNS1_3gpuE6ELNS1_3repE0EEENS1_30default_config_static_selectorELNS0_4arch9wavefront6targetE1EEEvT1_
    .private_segment_fixed_size: 0
    .sgpr_count:     4
    .sgpr_spill_count: 0
    .symbol:         _ZN7rocprim17ROCPRIM_400000_NS6detail17trampoline_kernelINS0_14default_configENS1_35adjacent_difference_config_selectorILb0EjEEZNS1_24adjacent_difference_implIS3_Lb0ELb0EPjS7_N6thrust23THRUST_200600_302600_NS4plusIjEEEE10hipError_tPvRmT2_T3_mT4_P12ihipStream_tbEUlT_E_NS1_11comp_targetILNS1_3genE2ELNS1_11target_archE906ELNS1_3gpuE6ELNS1_3repE0EEENS1_30default_config_static_selectorELNS0_4arch9wavefront6targetE1EEEvT1_.kd
    .uniform_work_group_size: 1
    .uses_dynamic_stack: false
    .vgpr_count:     0
    .vgpr_spill_count: 0
    .wavefront_size: 64
  - .agpr_count:     0
    .args:
      - .offset:         0
        .size:           56
        .value_kind:     by_value
    .group_segment_fixed_size: 0
    .kernarg_segment_align: 8
    .kernarg_segment_size: 56
    .language:       OpenCL C
    .language_version:
      - 2
      - 0
    .max_flat_workgroup_size: 1024
    .name:           _ZN7rocprim17ROCPRIM_400000_NS6detail17trampoline_kernelINS0_14default_configENS1_35adjacent_difference_config_selectorILb0EjEEZNS1_24adjacent_difference_implIS3_Lb0ELb0EPjS7_N6thrust23THRUST_200600_302600_NS4plusIjEEEE10hipError_tPvRmT2_T3_mT4_P12ihipStream_tbEUlT_E_NS1_11comp_targetILNS1_3genE9ELNS1_11target_archE1100ELNS1_3gpuE3ELNS1_3repE0EEENS1_30default_config_static_selectorELNS0_4arch9wavefront6targetE1EEEvT1_
    .private_segment_fixed_size: 0
    .sgpr_count:     4
    .sgpr_spill_count: 0
    .symbol:         _ZN7rocprim17ROCPRIM_400000_NS6detail17trampoline_kernelINS0_14default_configENS1_35adjacent_difference_config_selectorILb0EjEEZNS1_24adjacent_difference_implIS3_Lb0ELb0EPjS7_N6thrust23THRUST_200600_302600_NS4plusIjEEEE10hipError_tPvRmT2_T3_mT4_P12ihipStream_tbEUlT_E_NS1_11comp_targetILNS1_3genE9ELNS1_11target_archE1100ELNS1_3gpuE3ELNS1_3repE0EEENS1_30default_config_static_selectorELNS0_4arch9wavefront6targetE1EEEvT1_.kd
    .uniform_work_group_size: 1
    .uses_dynamic_stack: false
    .vgpr_count:     0
    .vgpr_spill_count: 0
    .wavefront_size: 64
  - .agpr_count:     0
    .args:
      - .offset:         0
        .size:           56
        .value_kind:     by_value
    .group_segment_fixed_size: 0
    .kernarg_segment_align: 8
    .kernarg_segment_size: 56
    .language:       OpenCL C
    .language_version:
      - 2
      - 0
    .max_flat_workgroup_size: 1024
    .name:           _ZN7rocprim17ROCPRIM_400000_NS6detail17trampoline_kernelINS0_14default_configENS1_35adjacent_difference_config_selectorILb0EjEEZNS1_24adjacent_difference_implIS3_Lb0ELb0EPjS7_N6thrust23THRUST_200600_302600_NS4plusIjEEEE10hipError_tPvRmT2_T3_mT4_P12ihipStream_tbEUlT_E_NS1_11comp_targetILNS1_3genE8ELNS1_11target_archE1030ELNS1_3gpuE2ELNS1_3repE0EEENS1_30default_config_static_selectorELNS0_4arch9wavefront6targetE1EEEvT1_
    .private_segment_fixed_size: 0
    .sgpr_count:     4
    .sgpr_spill_count: 0
    .symbol:         _ZN7rocprim17ROCPRIM_400000_NS6detail17trampoline_kernelINS0_14default_configENS1_35adjacent_difference_config_selectorILb0EjEEZNS1_24adjacent_difference_implIS3_Lb0ELb0EPjS7_N6thrust23THRUST_200600_302600_NS4plusIjEEEE10hipError_tPvRmT2_T3_mT4_P12ihipStream_tbEUlT_E_NS1_11comp_targetILNS1_3genE8ELNS1_11target_archE1030ELNS1_3gpuE2ELNS1_3repE0EEENS1_30default_config_static_selectorELNS0_4arch9wavefront6targetE1EEEvT1_.kd
    .uniform_work_group_size: 1
    .uses_dynamic_stack: false
    .vgpr_count:     0
    .vgpr_spill_count: 0
    .wavefront_size: 64
  - .agpr_count:     0
    .args:
      - .offset:         0
        .size:           56
        .value_kind:     by_value
    .group_segment_fixed_size: 0
    .kernarg_segment_align: 8
    .kernarg_segment_size: 56
    .language:       OpenCL C
    .language_version:
      - 2
      - 0
    .max_flat_workgroup_size: 128
    .name:           _ZN7rocprim17ROCPRIM_400000_NS6detail17trampoline_kernelINS0_14default_configENS1_25transform_config_selectorIjLb0EEEZNS1_14transform_implILb0ES3_S5_NS0_18transform_iteratorINS0_17counting_iteratorImlEEZNS1_24adjacent_difference_implIS3_Lb1ELb0EPjSB_N6thrust23THRUST_200600_302600_NS4plusIjEEEE10hipError_tPvRmT2_T3_mT4_P12ihipStream_tbEUlmE_jEESB_NS0_8identityIvEEEESG_SJ_SK_mSL_SN_bEUlT_E_NS1_11comp_targetILNS1_3genE0ELNS1_11target_archE4294967295ELNS1_3gpuE0ELNS1_3repE0EEENS1_30default_config_static_selectorELNS0_4arch9wavefront6targetE1EEEvT1_
    .private_segment_fixed_size: 0
    .sgpr_count:     4
    .sgpr_spill_count: 0
    .symbol:         _ZN7rocprim17ROCPRIM_400000_NS6detail17trampoline_kernelINS0_14default_configENS1_25transform_config_selectorIjLb0EEEZNS1_14transform_implILb0ES3_S5_NS0_18transform_iteratorINS0_17counting_iteratorImlEEZNS1_24adjacent_difference_implIS3_Lb1ELb0EPjSB_N6thrust23THRUST_200600_302600_NS4plusIjEEEE10hipError_tPvRmT2_T3_mT4_P12ihipStream_tbEUlmE_jEESB_NS0_8identityIvEEEESG_SJ_SK_mSL_SN_bEUlT_E_NS1_11comp_targetILNS1_3genE0ELNS1_11target_archE4294967295ELNS1_3gpuE0ELNS1_3repE0EEENS1_30default_config_static_selectorELNS0_4arch9wavefront6targetE1EEEvT1_.kd
    .uniform_work_group_size: 1
    .uses_dynamic_stack: false
    .vgpr_count:     0
    .vgpr_spill_count: 0
    .wavefront_size: 64
  - .agpr_count:     0
    .args:
      - .offset:         0
        .size:           56
        .value_kind:     by_value
    .group_segment_fixed_size: 0
    .kernarg_segment_align: 8
    .kernarg_segment_size: 56
    .language:       OpenCL C
    .language_version:
      - 2
      - 0
    .max_flat_workgroup_size: 512
    .name:           _ZN7rocprim17ROCPRIM_400000_NS6detail17trampoline_kernelINS0_14default_configENS1_25transform_config_selectorIjLb0EEEZNS1_14transform_implILb0ES3_S5_NS0_18transform_iteratorINS0_17counting_iteratorImlEEZNS1_24adjacent_difference_implIS3_Lb1ELb0EPjSB_N6thrust23THRUST_200600_302600_NS4plusIjEEEE10hipError_tPvRmT2_T3_mT4_P12ihipStream_tbEUlmE_jEESB_NS0_8identityIvEEEESG_SJ_SK_mSL_SN_bEUlT_E_NS1_11comp_targetILNS1_3genE5ELNS1_11target_archE942ELNS1_3gpuE9ELNS1_3repE0EEENS1_30default_config_static_selectorELNS0_4arch9wavefront6targetE1EEEvT1_
    .private_segment_fixed_size: 0
    .sgpr_count:     4
    .sgpr_spill_count: 0
    .symbol:         _ZN7rocprim17ROCPRIM_400000_NS6detail17trampoline_kernelINS0_14default_configENS1_25transform_config_selectorIjLb0EEEZNS1_14transform_implILb0ES3_S5_NS0_18transform_iteratorINS0_17counting_iteratorImlEEZNS1_24adjacent_difference_implIS3_Lb1ELb0EPjSB_N6thrust23THRUST_200600_302600_NS4plusIjEEEE10hipError_tPvRmT2_T3_mT4_P12ihipStream_tbEUlmE_jEESB_NS0_8identityIvEEEESG_SJ_SK_mSL_SN_bEUlT_E_NS1_11comp_targetILNS1_3genE5ELNS1_11target_archE942ELNS1_3gpuE9ELNS1_3repE0EEENS1_30default_config_static_selectorELNS0_4arch9wavefront6targetE1EEEvT1_.kd
    .uniform_work_group_size: 1
    .uses_dynamic_stack: false
    .vgpr_count:     0
    .vgpr_spill_count: 0
    .wavefront_size: 64
  - .agpr_count:     0
    .args:
      - .offset:         0
        .size:           56
        .value_kind:     by_value
      - .offset:         56
        .size:           4
        .value_kind:     hidden_block_count_x
      - .offset:         60
        .size:           4
        .value_kind:     hidden_block_count_y
      - .offset:         64
        .size:           4
        .value_kind:     hidden_block_count_z
      - .offset:         68
        .size:           2
        .value_kind:     hidden_group_size_x
      - .offset:         70
        .size:           2
        .value_kind:     hidden_group_size_y
      - .offset:         72
        .size:           2
        .value_kind:     hidden_group_size_z
      - .offset:         74
        .size:           2
        .value_kind:     hidden_remainder_x
      - .offset:         76
        .size:           2
        .value_kind:     hidden_remainder_y
      - .offset:         78
        .size:           2
        .value_kind:     hidden_remainder_z
      - .offset:         96
        .size:           8
        .value_kind:     hidden_global_offset_x
      - .offset:         104
        .size:           8
        .value_kind:     hidden_global_offset_y
      - .offset:         112
        .size:           8
        .value_kind:     hidden_global_offset_z
      - .offset:         120
        .size:           2
        .value_kind:     hidden_grid_dims
    .group_segment_fixed_size: 0
    .kernarg_segment_align: 8
    .kernarg_segment_size: 312
    .language:       OpenCL C
    .language_version:
      - 2
      - 0
    .max_flat_workgroup_size: 1024
    .name:           _ZN7rocprim17ROCPRIM_400000_NS6detail17trampoline_kernelINS0_14default_configENS1_25transform_config_selectorIjLb0EEEZNS1_14transform_implILb0ES3_S5_NS0_18transform_iteratorINS0_17counting_iteratorImlEEZNS1_24adjacent_difference_implIS3_Lb1ELb0EPjSB_N6thrust23THRUST_200600_302600_NS4plusIjEEEE10hipError_tPvRmT2_T3_mT4_P12ihipStream_tbEUlmE_jEESB_NS0_8identityIvEEEESG_SJ_SK_mSL_SN_bEUlT_E_NS1_11comp_targetILNS1_3genE4ELNS1_11target_archE910ELNS1_3gpuE8ELNS1_3repE0EEENS1_30default_config_static_selectorELNS0_4arch9wavefront6targetE1EEEvT1_
    .private_segment_fixed_size: 0
    .sgpr_count:     22
    .sgpr_spill_count: 0
    .symbol:         _ZN7rocprim17ROCPRIM_400000_NS6detail17trampoline_kernelINS0_14default_configENS1_25transform_config_selectorIjLb0EEEZNS1_14transform_implILb0ES3_S5_NS0_18transform_iteratorINS0_17counting_iteratorImlEEZNS1_24adjacent_difference_implIS3_Lb1ELb0EPjSB_N6thrust23THRUST_200600_302600_NS4plusIjEEEE10hipError_tPvRmT2_T3_mT4_P12ihipStream_tbEUlmE_jEESB_NS0_8identityIvEEEESG_SJ_SK_mSL_SN_bEUlT_E_NS1_11comp_targetILNS1_3genE4ELNS1_11target_archE910ELNS1_3gpuE8ELNS1_3repE0EEENS1_30default_config_static_selectorELNS0_4arch9wavefront6targetE1EEEvT1_.kd
    .uniform_work_group_size: 1
    .uses_dynamic_stack: false
    .vgpr_count:     8
    .vgpr_spill_count: 0
    .wavefront_size: 64
  - .agpr_count:     0
    .args:
      - .offset:         0
        .size:           56
        .value_kind:     by_value
    .group_segment_fixed_size: 0
    .kernarg_segment_align: 8
    .kernarg_segment_size: 56
    .language:       OpenCL C
    .language_version:
      - 2
      - 0
    .max_flat_workgroup_size: 128
    .name:           _ZN7rocprim17ROCPRIM_400000_NS6detail17trampoline_kernelINS0_14default_configENS1_25transform_config_selectorIjLb0EEEZNS1_14transform_implILb0ES3_S5_NS0_18transform_iteratorINS0_17counting_iteratorImlEEZNS1_24adjacent_difference_implIS3_Lb1ELb0EPjSB_N6thrust23THRUST_200600_302600_NS4plusIjEEEE10hipError_tPvRmT2_T3_mT4_P12ihipStream_tbEUlmE_jEESB_NS0_8identityIvEEEESG_SJ_SK_mSL_SN_bEUlT_E_NS1_11comp_targetILNS1_3genE3ELNS1_11target_archE908ELNS1_3gpuE7ELNS1_3repE0EEENS1_30default_config_static_selectorELNS0_4arch9wavefront6targetE1EEEvT1_
    .private_segment_fixed_size: 0
    .sgpr_count:     4
    .sgpr_spill_count: 0
    .symbol:         _ZN7rocprim17ROCPRIM_400000_NS6detail17trampoline_kernelINS0_14default_configENS1_25transform_config_selectorIjLb0EEEZNS1_14transform_implILb0ES3_S5_NS0_18transform_iteratorINS0_17counting_iteratorImlEEZNS1_24adjacent_difference_implIS3_Lb1ELb0EPjSB_N6thrust23THRUST_200600_302600_NS4plusIjEEEE10hipError_tPvRmT2_T3_mT4_P12ihipStream_tbEUlmE_jEESB_NS0_8identityIvEEEESG_SJ_SK_mSL_SN_bEUlT_E_NS1_11comp_targetILNS1_3genE3ELNS1_11target_archE908ELNS1_3gpuE7ELNS1_3repE0EEENS1_30default_config_static_selectorELNS0_4arch9wavefront6targetE1EEEvT1_.kd
    .uniform_work_group_size: 1
    .uses_dynamic_stack: false
    .vgpr_count:     0
    .vgpr_spill_count: 0
    .wavefront_size: 64
  - .agpr_count:     0
    .args:
      - .offset:         0
        .size:           56
        .value_kind:     by_value
    .group_segment_fixed_size: 0
    .kernarg_segment_align: 8
    .kernarg_segment_size: 56
    .language:       OpenCL C
    .language_version:
      - 2
      - 0
    .max_flat_workgroup_size: 1024
    .name:           _ZN7rocprim17ROCPRIM_400000_NS6detail17trampoline_kernelINS0_14default_configENS1_25transform_config_selectorIjLb0EEEZNS1_14transform_implILb0ES3_S5_NS0_18transform_iteratorINS0_17counting_iteratorImlEEZNS1_24adjacent_difference_implIS3_Lb1ELb0EPjSB_N6thrust23THRUST_200600_302600_NS4plusIjEEEE10hipError_tPvRmT2_T3_mT4_P12ihipStream_tbEUlmE_jEESB_NS0_8identityIvEEEESG_SJ_SK_mSL_SN_bEUlT_E_NS1_11comp_targetILNS1_3genE2ELNS1_11target_archE906ELNS1_3gpuE6ELNS1_3repE0EEENS1_30default_config_static_selectorELNS0_4arch9wavefront6targetE1EEEvT1_
    .private_segment_fixed_size: 0
    .sgpr_count:     4
    .sgpr_spill_count: 0
    .symbol:         _ZN7rocprim17ROCPRIM_400000_NS6detail17trampoline_kernelINS0_14default_configENS1_25transform_config_selectorIjLb0EEEZNS1_14transform_implILb0ES3_S5_NS0_18transform_iteratorINS0_17counting_iteratorImlEEZNS1_24adjacent_difference_implIS3_Lb1ELb0EPjSB_N6thrust23THRUST_200600_302600_NS4plusIjEEEE10hipError_tPvRmT2_T3_mT4_P12ihipStream_tbEUlmE_jEESB_NS0_8identityIvEEEESG_SJ_SK_mSL_SN_bEUlT_E_NS1_11comp_targetILNS1_3genE2ELNS1_11target_archE906ELNS1_3gpuE6ELNS1_3repE0EEENS1_30default_config_static_selectorELNS0_4arch9wavefront6targetE1EEEvT1_.kd
    .uniform_work_group_size: 1
    .uses_dynamic_stack: false
    .vgpr_count:     0
    .vgpr_spill_count: 0
    .wavefront_size: 64
  - .agpr_count:     0
    .args:
      - .offset:         0
        .size:           56
        .value_kind:     by_value
    .group_segment_fixed_size: 0
    .kernarg_segment_align: 8
    .kernarg_segment_size: 56
    .language:       OpenCL C
    .language_version:
      - 2
      - 0
    .max_flat_workgroup_size: 1024
    .name:           _ZN7rocprim17ROCPRIM_400000_NS6detail17trampoline_kernelINS0_14default_configENS1_25transform_config_selectorIjLb0EEEZNS1_14transform_implILb0ES3_S5_NS0_18transform_iteratorINS0_17counting_iteratorImlEEZNS1_24adjacent_difference_implIS3_Lb1ELb0EPjSB_N6thrust23THRUST_200600_302600_NS4plusIjEEEE10hipError_tPvRmT2_T3_mT4_P12ihipStream_tbEUlmE_jEESB_NS0_8identityIvEEEESG_SJ_SK_mSL_SN_bEUlT_E_NS1_11comp_targetILNS1_3genE10ELNS1_11target_archE1201ELNS1_3gpuE5ELNS1_3repE0EEENS1_30default_config_static_selectorELNS0_4arch9wavefront6targetE1EEEvT1_
    .private_segment_fixed_size: 0
    .sgpr_count:     4
    .sgpr_spill_count: 0
    .symbol:         _ZN7rocprim17ROCPRIM_400000_NS6detail17trampoline_kernelINS0_14default_configENS1_25transform_config_selectorIjLb0EEEZNS1_14transform_implILb0ES3_S5_NS0_18transform_iteratorINS0_17counting_iteratorImlEEZNS1_24adjacent_difference_implIS3_Lb1ELb0EPjSB_N6thrust23THRUST_200600_302600_NS4plusIjEEEE10hipError_tPvRmT2_T3_mT4_P12ihipStream_tbEUlmE_jEESB_NS0_8identityIvEEEESG_SJ_SK_mSL_SN_bEUlT_E_NS1_11comp_targetILNS1_3genE10ELNS1_11target_archE1201ELNS1_3gpuE5ELNS1_3repE0EEENS1_30default_config_static_selectorELNS0_4arch9wavefront6targetE1EEEvT1_.kd
    .uniform_work_group_size: 1
    .uses_dynamic_stack: false
    .vgpr_count:     0
    .vgpr_spill_count: 0
    .wavefront_size: 64
  - .agpr_count:     0
    .args:
      - .offset:         0
        .size:           56
        .value_kind:     by_value
    .group_segment_fixed_size: 0
    .kernarg_segment_align: 8
    .kernarg_segment_size: 56
    .language:       OpenCL C
    .language_version:
      - 2
      - 0
    .max_flat_workgroup_size: 512
    .name:           _ZN7rocprim17ROCPRIM_400000_NS6detail17trampoline_kernelINS0_14default_configENS1_25transform_config_selectorIjLb0EEEZNS1_14transform_implILb0ES3_S5_NS0_18transform_iteratorINS0_17counting_iteratorImlEEZNS1_24adjacent_difference_implIS3_Lb1ELb0EPjSB_N6thrust23THRUST_200600_302600_NS4plusIjEEEE10hipError_tPvRmT2_T3_mT4_P12ihipStream_tbEUlmE_jEESB_NS0_8identityIvEEEESG_SJ_SK_mSL_SN_bEUlT_E_NS1_11comp_targetILNS1_3genE10ELNS1_11target_archE1200ELNS1_3gpuE4ELNS1_3repE0EEENS1_30default_config_static_selectorELNS0_4arch9wavefront6targetE1EEEvT1_
    .private_segment_fixed_size: 0
    .sgpr_count:     4
    .sgpr_spill_count: 0
    .symbol:         _ZN7rocprim17ROCPRIM_400000_NS6detail17trampoline_kernelINS0_14default_configENS1_25transform_config_selectorIjLb0EEEZNS1_14transform_implILb0ES3_S5_NS0_18transform_iteratorINS0_17counting_iteratorImlEEZNS1_24adjacent_difference_implIS3_Lb1ELb0EPjSB_N6thrust23THRUST_200600_302600_NS4plusIjEEEE10hipError_tPvRmT2_T3_mT4_P12ihipStream_tbEUlmE_jEESB_NS0_8identityIvEEEESG_SJ_SK_mSL_SN_bEUlT_E_NS1_11comp_targetILNS1_3genE10ELNS1_11target_archE1200ELNS1_3gpuE4ELNS1_3repE0EEENS1_30default_config_static_selectorELNS0_4arch9wavefront6targetE1EEEvT1_.kd
    .uniform_work_group_size: 1
    .uses_dynamic_stack: false
    .vgpr_count:     0
    .vgpr_spill_count: 0
    .wavefront_size: 64
  - .agpr_count:     0
    .args:
      - .offset:         0
        .size:           56
        .value_kind:     by_value
    .group_segment_fixed_size: 0
    .kernarg_segment_align: 8
    .kernarg_segment_size: 56
    .language:       OpenCL C
    .language_version:
      - 2
      - 0
    .max_flat_workgroup_size: 64
    .name:           _ZN7rocprim17ROCPRIM_400000_NS6detail17trampoline_kernelINS0_14default_configENS1_25transform_config_selectorIjLb0EEEZNS1_14transform_implILb0ES3_S5_NS0_18transform_iteratorINS0_17counting_iteratorImlEEZNS1_24adjacent_difference_implIS3_Lb1ELb0EPjSB_N6thrust23THRUST_200600_302600_NS4plusIjEEEE10hipError_tPvRmT2_T3_mT4_P12ihipStream_tbEUlmE_jEESB_NS0_8identityIvEEEESG_SJ_SK_mSL_SN_bEUlT_E_NS1_11comp_targetILNS1_3genE9ELNS1_11target_archE1100ELNS1_3gpuE3ELNS1_3repE0EEENS1_30default_config_static_selectorELNS0_4arch9wavefront6targetE1EEEvT1_
    .private_segment_fixed_size: 0
    .sgpr_count:     4
    .sgpr_spill_count: 0
    .symbol:         _ZN7rocprim17ROCPRIM_400000_NS6detail17trampoline_kernelINS0_14default_configENS1_25transform_config_selectorIjLb0EEEZNS1_14transform_implILb0ES3_S5_NS0_18transform_iteratorINS0_17counting_iteratorImlEEZNS1_24adjacent_difference_implIS3_Lb1ELb0EPjSB_N6thrust23THRUST_200600_302600_NS4plusIjEEEE10hipError_tPvRmT2_T3_mT4_P12ihipStream_tbEUlmE_jEESB_NS0_8identityIvEEEESG_SJ_SK_mSL_SN_bEUlT_E_NS1_11comp_targetILNS1_3genE9ELNS1_11target_archE1100ELNS1_3gpuE3ELNS1_3repE0EEENS1_30default_config_static_selectorELNS0_4arch9wavefront6targetE1EEEvT1_.kd
    .uniform_work_group_size: 1
    .uses_dynamic_stack: false
    .vgpr_count:     0
    .vgpr_spill_count: 0
    .wavefront_size: 64
  - .agpr_count:     0
    .args:
      - .offset:         0
        .size:           56
        .value_kind:     by_value
    .group_segment_fixed_size: 0
    .kernarg_segment_align: 8
    .kernarg_segment_size: 56
    .language:       OpenCL C
    .language_version:
      - 2
      - 0
    .max_flat_workgroup_size: 256
    .name:           _ZN7rocprim17ROCPRIM_400000_NS6detail17trampoline_kernelINS0_14default_configENS1_25transform_config_selectorIjLb0EEEZNS1_14transform_implILb0ES3_S5_NS0_18transform_iteratorINS0_17counting_iteratorImlEEZNS1_24adjacent_difference_implIS3_Lb1ELb0EPjSB_N6thrust23THRUST_200600_302600_NS4plusIjEEEE10hipError_tPvRmT2_T3_mT4_P12ihipStream_tbEUlmE_jEESB_NS0_8identityIvEEEESG_SJ_SK_mSL_SN_bEUlT_E_NS1_11comp_targetILNS1_3genE8ELNS1_11target_archE1030ELNS1_3gpuE2ELNS1_3repE0EEENS1_30default_config_static_selectorELNS0_4arch9wavefront6targetE1EEEvT1_
    .private_segment_fixed_size: 0
    .sgpr_count:     4
    .sgpr_spill_count: 0
    .symbol:         _ZN7rocprim17ROCPRIM_400000_NS6detail17trampoline_kernelINS0_14default_configENS1_25transform_config_selectorIjLb0EEEZNS1_14transform_implILb0ES3_S5_NS0_18transform_iteratorINS0_17counting_iteratorImlEEZNS1_24adjacent_difference_implIS3_Lb1ELb0EPjSB_N6thrust23THRUST_200600_302600_NS4plusIjEEEE10hipError_tPvRmT2_T3_mT4_P12ihipStream_tbEUlmE_jEESB_NS0_8identityIvEEEESG_SJ_SK_mSL_SN_bEUlT_E_NS1_11comp_targetILNS1_3genE8ELNS1_11target_archE1030ELNS1_3gpuE2ELNS1_3repE0EEENS1_30default_config_static_selectorELNS0_4arch9wavefront6targetE1EEEvT1_.kd
    .uniform_work_group_size: 1
    .uses_dynamic_stack: false
    .vgpr_count:     0
    .vgpr_spill_count: 0
    .wavefront_size: 64
  - .agpr_count:     0
    .args:
      - .offset:         0
        .size:           56
        .value_kind:     by_value
    .group_segment_fixed_size: 0
    .kernarg_segment_align: 8
    .kernarg_segment_size: 56
    .language:       OpenCL C
    .language_version:
      - 2
      - 0
    .max_flat_workgroup_size: 1024
    .name:           _ZN7rocprim17ROCPRIM_400000_NS6detail17trampoline_kernelINS0_14default_configENS1_35adjacent_difference_config_selectorILb1EjEEZNS1_24adjacent_difference_implIS3_Lb1ELb0EPjS7_N6thrust23THRUST_200600_302600_NS4plusIjEEEE10hipError_tPvRmT2_T3_mT4_P12ihipStream_tbEUlT_E_NS1_11comp_targetILNS1_3genE0ELNS1_11target_archE4294967295ELNS1_3gpuE0ELNS1_3repE0EEENS1_30default_config_static_selectorELNS0_4arch9wavefront6targetE1EEEvT1_
    .private_segment_fixed_size: 0
    .sgpr_count:     4
    .sgpr_spill_count: 0
    .symbol:         _ZN7rocprim17ROCPRIM_400000_NS6detail17trampoline_kernelINS0_14default_configENS1_35adjacent_difference_config_selectorILb1EjEEZNS1_24adjacent_difference_implIS3_Lb1ELb0EPjS7_N6thrust23THRUST_200600_302600_NS4plusIjEEEE10hipError_tPvRmT2_T3_mT4_P12ihipStream_tbEUlT_E_NS1_11comp_targetILNS1_3genE0ELNS1_11target_archE4294967295ELNS1_3gpuE0ELNS1_3repE0EEENS1_30default_config_static_selectorELNS0_4arch9wavefront6targetE1EEEvT1_.kd
    .uniform_work_group_size: 1
    .uses_dynamic_stack: false
    .vgpr_count:     0
    .vgpr_spill_count: 0
    .wavefront_size: 64
  - .agpr_count:     0
    .args:
      - .offset:         0
        .size:           56
        .value_kind:     by_value
    .group_segment_fixed_size: 0
    .kernarg_segment_align: 8
    .kernarg_segment_size: 56
    .language:       OpenCL C
    .language_version:
      - 2
      - 0
    .max_flat_workgroup_size: 32
    .name:           _ZN7rocprim17ROCPRIM_400000_NS6detail17trampoline_kernelINS0_14default_configENS1_35adjacent_difference_config_selectorILb1EjEEZNS1_24adjacent_difference_implIS3_Lb1ELb0EPjS7_N6thrust23THRUST_200600_302600_NS4plusIjEEEE10hipError_tPvRmT2_T3_mT4_P12ihipStream_tbEUlT_E_NS1_11comp_targetILNS1_3genE10ELNS1_11target_archE1201ELNS1_3gpuE5ELNS1_3repE0EEENS1_30default_config_static_selectorELNS0_4arch9wavefront6targetE1EEEvT1_
    .private_segment_fixed_size: 0
    .sgpr_count:     4
    .sgpr_spill_count: 0
    .symbol:         _ZN7rocprim17ROCPRIM_400000_NS6detail17trampoline_kernelINS0_14default_configENS1_35adjacent_difference_config_selectorILb1EjEEZNS1_24adjacent_difference_implIS3_Lb1ELb0EPjS7_N6thrust23THRUST_200600_302600_NS4plusIjEEEE10hipError_tPvRmT2_T3_mT4_P12ihipStream_tbEUlT_E_NS1_11comp_targetILNS1_3genE10ELNS1_11target_archE1201ELNS1_3gpuE5ELNS1_3repE0EEENS1_30default_config_static_selectorELNS0_4arch9wavefront6targetE1EEEvT1_.kd
    .uniform_work_group_size: 1
    .uses_dynamic_stack: false
    .vgpr_count:     0
    .vgpr_spill_count: 0
    .wavefront_size: 64
  - .agpr_count:     0
    .args:
      - .offset:         0
        .size:           56
        .value_kind:     by_value
    .group_segment_fixed_size: 0
    .kernarg_segment_align: 8
    .kernarg_segment_size: 56
    .language:       OpenCL C
    .language_version:
      - 2
      - 0
    .max_flat_workgroup_size: 512
    .name:           _ZN7rocprim17ROCPRIM_400000_NS6detail17trampoline_kernelINS0_14default_configENS1_35adjacent_difference_config_selectorILb1EjEEZNS1_24adjacent_difference_implIS3_Lb1ELb0EPjS7_N6thrust23THRUST_200600_302600_NS4plusIjEEEE10hipError_tPvRmT2_T3_mT4_P12ihipStream_tbEUlT_E_NS1_11comp_targetILNS1_3genE5ELNS1_11target_archE942ELNS1_3gpuE9ELNS1_3repE0EEENS1_30default_config_static_selectorELNS0_4arch9wavefront6targetE1EEEvT1_
    .private_segment_fixed_size: 0
    .sgpr_count:     4
    .sgpr_spill_count: 0
    .symbol:         _ZN7rocprim17ROCPRIM_400000_NS6detail17trampoline_kernelINS0_14default_configENS1_35adjacent_difference_config_selectorILb1EjEEZNS1_24adjacent_difference_implIS3_Lb1ELb0EPjS7_N6thrust23THRUST_200600_302600_NS4plusIjEEEE10hipError_tPvRmT2_T3_mT4_P12ihipStream_tbEUlT_E_NS1_11comp_targetILNS1_3genE5ELNS1_11target_archE942ELNS1_3gpuE9ELNS1_3repE0EEENS1_30default_config_static_selectorELNS0_4arch9wavefront6targetE1EEEvT1_.kd
    .uniform_work_group_size: 1
    .uses_dynamic_stack: false
    .vgpr_count:     0
    .vgpr_spill_count: 0
    .wavefront_size: 64
  - .agpr_count:     0
    .args:
      - .offset:         0
        .size:           56
        .value_kind:     by_value
    .group_segment_fixed_size: 10240
    .kernarg_segment_align: 8
    .kernarg_segment_size: 56
    .language:       OpenCL C
    .language_version:
      - 2
      - 0
    .max_flat_workgroup_size: 512
    .name:           _ZN7rocprim17ROCPRIM_400000_NS6detail17trampoline_kernelINS0_14default_configENS1_35adjacent_difference_config_selectorILb1EjEEZNS1_24adjacent_difference_implIS3_Lb1ELb0EPjS7_N6thrust23THRUST_200600_302600_NS4plusIjEEEE10hipError_tPvRmT2_T3_mT4_P12ihipStream_tbEUlT_E_NS1_11comp_targetILNS1_3genE4ELNS1_11target_archE910ELNS1_3gpuE8ELNS1_3repE0EEENS1_30default_config_static_selectorELNS0_4arch9wavefront6targetE1EEEvT1_
    .private_segment_fixed_size: 0
    .sgpr_count:     33
    .sgpr_spill_count: 0
    .symbol:         _ZN7rocprim17ROCPRIM_400000_NS6detail17trampoline_kernelINS0_14default_configENS1_35adjacent_difference_config_selectorILb1EjEEZNS1_24adjacent_difference_implIS3_Lb1ELb0EPjS7_N6thrust23THRUST_200600_302600_NS4plusIjEEEE10hipError_tPvRmT2_T3_mT4_P12ihipStream_tbEUlT_E_NS1_11comp_targetILNS1_3genE4ELNS1_11target_archE910ELNS1_3gpuE8ELNS1_3repE0EEENS1_30default_config_static_selectorELNS0_4arch9wavefront6targetE1EEEvT1_.kd
    .uniform_work_group_size: 1
    .uses_dynamic_stack: false
    .vgpr_count:     24
    .vgpr_spill_count: 0
    .wavefront_size: 64
  - .agpr_count:     0
    .args:
      - .offset:         0
        .size:           56
        .value_kind:     by_value
    .group_segment_fixed_size: 0
    .kernarg_segment_align: 8
    .kernarg_segment_size: 56
    .language:       OpenCL C
    .language_version:
      - 2
      - 0
    .max_flat_workgroup_size: 1024
    .name:           _ZN7rocprim17ROCPRIM_400000_NS6detail17trampoline_kernelINS0_14default_configENS1_35adjacent_difference_config_selectorILb1EjEEZNS1_24adjacent_difference_implIS3_Lb1ELb0EPjS7_N6thrust23THRUST_200600_302600_NS4plusIjEEEE10hipError_tPvRmT2_T3_mT4_P12ihipStream_tbEUlT_E_NS1_11comp_targetILNS1_3genE3ELNS1_11target_archE908ELNS1_3gpuE7ELNS1_3repE0EEENS1_30default_config_static_selectorELNS0_4arch9wavefront6targetE1EEEvT1_
    .private_segment_fixed_size: 0
    .sgpr_count:     4
    .sgpr_spill_count: 0
    .symbol:         _ZN7rocprim17ROCPRIM_400000_NS6detail17trampoline_kernelINS0_14default_configENS1_35adjacent_difference_config_selectorILb1EjEEZNS1_24adjacent_difference_implIS3_Lb1ELb0EPjS7_N6thrust23THRUST_200600_302600_NS4plusIjEEEE10hipError_tPvRmT2_T3_mT4_P12ihipStream_tbEUlT_E_NS1_11comp_targetILNS1_3genE3ELNS1_11target_archE908ELNS1_3gpuE7ELNS1_3repE0EEENS1_30default_config_static_selectorELNS0_4arch9wavefront6targetE1EEEvT1_.kd
    .uniform_work_group_size: 1
    .uses_dynamic_stack: false
    .vgpr_count:     0
    .vgpr_spill_count: 0
    .wavefront_size: 64
  - .agpr_count:     0
    .args:
      - .offset:         0
        .size:           56
        .value_kind:     by_value
    .group_segment_fixed_size: 0
    .kernarg_segment_align: 8
    .kernarg_segment_size: 56
    .language:       OpenCL C
    .language_version:
      - 2
      - 0
    .max_flat_workgroup_size: 256
    .name:           _ZN7rocprim17ROCPRIM_400000_NS6detail17trampoline_kernelINS0_14default_configENS1_35adjacent_difference_config_selectorILb1EjEEZNS1_24adjacent_difference_implIS3_Lb1ELb0EPjS7_N6thrust23THRUST_200600_302600_NS4plusIjEEEE10hipError_tPvRmT2_T3_mT4_P12ihipStream_tbEUlT_E_NS1_11comp_targetILNS1_3genE2ELNS1_11target_archE906ELNS1_3gpuE6ELNS1_3repE0EEENS1_30default_config_static_selectorELNS0_4arch9wavefront6targetE1EEEvT1_
    .private_segment_fixed_size: 0
    .sgpr_count:     4
    .sgpr_spill_count: 0
    .symbol:         _ZN7rocprim17ROCPRIM_400000_NS6detail17trampoline_kernelINS0_14default_configENS1_35adjacent_difference_config_selectorILb1EjEEZNS1_24adjacent_difference_implIS3_Lb1ELb0EPjS7_N6thrust23THRUST_200600_302600_NS4plusIjEEEE10hipError_tPvRmT2_T3_mT4_P12ihipStream_tbEUlT_E_NS1_11comp_targetILNS1_3genE2ELNS1_11target_archE906ELNS1_3gpuE6ELNS1_3repE0EEENS1_30default_config_static_selectorELNS0_4arch9wavefront6targetE1EEEvT1_.kd
    .uniform_work_group_size: 1
    .uses_dynamic_stack: false
    .vgpr_count:     0
    .vgpr_spill_count: 0
    .wavefront_size: 64
  - .agpr_count:     0
    .args:
      - .offset:         0
        .size:           56
        .value_kind:     by_value
    .group_segment_fixed_size: 0
    .kernarg_segment_align: 8
    .kernarg_segment_size: 56
    .language:       OpenCL C
    .language_version:
      - 2
      - 0
    .max_flat_workgroup_size: 128
    .name:           _ZN7rocprim17ROCPRIM_400000_NS6detail17trampoline_kernelINS0_14default_configENS1_35adjacent_difference_config_selectorILb1EjEEZNS1_24adjacent_difference_implIS3_Lb1ELb0EPjS7_N6thrust23THRUST_200600_302600_NS4plusIjEEEE10hipError_tPvRmT2_T3_mT4_P12ihipStream_tbEUlT_E_NS1_11comp_targetILNS1_3genE9ELNS1_11target_archE1100ELNS1_3gpuE3ELNS1_3repE0EEENS1_30default_config_static_selectorELNS0_4arch9wavefront6targetE1EEEvT1_
    .private_segment_fixed_size: 0
    .sgpr_count:     4
    .sgpr_spill_count: 0
    .symbol:         _ZN7rocprim17ROCPRIM_400000_NS6detail17trampoline_kernelINS0_14default_configENS1_35adjacent_difference_config_selectorILb1EjEEZNS1_24adjacent_difference_implIS3_Lb1ELb0EPjS7_N6thrust23THRUST_200600_302600_NS4plusIjEEEE10hipError_tPvRmT2_T3_mT4_P12ihipStream_tbEUlT_E_NS1_11comp_targetILNS1_3genE9ELNS1_11target_archE1100ELNS1_3gpuE3ELNS1_3repE0EEENS1_30default_config_static_selectorELNS0_4arch9wavefront6targetE1EEEvT1_.kd
    .uniform_work_group_size: 1
    .uses_dynamic_stack: false
    .vgpr_count:     0
    .vgpr_spill_count: 0
    .wavefront_size: 64
  - .agpr_count:     0
    .args:
      - .offset:         0
        .size:           56
        .value_kind:     by_value
    .group_segment_fixed_size: 0
    .kernarg_segment_align: 8
    .kernarg_segment_size: 56
    .language:       OpenCL C
    .language_version:
      - 2
      - 0
    .max_flat_workgroup_size: 32
    .name:           _ZN7rocprim17ROCPRIM_400000_NS6detail17trampoline_kernelINS0_14default_configENS1_35adjacent_difference_config_selectorILb1EjEEZNS1_24adjacent_difference_implIS3_Lb1ELb0EPjS7_N6thrust23THRUST_200600_302600_NS4plusIjEEEE10hipError_tPvRmT2_T3_mT4_P12ihipStream_tbEUlT_E_NS1_11comp_targetILNS1_3genE8ELNS1_11target_archE1030ELNS1_3gpuE2ELNS1_3repE0EEENS1_30default_config_static_selectorELNS0_4arch9wavefront6targetE1EEEvT1_
    .private_segment_fixed_size: 0
    .sgpr_count:     4
    .sgpr_spill_count: 0
    .symbol:         _ZN7rocprim17ROCPRIM_400000_NS6detail17trampoline_kernelINS0_14default_configENS1_35adjacent_difference_config_selectorILb1EjEEZNS1_24adjacent_difference_implIS3_Lb1ELb0EPjS7_N6thrust23THRUST_200600_302600_NS4plusIjEEEE10hipError_tPvRmT2_T3_mT4_P12ihipStream_tbEUlT_E_NS1_11comp_targetILNS1_3genE8ELNS1_11target_archE1030ELNS1_3gpuE2ELNS1_3repE0EEENS1_30default_config_static_selectorELNS0_4arch9wavefront6targetE1EEEvT1_.kd
    .uniform_work_group_size: 1
    .uses_dynamic_stack: false
    .vgpr_count:     0
    .vgpr_spill_count: 0
    .wavefront_size: 64
  - .agpr_count:     0
    .args:
      - .offset:         0
        .size:           16
        .value_kind:     by_value
      - .offset:         16
        .size:           8
        .value_kind:     by_value
      - .offset:         24
        .size:           8
        .value_kind:     by_value
    .group_segment_fixed_size: 0
    .kernarg_segment_align: 8
    .kernarg_segment_size: 32
    .language:       OpenCL C
    .language_version:
      - 2
      - 0
    .max_flat_workgroup_size: 256
    .name:           _ZN6thrust23THRUST_200600_302600_NS11hip_rocprim14__parallel_for6kernelILj256ENS1_20__uninitialized_fill7functorINS0_10device_ptrIdEEdEEmLj1EEEvT0_T1_SA_
    .private_segment_fixed_size: 0
    .sgpr_count:     20
    .sgpr_spill_count: 0
    .symbol:         _ZN6thrust23THRUST_200600_302600_NS11hip_rocprim14__parallel_for6kernelILj256ENS1_20__uninitialized_fill7functorINS0_10device_ptrIdEEdEEmLj1EEEvT0_T1_SA_.kd
    .uniform_work_group_size: 1
    .uses_dynamic_stack: false
    .vgpr_count:     5
    .vgpr_spill_count: 0
    .wavefront_size: 64
  - .agpr_count:     0
    .args:
      - .offset:         0
        .size:           56
        .value_kind:     by_value
    .group_segment_fixed_size: 0
    .kernarg_segment_align: 8
    .kernarg_segment_size: 56
    .language:       OpenCL C
    .language_version:
      - 2
      - 0
    .max_flat_workgroup_size: 128
    .name:           _ZN7rocprim17ROCPRIM_400000_NS6detail17trampoline_kernelINS0_14default_configENS1_35adjacent_difference_config_selectorILb0EdEEZNS1_24adjacent_difference_implIS3_Lb0ELb0EPdS7_N6thrust23THRUST_200600_302600_NS5minusIdEEEE10hipError_tPvRmT2_T3_mT4_P12ihipStream_tbEUlT_E_NS1_11comp_targetILNS1_3genE0ELNS1_11target_archE4294967295ELNS1_3gpuE0ELNS1_3repE0EEENS1_30default_config_static_selectorELNS0_4arch9wavefront6targetE1EEEvT1_
    .private_segment_fixed_size: 0
    .sgpr_count:     4
    .sgpr_spill_count: 0
    .symbol:         _ZN7rocprim17ROCPRIM_400000_NS6detail17trampoline_kernelINS0_14default_configENS1_35adjacent_difference_config_selectorILb0EdEEZNS1_24adjacent_difference_implIS3_Lb0ELb0EPdS7_N6thrust23THRUST_200600_302600_NS5minusIdEEEE10hipError_tPvRmT2_T3_mT4_P12ihipStream_tbEUlT_E_NS1_11comp_targetILNS1_3genE0ELNS1_11target_archE4294967295ELNS1_3gpuE0ELNS1_3repE0EEENS1_30default_config_static_selectorELNS0_4arch9wavefront6targetE1EEEvT1_.kd
    .uniform_work_group_size: 1
    .uses_dynamic_stack: false
    .vgpr_count:     0
    .vgpr_spill_count: 0
    .wavefront_size: 64
  - .agpr_count:     0
    .args:
      - .offset:         0
        .size:           56
        .value_kind:     by_value
    .group_segment_fixed_size: 0
    .kernarg_segment_align: 8
    .kernarg_segment_size: 56
    .language:       OpenCL C
    .language_version:
      - 2
      - 0
    .max_flat_workgroup_size: 32
    .name:           _ZN7rocprim17ROCPRIM_400000_NS6detail17trampoline_kernelINS0_14default_configENS1_35adjacent_difference_config_selectorILb0EdEEZNS1_24adjacent_difference_implIS3_Lb0ELb0EPdS7_N6thrust23THRUST_200600_302600_NS5minusIdEEEE10hipError_tPvRmT2_T3_mT4_P12ihipStream_tbEUlT_E_NS1_11comp_targetILNS1_3genE10ELNS1_11target_archE1201ELNS1_3gpuE5ELNS1_3repE0EEENS1_30default_config_static_selectorELNS0_4arch9wavefront6targetE1EEEvT1_
    .private_segment_fixed_size: 0
    .sgpr_count:     4
    .sgpr_spill_count: 0
    .symbol:         _ZN7rocprim17ROCPRIM_400000_NS6detail17trampoline_kernelINS0_14default_configENS1_35adjacent_difference_config_selectorILb0EdEEZNS1_24adjacent_difference_implIS3_Lb0ELb0EPdS7_N6thrust23THRUST_200600_302600_NS5minusIdEEEE10hipError_tPvRmT2_T3_mT4_P12ihipStream_tbEUlT_E_NS1_11comp_targetILNS1_3genE10ELNS1_11target_archE1201ELNS1_3gpuE5ELNS1_3repE0EEENS1_30default_config_static_selectorELNS0_4arch9wavefront6targetE1EEEvT1_.kd
    .uniform_work_group_size: 1
    .uses_dynamic_stack: false
    .vgpr_count:     0
    .vgpr_spill_count: 0
    .wavefront_size: 64
  - .agpr_count:     0
    .args:
      - .offset:         0
        .size:           56
        .value_kind:     by_value
    .group_segment_fixed_size: 0
    .kernarg_segment_align: 8
    .kernarg_segment_size: 56
    .language:       OpenCL C
    .language_version:
      - 2
      - 0
    .max_flat_workgroup_size: 64
    .name:           _ZN7rocprim17ROCPRIM_400000_NS6detail17trampoline_kernelINS0_14default_configENS1_35adjacent_difference_config_selectorILb0EdEEZNS1_24adjacent_difference_implIS3_Lb0ELb0EPdS7_N6thrust23THRUST_200600_302600_NS5minusIdEEEE10hipError_tPvRmT2_T3_mT4_P12ihipStream_tbEUlT_E_NS1_11comp_targetILNS1_3genE5ELNS1_11target_archE942ELNS1_3gpuE9ELNS1_3repE0EEENS1_30default_config_static_selectorELNS0_4arch9wavefront6targetE1EEEvT1_
    .private_segment_fixed_size: 0
    .sgpr_count:     4
    .sgpr_spill_count: 0
    .symbol:         _ZN7rocprim17ROCPRIM_400000_NS6detail17trampoline_kernelINS0_14default_configENS1_35adjacent_difference_config_selectorILb0EdEEZNS1_24adjacent_difference_implIS3_Lb0ELb0EPdS7_N6thrust23THRUST_200600_302600_NS5minusIdEEEE10hipError_tPvRmT2_T3_mT4_P12ihipStream_tbEUlT_E_NS1_11comp_targetILNS1_3genE5ELNS1_11target_archE942ELNS1_3gpuE9ELNS1_3repE0EEENS1_30default_config_static_selectorELNS0_4arch9wavefront6targetE1EEEvT1_.kd
    .uniform_work_group_size: 1
    .uses_dynamic_stack: false
    .vgpr_count:     0
    .vgpr_spill_count: 0
    .wavefront_size: 64
  - .agpr_count:     0
    .args:
      - .offset:         0
        .size:           56
        .value_kind:     by_value
    .group_segment_fixed_size: 4224
    .kernarg_segment_align: 8
    .kernarg_segment_size: 56
    .language:       OpenCL C
    .language_version:
      - 2
      - 0
    .max_flat_workgroup_size: 256
    .name:           _ZN7rocprim17ROCPRIM_400000_NS6detail17trampoline_kernelINS0_14default_configENS1_35adjacent_difference_config_selectorILb0EdEEZNS1_24adjacent_difference_implIS3_Lb0ELb0EPdS7_N6thrust23THRUST_200600_302600_NS5minusIdEEEE10hipError_tPvRmT2_T3_mT4_P12ihipStream_tbEUlT_E_NS1_11comp_targetILNS1_3genE4ELNS1_11target_archE910ELNS1_3gpuE8ELNS1_3repE0EEENS1_30default_config_static_selectorELNS0_4arch9wavefront6targetE1EEEvT1_
    .private_segment_fixed_size: 0
    .sgpr_count:     26
    .sgpr_spill_count: 0
    .symbol:         _ZN7rocprim17ROCPRIM_400000_NS6detail17trampoline_kernelINS0_14default_configENS1_35adjacent_difference_config_selectorILb0EdEEZNS1_24adjacent_difference_implIS3_Lb0ELb0EPdS7_N6thrust23THRUST_200600_302600_NS5minusIdEEEE10hipError_tPvRmT2_T3_mT4_P12ihipStream_tbEUlT_E_NS1_11comp_targetILNS1_3genE4ELNS1_11target_archE910ELNS1_3gpuE8ELNS1_3repE0EEENS1_30default_config_static_selectorELNS0_4arch9wavefront6targetE1EEEvT1_.kd
    .uniform_work_group_size: 1
    .uses_dynamic_stack: false
    .vgpr_count:     14
    .vgpr_spill_count: 0
    .wavefront_size: 64
  - .agpr_count:     0
    .args:
      - .offset:         0
        .size:           56
        .value_kind:     by_value
    .group_segment_fixed_size: 0
    .kernarg_segment_align: 8
    .kernarg_segment_size: 56
    .language:       OpenCL C
    .language_version:
      - 2
      - 0
    .max_flat_workgroup_size: 128
    .name:           _ZN7rocprim17ROCPRIM_400000_NS6detail17trampoline_kernelINS0_14default_configENS1_35adjacent_difference_config_selectorILb0EdEEZNS1_24adjacent_difference_implIS3_Lb0ELb0EPdS7_N6thrust23THRUST_200600_302600_NS5minusIdEEEE10hipError_tPvRmT2_T3_mT4_P12ihipStream_tbEUlT_E_NS1_11comp_targetILNS1_3genE3ELNS1_11target_archE908ELNS1_3gpuE7ELNS1_3repE0EEENS1_30default_config_static_selectorELNS0_4arch9wavefront6targetE1EEEvT1_
    .private_segment_fixed_size: 0
    .sgpr_count:     4
    .sgpr_spill_count: 0
    .symbol:         _ZN7rocprim17ROCPRIM_400000_NS6detail17trampoline_kernelINS0_14default_configENS1_35adjacent_difference_config_selectorILb0EdEEZNS1_24adjacent_difference_implIS3_Lb0ELb0EPdS7_N6thrust23THRUST_200600_302600_NS5minusIdEEEE10hipError_tPvRmT2_T3_mT4_P12ihipStream_tbEUlT_E_NS1_11comp_targetILNS1_3genE3ELNS1_11target_archE908ELNS1_3gpuE7ELNS1_3repE0EEENS1_30default_config_static_selectorELNS0_4arch9wavefront6targetE1EEEvT1_.kd
    .uniform_work_group_size: 1
    .uses_dynamic_stack: false
    .vgpr_count:     0
    .vgpr_spill_count: 0
    .wavefront_size: 64
  - .agpr_count:     0
    .args:
      - .offset:         0
        .size:           56
        .value_kind:     by_value
    .group_segment_fixed_size: 0
    .kernarg_segment_align: 8
    .kernarg_segment_size: 56
    .language:       OpenCL C
    .language_version:
      - 2
      - 0
    .max_flat_workgroup_size: 1024
    .name:           _ZN7rocprim17ROCPRIM_400000_NS6detail17trampoline_kernelINS0_14default_configENS1_35adjacent_difference_config_selectorILb0EdEEZNS1_24adjacent_difference_implIS3_Lb0ELb0EPdS7_N6thrust23THRUST_200600_302600_NS5minusIdEEEE10hipError_tPvRmT2_T3_mT4_P12ihipStream_tbEUlT_E_NS1_11comp_targetILNS1_3genE2ELNS1_11target_archE906ELNS1_3gpuE6ELNS1_3repE0EEENS1_30default_config_static_selectorELNS0_4arch9wavefront6targetE1EEEvT1_
    .private_segment_fixed_size: 0
    .sgpr_count:     4
    .sgpr_spill_count: 0
    .symbol:         _ZN7rocprim17ROCPRIM_400000_NS6detail17trampoline_kernelINS0_14default_configENS1_35adjacent_difference_config_selectorILb0EdEEZNS1_24adjacent_difference_implIS3_Lb0ELb0EPdS7_N6thrust23THRUST_200600_302600_NS5minusIdEEEE10hipError_tPvRmT2_T3_mT4_P12ihipStream_tbEUlT_E_NS1_11comp_targetILNS1_3genE2ELNS1_11target_archE906ELNS1_3gpuE6ELNS1_3repE0EEENS1_30default_config_static_selectorELNS0_4arch9wavefront6targetE1EEEvT1_.kd
    .uniform_work_group_size: 1
    .uses_dynamic_stack: false
    .vgpr_count:     0
    .vgpr_spill_count: 0
    .wavefront_size: 64
  - .agpr_count:     0
    .args:
      - .offset:         0
        .size:           56
        .value_kind:     by_value
    .group_segment_fixed_size: 0
    .kernarg_segment_align: 8
    .kernarg_segment_size: 56
    .language:       OpenCL C
    .language_version:
      - 2
      - 0
    .max_flat_workgroup_size: 1024
    .name:           _ZN7rocprim17ROCPRIM_400000_NS6detail17trampoline_kernelINS0_14default_configENS1_35adjacent_difference_config_selectorILb0EdEEZNS1_24adjacent_difference_implIS3_Lb0ELb0EPdS7_N6thrust23THRUST_200600_302600_NS5minusIdEEEE10hipError_tPvRmT2_T3_mT4_P12ihipStream_tbEUlT_E_NS1_11comp_targetILNS1_3genE9ELNS1_11target_archE1100ELNS1_3gpuE3ELNS1_3repE0EEENS1_30default_config_static_selectorELNS0_4arch9wavefront6targetE1EEEvT1_
    .private_segment_fixed_size: 0
    .sgpr_count:     4
    .sgpr_spill_count: 0
    .symbol:         _ZN7rocprim17ROCPRIM_400000_NS6detail17trampoline_kernelINS0_14default_configENS1_35adjacent_difference_config_selectorILb0EdEEZNS1_24adjacent_difference_implIS3_Lb0ELb0EPdS7_N6thrust23THRUST_200600_302600_NS5minusIdEEEE10hipError_tPvRmT2_T3_mT4_P12ihipStream_tbEUlT_E_NS1_11comp_targetILNS1_3genE9ELNS1_11target_archE1100ELNS1_3gpuE3ELNS1_3repE0EEENS1_30default_config_static_selectorELNS0_4arch9wavefront6targetE1EEEvT1_.kd
    .uniform_work_group_size: 1
    .uses_dynamic_stack: false
    .vgpr_count:     0
    .vgpr_spill_count: 0
    .wavefront_size: 64
  - .agpr_count:     0
    .args:
      - .offset:         0
        .size:           56
        .value_kind:     by_value
    .group_segment_fixed_size: 0
    .kernarg_segment_align: 8
    .kernarg_segment_size: 56
    .language:       OpenCL C
    .language_version:
      - 2
      - 0
    .max_flat_workgroup_size: 1024
    .name:           _ZN7rocprim17ROCPRIM_400000_NS6detail17trampoline_kernelINS0_14default_configENS1_35adjacent_difference_config_selectorILb0EdEEZNS1_24adjacent_difference_implIS3_Lb0ELb0EPdS7_N6thrust23THRUST_200600_302600_NS5minusIdEEEE10hipError_tPvRmT2_T3_mT4_P12ihipStream_tbEUlT_E_NS1_11comp_targetILNS1_3genE8ELNS1_11target_archE1030ELNS1_3gpuE2ELNS1_3repE0EEENS1_30default_config_static_selectorELNS0_4arch9wavefront6targetE1EEEvT1_
    .private_segment_fixed_size: 0
    .sgpr_count:     4
    .sgpr_spill_count: 0
    .symbol:         _ZN7rocprim17ROCPRIM_400000_NS6detail17trampoline_kernelINS0_14default_configENS1_35adjacent_difference_config_selectorILb0EdEEZNS1_24adjacent_difference_implIS3_Lb0ELb0EPdS7_N6thrust23THRUST_200600_302600_NS5minusIdEEEE10hipError_tPvRmT2_T3_mT4_P12ihipStream_tbEUlT_E_NS1_11comp_targetILNS1_3genE8ELNS1_11target_archE1030ELNS1_3gpuE2ELNS1_3repE0EEENS1_30default_config_static_selectorELNS0_4arch9wavefront6targetE1EEEvT1_.kd
    .uniform_work_group_size: 1
    .uses_dynamic_stack: false
    .vgpr_count:     0
    .vgpr_spill_count: 0
    .wavefront_size: 64
  - .agpr_count:     0
    .args:
      - .offset:         0
        .size:           56
        .value_kind:     by_value
    .group_segment_fixed_size: 0
    .kernarg_segment_align: 8
    .kernarg_segment_size: 56
    .language:       OpenCL C
    .language_version:
      - 2
      - 0
    .max_flat_workgroup_size: 128
    .name:           _ZN7rocprim17ROCPRIM_400000_NS6detail17trampoline_kernelINS0_14default_configENS1_25transform_config_selectorIdLb0EEEZNS1_14transform_implILb0ES3_S5_NS0_18transform_iteratorINS0_17counting_iteratorImlEEZNS1_24adjacent_difference_implIS3_Lb1ELb0EPdSB_N6thrust23THRUST_200600_302600_NS5minusIdEEEE10hipError_tPvRmT2_T3_mT4_P12ihipStream_tbEUlmE_dEESB_NS0_8identityIvEEEESG_SJ_SK_mSL_SN_bEUlT_E_NS1_11comp_targetILNS1_3genE0ELNS1_11target_archE4294967295ELNS1_3gpuE0ELNS1_3repE0EEENS1_30default_config_static_selectorELNS0_4arch9wavefront6targetE1EEEvT1_
    .private_segment_fixed_size: 0
    .sgpr_count:     4
    .sgpr_spill_count: 0
    .symbol:         _ZN7rocprim17ROCPRIM_400000_NS6detail17trampoline_kernelINS0_14default_configENS1_25transform_config_selectorIdLb0EEEZNS1_14transform_implILb0ES3_S5_NS0_18transform_iteratorINS0_17counting_iteratorImlEEZNS1_24adjacent_difference_implIS3_Lb1ELb0EPdSB_N6thrust23THRUST_200600_302600_NS5minusIdEEEE10hipError_tPvRmT2_T3_mT4_P12ihipStream_tbEUlmE_dEESB_NS0_8identityIvEEEESG_SJ_SK_mSL_SN_bEUlT_E_NS1_11comp_targetILNS1_3genE0ELNS1_11target_archE4294967295ELNS1_3gpuE0ELNS1_3repE0EEENS1_30default_config_static_selectorELNS0_4arch9wavefront6targetE1EEEvT1_.kd
    .uniform_work_group_size: 1
    .uses_dynamic_stack: false
    .vgpr_count:     0
    .vgpr_spill_count: 0
    .wavefront_size: 64
  - .agpr_count:     0
    .args:
      - .offset:         0
        .size:           56
        .value_kind:     by_value
    .group_segment_fixed_size: 0
    .kernarg_segment_align: 8
    .kernarg_segment_size: 56
    .language:       OpenCL C
    .language_version:
      - 2
      - 0
    .max_flat_workgroup_size: 512
    .name:           _ZN7rocprim17ROCPRIM_400000_NS6detail17trampoline_kernelINS0_14default_configENS1_25transform_config_selectorIdLb0EEEZNS1_14transform_implILb0ES3_S5_NS0_18transform_iteratorINS0_17counting_iteratorImlEEZNS1_24adjacent_difference_implIS3_Lb1ELb0EPdSB_N6thrust23THRUST_200600_302600_NS5minusIdEEEE10hipError_tPvRmT2_T3_mT4_P12ihipStream_tbEUlmE_dEESB_NS0_8identityIvEEEESG_SJ_SK_mSL_SN_bEUlT_E_NS1_11comp_targetILNS1_3genE5ELNS1_11target_archE942ELNS1_3gpuE9ELNS1_3repE0EEENS1_30default_config_static_selectorELNS0_4arch9wavefront6targetE1EEEvT1_
    .private_segment_fixed_size: 0
    .sgpr_count:     4
    .sgpr_spill_count: 0
    .symbol:         _ZN7rocprim17ROCPRIM_400000_NS6detail17trampoline_kernelINS0_14default_configENS1_25transform_config_selectorIdLb0EEEZNS1_14transform_implILb0ES3_S5_NS0_18transform_iteratorINS0_17counting_iteratorImlEEZNS1_24adjacent_difference_implIS3_Lb1ELb0EPdSB_N6thrust23THRUST_200600_302600_NS5minusIdEEEE10hipError_tPvRmT2_T3_mT4_P12ihipStream_tbEUlmE_dEESB_NS0_8identityIvEEEESG_SJ_SK_mSL_SN_bEUlT_E_NS1_11comp_targetILNS1_3genE5ELNS1_11target_archE942ELNS1_3gpuE9ELNS1_3repE0EEENS1_30default_config_static_selectorELNS0_4arch9wavefront6targetE1EEEvT1_.kd
    .uniform_work_group_size: 1
    .uses_dynamic_stack: false
    .vgpr_count:     0
    .vgpr_spill_count: 0
    .wavefront_size: 64
  - .agpr_count:     0
    .args:
      - .offset:         0
        .size:           56
        .value_kind:     by_value
      - .offset:         56
        .size:           4
        .value_kind:     hidden_block_count_x
      - .offset:         60
        .size:           4
        .value_kind:     hidden_block_count_y
      - .offset:         64
        .size:           4
        .value_kind:     hidden_block_count_z
      - .offset:         68
        .size:           2
        .value_kind:     hidden_group_size_x
      - .offset:         70
        .size:           2
        .value_kind:     hidden_group_size_y
      - .offset:         72
        .size:           2
        .value_kind:     hidden_group_size_z
      - .offset:         74
        .size:           2
        .value_kind:     hidden_remainder_x
      - .offset:         76
        .size:           2
        .value_kind:     hidden_remainder_y
      - .offset:         78
        .size:           2
        .value_kind:     hidden_remainder_z
      - .offset:         96
        .size:           8
        .value_kind:     hidden_global_offset_x
      - .offset:         104
        .size:           8
        .value_kind:     hidden_global_offset_y
      - .offset:         112
        .size:           8
        .value_kind:     hidden_global_offset_z
      - .offset:         120
        .size:           2
        .value_kind:     hidden_grid_dims
    .group_segment_fixed_size: 0
    .kernarg_segment_align: 8
    .kernarg_segment_size: 312
    .language:       OpenCL C
    .language_version:
      - 2
      - 0
    .max_flat_workgroup_size: 256
    .name:           _ZN7rocprim17ROCPRIM_400000_NS6detail17trampoline_kernelINS0_14default_configENS1_25transform_config_selectorIdLb0EEEZNS1_14transform_implILb0ES3_S5_NS0_18transform_iteratorINS0_17counting_iteratorImlEEZNS1_24adjacent_difference_implIS3_Lb1ELb0EPdSB_N6thrust23THRUST_200600_302600_NS5minusIdEEEE10hipError_tPvRmT2_T3_mT4_P12ihipStream_tbEUlmE_dEESB_NS0_8identityIvEEEESG_SJ_SK_mSL_SN_bEUlT_E_NS1_11comp_targetILNS1_3genE4ELNS1_11target_archE910ELNS1_3gpuE8ELNS1_3repE0EEENS1_30default_config_static_selectorELNS0_4arch9wavefront6targetE1EEEvT1_
    .private_segment_fixed_size: 0
    .sgpr_count:     22
    .sgpr_spill_count: 0
    .symbol:         _ZN7rocprim17ROCPRIM_400000_NS6detail17trampoline_kernelINS0_14default_configENS1_25transform_config_selectorIdLb0EEEZNS1_14transform_implILb0ES3_S5_NS0_18transform_iteratorINS0_17counting_iteratorImlEEZNS1_24adjacent_difference_implIS3_Lb1ELb0EPdSB_N6thrust23THRUST_200600_302600_NS5minusIdEEEE10hipError_tPvRmT2_T3_mT4_P12ihipStream_tbEUlmE_dEESB_NS0_8identityIvEEEESG_SJ_SK_mSL_SN_bEUlT_E_NS1_11comp_targetILNS1_3genE4ELNS1_11target_archE910ELNS1_3gpuE8ELNS1_3repE0EEENS1_30default_config_static_selectorELNS0_4arch9wavefront6targetE1EEEvT1_.kd
    .uniform_work_group_size: 1
    .uses_dynamic_stack: false
    .vgpr_count:     10
    .vgpr_spill_count: 0
    .wavefront_size: 64
  - .agpr_count:     0
    .args:
      - .offset:         0
        .size:           56
        .value_kind:     by_value
    .group_segment_fixed_size: 0
    .kernarg_segment_align: 8
    .kernarg_segment_size: 56
    .language:       OpenCL C
    .language_version:
      - 2
      - 0
    .max_flat_workgroup_size: 128
    .name:           _ZN7rocprim17ROCPRIM_400000_NS6detail17trampoline_kernelINS0_14default_configENS1_25transform_config_selectorIdLb0EEEZNS1_14transform_implILb0ES3_S5_NS0_18transform_iteratorINS0_17counting_iteratorImlEEZNS1_24adjacent_difference_implIS3_Lb1ELb0EPdSB_N6thrust23THRUST_200600_302600_NS5minusIdEEEE10hipError_tPvRmT2_T3_mT4_P12ihipStream_tbEUlmE_dEESB_NS0_8identityIvEEEESG_SJ_SK_mSL_SN_bEUlT_E_NS1_11comp_targetILNS1_3genE3ELNS1_11target_archE908ELNS1_3gpuE7ELNS1_3repE0EEENS1_30default_config_static_selectorELNS0_4arch9wavefront6targetE1EEEvT1_
    .private_segment_fixed_size: 0
    .sgpr_count:     4
    .sgpr_spill_count: 0
    .symbol:         _ZN7rocprim17ROCPRIM_400000_NS6detail17trampoline_kernelINS0_14default_configENS1_25transform_config_selectorIdLb0EEEZNS1_14transform_implILb0ES3_S5_NS0_18transform_iteratorINS0_17counting_iteratorImlEEZNS1_24adjacent_difference_implIS3_Lb1ELb0EPdSB_N6thrust23THRUST_200600_302600_NS5minusIdEEEE10hipError_tPvRmT2_T3_mT4_P12ihipStream_tbEUlmE_dEESB_NS0_8identityIvEEEESG_SJ_SK_mSL_SN_bEUlT_E_NS1_11comp_targetILNS1_3genE3ELNS1_11target_archE908ELNS1_3gpuE7ELNS1_3repE0EEENS1_30default_config_static_selectorELNS0_4arch9wavefront6targetE1EEEvT1_.kd
    .uniform_work_group_size: 1
    .uses_dynamic_stack: false
    .vgpr_count:     0
    .vgpr_spill_count: 0
    .wavefront_size: 64
  - .agpr_count:     0
    .args:
      - .offset:         0
        .size:           56
        .value_kind:     by_value
    .group_segment_fixed_size: 0
    .kernarg_segment_align: 8
    .kernarg_segment_size: 56
    .language:       OpenCL C
    .language_version:
      - 2
      - 0
    .max_flat_workgroup_size: 1024
    .name:           _ZN7rocprim17ROCPRIM_400000_NS6detail17trampoline_kernelINS0_14default_configENS1_25transform_config_selectorIdLb0EEEZNS1_14transform_implILb0ES3_S5_NS0_18transform_iteratorINS0_17counting_iteratorImlEEZNS1_24adjacent_difference_implIS3_Lb1ELb0EPdSB_N6thrust23THRUST_200600_302600_NS5minusIdEEEE10hipError_tPvRmT2_T3_mT4_P12ihipStream_tbEUlmE_dEESB_NS0_8identityIvEEEESG_SJ_SK_mSL_SN_bEUlT_E_NS1_11comp_targetILNS1_3genE2ELNS1_11target_archE906ELNS1_3gpuE6ELNS1_3repE0EEENS1_30default_config_static_selectorELNS0_4arch9wavefront6targetE1EEEvT1_
    .private_segment_fixed_size: 0
    .sgpr_count:     4
    .sgpr_spill_count: 0
    .symbol:         _ZN7rocprim17ROCPRIM_400000_NS6detail17trampoline_kernelINS0_14default_configENS1_25transform_config_selectorIdLb0EEEZNS1_14transform_implILb0ES3_S5_NS0_18transform_iteratorINS0_17counting_iteratorImlEEZNS1_24adjacent_difference_implIS3_Lb1ELb0EPdSB_N6thrust23THRUST_200600_302600_NS5minusIdEEEE10hipError_tPvRmT2_T3_mT4_P12ihipStream_tbEUlmE_dEESB_NS0_8identityIvEEEESG_SJ_SK_mSL_SN_bEUlT_E_NS1_11comp_targetILNS1_3genE2ELNS1_11target_archE906ELNS1_3gpuE6ELNS1_3repE0EEENS1_30default_config_static_selectorELNS0_4arch9wavefront6targetE1EEEvT1_.kd
    .uniform_work_group_size: 1
    .uses_dynamic_stack: false
    .vgpr_count:     0
    .vgpr_spill_count: 0
    .wavefront_size: 64
  - .agpr_count:     0
    .args:
      - .offset:         0
        .size:           56
        .value_kind:     by_value
    .group_segment_fixed_size: 0
    .kernarg_segment_align: 8
    .kernarg_segment_size: 56
    .language:       OpenCL C
    .language_version:
      - 2
      - 0
    .max_flat_workgroup_size: 64
    .name:           _ZN7rocprim17ROCPRIM_400000_NS6detail17trampoline_kernelINS0_14default_configENS1_25transform_config_selectorIdLb0EEEZNS1_14transform_implILb0ES3_S5_NS0_18transform_iteratorINS0_17counting_iteratorImlEEZNS1_24adjacent_difference_implIS3_Lb1ELb0EPdSB_N6thrust23THRUST_200600_302600_NS5minusIdEEEE10hipError_tPvRmT2_T3_mT4_P12ihipStream_tbEUlmE_dEESB_NS0_8identityIvEEEESG_SJ_SK_mSL_SN_bEUlT_E_NS1_11comp_targetILNS1_3genE10ELNS1_11target_archE1201ELNS1_3gpuE5ELNS1_3repE0EEENS1_30default_config_static_selectorELNS0_4arch9wavefront6targetE1EEEvT1_
    .private_segment_fixed_size: 0
    .sgpr_count:     4
    .sgpr_spill_count: 0
    .symbol:         _ZN7rocprim17ROCPRIM_400000_NS6detail17trampoline_kernelINS0_14default_configENS1_25transform_config_selectorIdLb0EEEZNS1_14transform_implILb0ES3_S5_NS0_18transform_iteratorINS0_17counting_iteratorImlEEZNS1_24adjacent_difference_implIS3_Lb1ELb0EPdSB_N6thrust23THRUST_200600_302600_NS5minusIdEEEE10hipError_tPvRmT2_T3_mT4_P12ihipStream_tbEUlmE_dEESB_NS0_8identityIvEEEESG_SJ_SK_mSL_SN_bEUlT_E_NS1_11comp_targetILNS1_3genE10ELNS1_11target_archE1201ELNS1_3gpuE5ELNS1_3repE0EEENS1_30default_config_static_selectorELNS0_4arch9wavefront6targetE1EEEvT1_.kd
    .uniform_work_group_size: 1
    .uses_dynamic_stack: false
    .vgpr_count:     0
    .vgpr_spill_count: 0
    .wavefront_size: 64
  - .agpr_count:     0
    .args:
      - .offset:         0
        .size:           56
        .value_kind:     by_value
    .group_segment_fixed_size: 0
    .kernarg_segment_align: 8
    .kernarg_segment_size: 56
    .language:       OpenCL C
    .language_version:
      - 2
      - 0
    .max_flat_workgroup_size: 512
    .name:           _ZN7rocprim17ROCPRIM_400000_NS6detail17trampoline_kernelINS0_14default_configENS1_25transform_config_selectorIdLb0EEEZNS1_14transform_implILb0ES3_S5_NS0_18transform_iteratorINS0_17counting_iteratorImlEEZNS1_24adjacent_difference_implIS3_Lb1ELb0EPdSB_N6thrust23THRUST_200600_302600_NS5minusIdEEEE10hipError_tPvRmT2_T3_mT4_P12ihipStream_tbEUlmE_dEESB_NS0_8identityIvEEEESG_SJ_SK_mSL_SN_bEUlT_E_NS1_11comp_targetILNS1_3genE10ELNS1_11target_archE1200ELNS1_3gpuE4ELNS1_3repE0EEENS1_30default_config_static_selectorELNS0_4arch9wavefront6targetE1EEEvT1_
    .private_segment_fixed_size: 0
    .sgpr_count:     4
    .sgpr_spill_count: 0
    .symbol:         _ZN7rocprim17ROCPRIM_400000_NS6detail17trampoline_kernelINS0_14default_configENS1_25transform_config_selectorIdLb0EEEZNS1_14transform_implILb0ES3_S5_NS0_18transform_iteratorINS0_17counting_iteratorImlEEZNS1_24adjacent_difference_implIS3_Lb1ELb0EPdSB_N6thrust23THRUST_200600_302600_NS5minusIdEEEE10hipError_tPvRmT2_T3_mT4_P12ihipStream_tbEUlmE_dEESB_NS0_8identityIvEEEESG_SJ_SK_mSL_SN_bEUlT_E_NS1_11comp_targetILNS1_3genE10ELNS1_11target_archE1200ELNS1_3gpuE4ELNS1_3repE0EEENS1_30default_config_static_selectorELNS0_4arch9wavefront6targetE1EEEvT1_.kd
    .uniform_work_group_size: 1
    .uses_dynamic_stack: false
    .vgpr_count:     0
    .vgpr_spill_count: 0
    .wavefront_size: 64
  - .agpr_count:     0
    .args:
      - .offset:         0
        .size:           56
        .value_kind:     by_value
    .group_segment_fixed_size: 0
    .kernarg_segment_align: 8
    .kernarg_segment_size: 56
    .language:       OpenCL C
    .language_version:
      - 2
      - 0
    .max_flat_workgroup_size: 512
    .name:           _ZN7rocprim17ROCPRIM_400000_NS6detail17trampoline_kernelINS0_14default_configENS1_25transform_config_selectorIdLb0EEEZNS1_14transform_implILb0ES3_S5_NS0_18transform_iteratorINS0_17counting_iteratorImlEEZNS1_24adjacent_difference_implIS3_Lb1ELb0EPdSB_N6thrust23THRUST_200600_302600_NS5minusIdEEEE10hipError_tPvRmT2_T3_mT4_P12ihipStream_tbEUlmE_dEESB_NS0_8identityIvEEEESG_SJ_SK_mSL_SN_bEUlT_E_NS1_11comp_targetILNS1_3genE9ELNS1_11target_archE1100ELNS1_3gpuE3ELNS1_3repE0EEENS1_30default_config_static_selectorELNS0_4arch9wavefront6targetE1EEEvT1_
    .private_segment_fixed_size: 0
    .sgpr_count:     4
    .sgpr_spill_count: 0
    .symbol:         _ZN7rocprim17ROCPRIM_400000_NS6detail17trampoline_kernelINS0_14default_configENS1_25transform_config_selectorIdLb0EEEZNS1_14transform_implILb0ES3_S5_NS0_18transform_iteratorINS0_17counting_iteratorImlEEZNS1_24adjacent_difference_implIS3_Lb1ELb0EPdSB_N6thrust23THRUST_200600_302600_NS5minusIdEEEE10hipError_tPvRmT2_T3_mT4_P12ihipStream_tbEUlmE_dEESB_NS0_8identityIvEEEESG_SJ_SK_mSL_SN_bEUlT_E_NS1_11comp_targetILNS1_3genE9ELNS1_11target_archE1100ELNS1_3gpuE3ELNS1_3repE0EEENS1_30default_config_static_selectorELNS0_4arch9wavefront6targetE1EEEvT1_.kd
    .uniform_work_group_size: 1
    .uses_dynamic_stack: false
    .vgpr_count:     0
    .vgpr_spill_count: 0
    .wavefront_size: 64
  - .agpr_count:     0
    .args:
      - .offset:         0
        .size:           56
        .value_kind:     by_value
    .group_segment_fixed_size: 0
    .kernarg_segment_align: 8
    .kernarg_segment_size: 56
    .language:       OpenCL C
    .language_version:
      - 2
      - 0
    .max_flat_workgroup_size: 512
    .name:           _ZN7rocprim17ROCPRIM_400000_NS6detail17trampoline_kernelINS0_14default_configENS1_25transform_config_selectorIdLb0EEEZNS1_14transform_implILb0ES3_S5_NS0_18transform_iteratorINS0_17counting_iteratorImlEEZNS1_24adjacent_difference_implIS3_Lb1ELb0EPdSB_N6thrust23THRUST_200600_302600_NS5minusIdEEEE10hipError_tPvRmT2_T3_mT4_P12ihipStream_tbEUlmE_dEESB_NS0_8identityIvEEEESG_SJ_SK_mSL_SN_bEUlT_E_NS1_11comp_targetILNS1_3genE8ELNS1_11target_archE1030ELNS1_3gpuE2ELNS1_3repE0EEENS1_30default_config_static_selectorELNS0_4arch9wavefront6targetE1EEEvT1_
    .private_segment_fixed_size: 0
    .sgpr_count:     4
    .sgpr_spill_count: 0
    .symbol:         _ZN7rocprim17ROCPRIM_400000_NS6detail17trampoline_kernelINS0_14default_configENS1_25transform_config_selectorIdLb0EEEZNS1_14transform_implILb0ES3_S5_NS0_18transform_iteratorINS0_17counting_iteratorImlEEZNS1_24adjacent_difference_implIS3_Lb1ELb0EPdSB_N6thrust23THRUST_200600_302600_NS5minusIdEEEE10hipError_tPvRmT2_T3_mT4_P12ihipStream_tbEUlmE_dEESB_NS0_8identityIvEEEESG_SJ_SK_mSL_SN_bEUlT_E_NS1_11comp_targetILNS1_3genE8ELNS1_11target_archE1030ELNS1_3gpuE2ELNS1_3repE0EEENS1_30default_config_static_selectorELNS0_4arch9wavefront6targetE1EEEvT1_.kd
    .uniform_work_group_size: 1
    .uses_dynamic_stack: false
    .vgpr_count:     0
    .vgpr_spill_count: 0
    .wavefront_size: 64
  - .agpr_count:     0
    .args:
      - .offset:         0
        .size:           56
        .value_kind:     by_value
    .group_segment_fixed_size: 0
    .kernarg_segment_align: 8
    .kernarg_segment_size: 56
    .language:       OpenCL C
    .language_version:
      - 2
      - 0
    .max_flat_workgroup_size: 512
    .name:           _ZN7rocprim17ROCPRIM_400000_NS6detail17trampoline_kernelINS0_14default_configENS1_35adjacent_difference_config_selectorILb1EdEEZNS1_24adjacent_difference_implIS3_Lb1ELb0EPdS7_N6thrust23THRUST_200600_302600_NS5minusIdEEEE10hipError_tPvRmT2_T3_mT4_P12ihipStream_tbEUlT_E_NS1_11comp_targetILNS1_3genE0ELNS1_11target_archE4294967295ELNS1_3gpuE0ELNS1_3repE0EEENS1_30default_config_static_selectorELNS0_4arch9wavefront6targetE1EEEvT1_
    .private_segment_fixed_size: 0
    .sgpr_count:     4
    .sgpr_spill_count: 0
    .symbol:         _ZN7rocprim17ROCPRIM_400000_NS6detail17trampoline_kernelINS0_14default_configENS1_35adjacent_difference_config_selectorILb1EdEEZNS1_24adjacent_difference_implIS3_Lb1ELb0EPdS7_N6thrust23THRUST_200600_302600_NS5minusIdEEEE10hipError_tPvRmT2_T3_mT4_P12ihipStream_tbEUlT_E_NS1_11comp_targetILNS1_3genE0ELNS1_11target_archE4294967295ELNS1_3gpuE0ELNS1_3repE0EEENS1_30default_config_static_selectorELNS0_4arch9wavefront6targetE1EEEvT1_.kd
    .uniform_work_group_size: 1
    .uses_dynamic_stack: false
    .vgpr_count:     0
    .vgpr_spill_count: 0
    .wavefront_size: 64
  - .agpr_count:     0
    .args:
      - .offset:         0
        .size:           56
        .value_kind:     by_value
    .group_segment_fixed_size: 0
    .kernarg_segment_align: 8
    .kernarg_segment_size: 56
    .language:       OpenCL C
    .language_version:
      - 2
      - 0
    .max_flat_workgroup_size: 256
    .name:           _ZN7rocprim17ROCPRIM_400000_NS6detail17trampoline_kernelINS0_14default_configENS1_35adjacent_difference_config_selectorILb1EdEEZNS1_24adjacent_difference_implIS3_Lb1ELb0EPdS7_N6thrust23THRUST_200600_302600_NS5minusIdEEEE10hipError_tPvRmT2_T3_mT4_P12ihipStream_tbEUlT_E_NS1_11comp_targetILNS1_3genE10ELNS1_11target_archE1201ELNS1_3gpuE5ELNS1_3repE0EEENS1_30default_config_static_selectorELNS0_4arch9wavefront6targetE1EEEvT1_
    .private_segment_fixed_size: 0
    .sgpr_count:     4
    .sgpr_spill_count: 0
    .symbol:         _ZN7rocprim17ROCPRIM_400000_NS6detail17trampoline_kernelINS0_14default_configENS1_35adjacent_difference_config_selectorILb1EdEEZNS1_24adjacent_difference_implIS3_Lb1ELb0EPdS7_N6thrust23THRUST_200600_302600_NS5minusIdEEEE10hipError_tPvRmT2_T3_mT4_P12ihipStream_tbEUlT_E_NS1_11comp_targetILNS1_3genE10ELNS1_11target_archE1201ELNS1_3gpuE5ELNS1_3repE0EEENS1_30default_config_static_selectorELNS0_4arch9wavefront6targetE1EEEvT1_.kd
    .uniform_work_group_size: 1
    .uses_dynamic_stack: false
    .vgpr_count:     0
    .vgpr_spill_count: 0
    .wavefront_size: 64
  - .agpr_count:     0
    .args:
      - .offset:         0
        .size:           56
        .value_kind:     by_value
    .group_segment_fixed_size: 0
    .kernarg_segment_align: 8
    .kernarg_segment_size: 56
    .language:       OpenCL C
    .language_version:
      - 2
      - 0
    .max_flat_workgroup_size: 128
    .name:           _ZN7rocprim17ROCPRIM_400000_NS6detail17trampoline_kernelINS0_14default_configENS1_35adjacent_difference_config_selectorILb1EdEEZNS1_24adjacent_difference_implIS3_Lb1ELb0EPdS7_N6thrust23THRUST_200600_302600_NS5minusIdEEEE10hipError_tPvRmT2_T3_mT4_P12ihipStream_tbEUlT_E_NS1_11comp_targetILNS1_3genE5ELNS1_11target_archE942ELNS1_3gpuE9ELNS1_3repE0EEENS1_30default_config_static_selectorELNS0_4arch9wavefront6targetE1EEEvT1_
    .private_segment_fixed_size: 0
    .sgpr_count:     4
    .sgpr_spill_count: 0
    .symbol:         _ZN7rocprim17ROCPRIM_400000_NS6detail17trampoline_kernelINS0_14default_configENS1_35adjacent_difference_config_selectorILb1EdEEZNS1_24adjacent_difference_implIS3_Lb1ELb0EPdS7_N6thrust23THRUST_200600_302600_NS5minusIdEEEE10hipError_tPvRmT2_T3_mT4_P12ihipStream_tbEUlT_E_NS1_11comp_targetILNS1_3genE5ELNS1_11target_archE942ELNS1_3gpuE9ELNS1_3repE0EEENS1_30default_config_static_selectorELNS0_4arch9wavefront6targetE1EEEvT1_.kd
    .uniform_work_group_size: 1
    .uses_dynamic_stack: false
    .vgpr_count:     0
    .vgpr_spill_count: 0
    .wavefront_size: 64
  - .agpr_count:     0
    .args:
      - .offset:         0
        .size:           56
        .value_kind:     by_value
    .group_segment_fixed_size: 8448
    .kernarg_segment_align: 8
    .kernarg_segment_size: 56
    .language:       OpenCL C
    .language_version:
      - 2
      - 0
    .max_flat_workgroup_size: 512
    .name:           _ZN7rocprim17ROCPRIM_400000_NS6detail17trampoline_kernelINS0_14default_configENS1_35adjacent_difference_config_selectorILb1EdEEZNS1_24adjacent_difference_implIS3_Lb1ELb0EPdS7_N6thrust23THRUST_200600_302600_NS5minusIdEEEE10hipError_tPvRmT2_T3_mT4_P12ihipStream_tbEUlT_E_NS1_11comp_targetILNS1_3genE4ELNS1_11target_archE910ELNS1_3gpuE8ELNS1_3repE0EEENS1_30default_config_static_selectorELNS0_4arch9wavefront6targetE1EEEvT1_
    .private_segment_fixed_size: 0
    .sgpr_count:     32
    .sgpr_spill_count: 0
    .symbol:         _ZN7rocprim17ROCPRIM_400000_NS6detail17trampoline_kernelINS0_14default_configENS1_35adjacent_difference_config_selectorILb1EdEEZNS1_24adjacent_difference_implIS3_Lb1ELb0EPdS7_N6thrust23THRUST_200600_302600_NS5minusIdEEEE10hipError_tPvRmT2_T3_mT4_P12ihipStream_tbEUlT_E_NS1_11comp_targetILNS1_3genE4ELNS1_11target_archE910ELNS1_3gpuE8ELNS1_3repE0EEENS1_30default_config_static_selectorELNS0_4arch9wavefront6targetE1EEEvT1_.kd
    .uniform_work_group_size: 1
    .uses_dynamic_stack: false
    .vgpr_count:     14
    .vgpr_spill_count: 0
    .wavefront_size: 64
  - .agpr_count:     0
    .args:
      - .offset:         0
        .size:           56
        .value_kind:     by_value
    .group_segment_fixed_size: 0
    .kernarg_segment_align: 8
    .kernarg_segment_size: 56
    .language:       OpenCL C
    .language_version:
      - 2
      - 0
    .max_flat_workgroup_size: 512
    .name:           _ZN7rocprim17ROCPRIM_400000_NS6detail17trampoline_kernelINS0_14default_configENS1_35adjacent_difference_config_selectorILb1EdEEZNS1_24adjacent_difference_implIS3_Lb1ELb0EPdS7_N6thrust23THRUST_200600_302600_NS5minusIdEEEE10hipError_tPvRmT2_T3_mT4_P12ihipStream_tbEUlT_E_NS1_11comp_targetILNS1_3genE3ELNS1_11target_archE908ELNS1_3gpuE7ELNS1_3repE0EEENS1_30default_config_static_selectorELNS0_4arch9wavefront6targetE1EEEvT1_
    .private_segment_fixed_size: 0
    .sgpr_count:     4
    .sgpr_spill_count: 0
    .symbol:         _ZN7rocprim17ROCPRIM_400000_NS6detail17trampoline_kernelINS0_14default_configENS1_35adjacent_difference_config_selectorILb1EdEEZNS1_24adjacent_difference_implIS3_Lb1ELb0EPdS7_N6thrust23THRUST_200600_302600_NS5minusIdEEEE10hipError_tPvRmT2_T3_mT4_P12ihipStream_tbEUlT_E_NS1_11comp_targetILNS1_3genE3ELNS1_11target_archE908ELNS1_3gpuE7ELNS1_3repE0EEENS1_30default_config_static_selectorELNS0_4arch9wavefront6targetE1EEEvT1_.kd
    .uniform_work_group_size: 1
    .uses_dynamic_stack: false
    .vgpr_count:     0
    .vgpr_spill_count: 0
    .wavefront_size: 64
  - .agpr_count:     0
    .args:
      - .offset:         0
        .size:           56
        .value_kind:     by_value
    .group_segment_fixed_size: 0
    .kernarg_segment_align: 8
    .kernarg_segment_size: 56
    .language:       OpenCL C
    .language_version:
      - 2
      - 0
    .max_flat_workgroup_size: 128
    .name:           _ZN7rocprim17ROCPRIM_400000_NS6detail17trampoline_kernelINS0_14default_configENS1_35adjacent_difference_config_selectorILb1EdEEZNS1_24adjacent_difference_implIS3_Lb1ELb0EPdS7_N6thrust23THRUST_200600_302600_NS5minusIdEEEE10hipError_tPvRmT2_T3_mT4_P12ihipStream_tbEUlT_E_NS1_11comp_targetILNS1_3genE2ELNS1_11target_archE906ELNS1_3gpuE6ELNS1_3repE0EEENS1_30default_config_static_selectorELNS0_4arch9wavefront6targetE1EEEvT1_
    .private_segment_fixed_size: 0
    .sgpr_count:     4
    .sgpr_spill_count: 0
    .symbol:         _ZN7rocprim17ROCPRIM_400000_NS6detail17trampoline_kernelINS0_14default_configENS1_35adjacent_difference_config_selectorILb1EdEEZNS1_24adjacent_difference_implIS3_Lb1ELb0EPdS7_N6thrust23THRUST_200600_302600_NS5minusIdEEEE10hipError_tPvRmT2_T3_mT4_P12ihipStream_tbEUlT_E_NS1_11comp_targetILNS1_3genE2ELNS1_11target_archE906ELNS1_3gpuE6ELNS1_3repE0EEENS1_30default_config_static_selectorELNS0_4arch9wavefront6targetE1EEEvT1_.kd
    .uniform_work_group_size: 1
    .uses_dynamic_stack: false
    .vgpr_count:     0
    .vgpr_spill_count: 0
    .wavefront_size: 64
  - .agpr_count:     0
    .args:
      - .offset:         0
        .size:           56
        .value_kind:     by_value
    .group_segment_fixed_size: 0
    .kernarg_segment_align: 8
    .kernarg_segment_size: 56
    .language:       OpenCL C
    .language_version:
      - 2
      - 0
    .max_flat_workgroup_size: 128
    .name:           _ZN7rocprim17ROCPRIM_400000_NS6detail17trampoline_kernelINS0_14default_configENS1_35adjacent_difference_config_selectorILb1EdEEZNS1_24adjacent_difference_implIS3_Lb1ELb0EPdS7_N6thrust23THRUST_200600_302600_NS5minusIdEEEE10hipError_tPvRmT2_T3_mT4_P12ihipStream_tbEUlT_E_NS1_11comp_targetILNS1_3genE9ELNS1_11target_archE1100ELNS1_3gpuE3ELNS1_3repE0EEENS1_30default_config_static_selectorELNS0_4arch9wavefront6targetE1EEEvT1_
    .private_segment_fixed_size: 0
    .sgpr_count:     4
    .sgpr_spill_count: 0
    .symbol:         _ZN7rocprim17ROCPRIM_400000_NS6detail17trampoline_kernelINS0_14default_configENS1_35adjacent_difference_config_selectorILb1EdEEZNS1_24adjacent_difference_implIS3_Lb1ELb0EPdS7_N6thrust23THRUST_200600_302600_NS5minusIdEEEE10hipError_tPvRmT2_T3_mT4_P12ihipStream_tbEUlT_E_NS1_11comp_targetILNS1_3genE9ELNS1_11target_archE1100ELNS1_3gpuE3ELNS1_3repE0EEENS1_30default_config_static_selectorELNS0_4arch9wavefront6targetE1EEEvT1_.kd
    .uniform_work_group_size: 1
    .uses_dynamic_stack: false
    .vgpr_count:     0
    .vgpr_spill_count: 0
    .wavefront_size: 64
  - .agpr_count:     0
    .args:
      - .offset:         0
        .size:           56
        .value_kind:     by_value
    .group_segment_fixed_size: 0
    .kernarg_segment_align: 8
    .kernarg_segment_size: 56
    .language:       OpenCL C
    .language_version:
      - 2
      - 0
    .max_flat_workgroup_size: 32
    .name:           _ZN7rocprim17ROCPRIM_400000_NS6detail17trampoline_kernelINS0_14default_configENS1_35adjacent_difference_config_selectorILb1EdEEZNS1_24adjacent_difference_implIS3_Lb1ELb0EPdS7_N6thrust23THRUST_200600_302600_NS5minusIdEEEE10hipError_tPvRmT2_T3_mT4_P12ihipStream_tbEUlT_E_NS1_11comp_targetILNS1_3genE8ELNS1_11target_archE1030ELNS1_3gpuE2ELNS1_3repE0EEENS1_30default_config_static_selectorELNS0_4arch9wavefront6targetE1EEEvT1_
    .private_segment_fixed_size: 0
    .sgpr_count:     4
    .sgpr_spill_count: 0
    .symbol:         _ZN7rocprim17ROCPRIM_400000_NS6detail17trampoline_kernelINS0_14default_configENS1_35adjacent_difference_config_selectorILb1EdEEZNS1_24adjacent_difference_implIS3_Lb1ELb0EPdS7_N6thrust23THRUST_200600_302600_NS5minusIdEEEE10hipError_tPvRmT2_T3_mT4_P12ihipStream_tbEUlT_E_NS1_11comp_targetILNS1_3genE8ELNS1_11target_archE1030ELNS1_3gpuE2ELNS1_3repE0EEENS1_30default_config_static_selectorELNS0_4arch9wavefront6targetE1EEEvT1_.kd
    .uniform_work_group_size: 1
    .uses_dynamic_stack: false
    .vgpr_count:     0
    .vgpr_spill_count: 0
    .wavefront_size: 64
  - .agpr_count:     0
    .args:
      - .offset:         0
        .size:           56
        .value_kind:     by_value
    .group_segment_fixed_size: 0
    .kernarg_segment_align: 8
    .kernarg_segment_size: 56
    .language:       OpenCL C
    .language_version:
      - 2
      - 0
    .max_flat_workgroup_size: 128
    .name:           _ZN7rocprim17ROCPRIM_400000_NS6detail17trampoline_kernelINS0_14default_configENS1_35adjacent_difference_config_selectorILb0EdEEZNS1_24adjacent_difference_implIS3_Lb0ELb0EPdS7_N6thrust23THRUST_200600_302600_NS4plusIdEEEE10hipError_tPvRmT2_T3_mT4_P12ihipStream_tbEUlT_E_NS1_11comp_targetILNS1_3genE0ELNS1_11target_archE4294967295ELNS1_3gpuE0ELNS1_3repE0EEENS1_30default_config_static_selectorELNS0_4arch9wavefront6targetE1EEEvT1_
    .private_segment_fixed_size: 0
    .sgpr_count:     4
    .sgpr_spill_count: 0
    .symbol:         _ZN7rocprim17ROCPRIM_400000_NS6detail17trampoline_kernelINS0_14default_configENS1_35adjacent_difference_config_selectorILb0EdEEZNS1_24adjacent_difference_implIS3_Lb0ELb0EPdS7_N6thrust23THRUST_200600_302600_NS4plusIdEEEE10hipError_tPvRmT2_T3_mT4_P12ihipStream_tbEUlT_E_NS1_11comp_targetILNS1_3genE0ELNS1_11target_archE4294967295ELNS1_3gpuE0ELNS1_3repE0EEENS1_30default_config_static_selectorELNS0_4arch9wavefront6targetE1EEEvT1_.kd
    .uniform_work_group_size: 1
    .uses_dynamic_stack: false
    .vgpr_count:     0
    .vgpr_spill_count: 0
    .wavefront_size: 64
  - .agpr_count:     0
    .args:
      - .offset:         0
        .size:           56
        .value_kind:     by_value
    .group_segment_fixed_size: 0
    .kernarg_segment_align: 8
    .kernarg_segment_size: 56
    .language:       OpenCL C
    .language_version:
      - 2
      - 0
    .max_flat_workgroup_size: 32
    .name:           _ZN7rocprim17ROCPRIM_400000_NS6detail17trampoline_kernelINS0_14default_configENS1_35adjacent_difference_config_selectorILb0EdEEZNS1_24adjacent_difference_implIS3_Lb0ELb0EPdS7_N6thrust23THRUST_200600_302600_NS4plusIdEEEE10hipError_tPvRmT2_T3_mT4_P12ihipStream_tbEUlT_E_NS1_11comp_targetILNS1_3genE10ELNS1_11target_archE1201ELNS1_3gpuE5ELNS1_3repE0EEENS1_30default_config_static_selectorELNS0_4arch9wavefront6targetE1EEEvT1_
    .private_segment_fixed_size: 0
    .sgpr_count:     4
    .sgpr_spill_count: 0
    .symbol:         _ZN7rocprim17ROCPRIM_400000_NS6detail17trampoline_kernelINS0_14default_configENS1_35adjacent_difference_config_selectorILb0EdEEZNS1_24adjacent_difference_implIS3_Lb0ELb0EPdS7_N6thrust23THRUST_200600_302600_NS4plusIdEEEE10hipError_tPvRmT2_T3_mT4_P12ihipStream_tbEUlT_E_NS1_11comp_targetILNS1_3genE10ELNS1_11target_archE1201ELNS1_3gpuE5ELNS1_3repE0EEENS1_30default_config_static_selectorELNS0_4arch9wavefront6targetE1EEEvT1_.kd
    .uniform_work_group_size: 1
    .uses_dynamic_stack: false
    .vgpr_count:     0
    .vgpr_spill_count: 0
    .wavefront_size: 64
  - .agpr_count:     0
    .args:
      - .offset:         0
        .size:           56
        .value_kind:     by_value
    .group_segment_fixed_size: 0
    .kernarg_segment_align: 8
    .kernarg_segment_size: 56
    .language:       OpenCL C
    .language_version:
      - 2
      - 0
    .max_flat_workgroup_size: 64
    .name:           _ZN7rocprim17ROCPRIM_400000_NS6detail17trampoline_kernelINS0_14default_configENS1_35adjacent_difference_config_selectorILb0EdEEZNS1_24adjacent_difference_implIS3_Lb0ELb0EPdS7_N6thrust23THRUST_200600_302600_NS4plusIdEEEE10hipError_tPvRmT2_T3_mT4_P12ihipStream_tbEUlT_E_NS1_11comp_targetILNS1_3genE5ELNS1_11target_archE942ELNS1_3gpuE9ELNS1_3repE0EEENS1_30default_config_static_selectorELNS0_4arch9wavefront6targetE1EEEvT1_
    .private_segment_fixed_size: 0
    .sgpr_count:     4
    .sgpr_spill_count: 0
    .symbol:         _ZN7rocprim17ROCPRIM_400000_NS6detail17trampoline_kernelINS0_14default_configENS1_35adjacent_difference_config_selectorILb0EdEEZNS1_24adjacent_difference_implIS3_Lb0ELb0EPdS7_N6thrust23THRUST_200600_302600_NS4plusIdEEEE10hipError_tPvRmT2_T3_mT4_P12ihipStream_tbEUlT_E_NS1_11comp_targetILNS1_3genE5ELNS1_11target_archE942ELNS1_3gpuE9ELNS1_3repE0EEENS1_30default_config_static_selectorELNS0_4arch9wavefront6targetE1EEEvT1_.kd
    .uniform_work_group_size: 1
    .uses_dynamic_stack: false
    .vgpr_count:     0
    .vgpr_spill_count: 0
    .wavefront_size: 64
  - .agpr_count:     0
    .args:
      - .offset:         0
        .size:           56
        .value_kind:     by_value
    .group_segment_fixed_size: 4224
    .kernarg_segment_align: 8
    .kernarg_segment_size: 56
    .language:       OpenCL C
    .language_version:
      - 2
      - 0
    .max_flat_workgroup_size: 256
    .name:           _ZN7rocprim17ROCPRIM_400000_NS6detail17trampoline_kernelINS0_14default_configENS1_35adjacent_difference_config_selectorILb0EdEEZNS1_24adjacent_difference_implIS3_Lb0ELb0EPdS7_N6thrust23THRUST_200600_302600_NS4plusIdEEEE10hipError_tPvRmT2_T3_mT4_P12ihipStream_tbEUlT_E_NS1_11comp_targetILNS1_3genE4ELNS1_11target_archE910ELNS1_3gpuE8ELNS1_3repE0EEENS1_30default_config_static_selectorELNS0_4arch9wavefront6targetE1EEEvT1_
    .private_segment_fixed_size: 0
    .sgpr_count:     26
    .sgpr_spill_count: 0
    .symbol:         _ZN7rocprim17ROCPRIM_400000_NS6detail17trampoline_kernelINS0_14default_configENS1_35adjacent_difference_config_selectorILb0EdEEZNS1_24adjacent_difference_implIS3_Lb0ELb0EPdS7_N6thrust23THRUST_200600_302600_NS4plusIdEEEE10hipError_tPvRmT2_T3_mT4_P12ihipStream_tbEUlT_E_NS1_11comp_targetILNS1_3genE4ELNS1_11target_archE910ELNS1_3gpuE8ELNS1_3repE0EEENS1_30default_config_static_selectorELNS0_4arch9wavefront6targetE1EEEvT1_.kd
    .uniform_work_group_size: 1
    .uses_dynamic_stack: false
    .vgpr_count:     14
    .vgpr_spill_count: 0
    .wavefront_size: 64
  - .agpr_count:     0
    .args:
      - .offset:         0
        .size:           56
        .value_kind:     by_value
    .group_segment_fixed_size: 0
    .kernarg_segment_align: 8
    .kernarg_segment_size: 56
    .language:       OpenCL C
    .language_version:
      - 2
      - 0
    .max_flat_workgroup_size: 128
    .name:           _ZN7rocprim17ROCPRIM_400000_NS6detail17trampoline_kernelINS0_14default_configENS1_35adjacent_difference_config_selectorILb0EdEEZNS1_24adjacent_difference_implIS3_Lb0ELb0EPdS7_N6thrust23THRUST_200600_302600_NS4plusIdEEEE10hipError_tPvRmT2_T3_mT4_P12ihipStream_tbEUlT_E_NS1_11comp_targetILNS1_3genE3ELNS1_11target_archE908ELNS1_3gpuE7ELNS1_3repE0EEENS1_30default_config_static_selectorELNS0_4arch9wavefront6targetE1EEEvT1_
    .private_segment_fixed_size: 0
    .sgpr_count:     4
    .sgpr_spill_count: 0
    .symbol:         _ZN7rocprim17ROCPRIM_400000_NS6detail17trampoline_kernelINS0_14default_configENS1_35adjacent_difference_config_selectorILb0EdEEZNS1_24adjacent_difference_implIS3_Lb0ELb0EPdS7_N6thrust23THRUST_200600_302600_NS4plusIdEEEE10hipError_tPvRmT2_T3_mT4_P12ihipStream_tbEUlT_E_NS1_11comp_targetILNS1_3genE3ELNS1_11target_archE908ELNS1_3gpuE7ELNS1_3repE0EEENS1_30default_config_static_selectorELNS0_4arch9wavefront6targetE1EEEvT1_.kd
    .uniform_work_group_size: 1
    .uses_dynamic_stack: false
    .vgpr_count:     0
    .vgpr_spill_count: 0
    .wavefront_size: 64
  - .agpr_count:     0
    .args:
      - .offset:         0
        .size:           56
        .value_kind:     by_value
    .group_segment_fixed_size: 0
    .kernarg_segment_align: 8
    .kernarg_segment_size: 56
    .language:       OpenCL C
    .language_version:
      - 2
      - 0
    .max_flat_workgroup_size: 1024
    .name:           _ZN7rocprim17ROCPRIM_400000_NS6detail17trampoline_kernelINS0_14default_configENS1_35adjacent_difference_config_selectorILb0EdEEZNS1_24adjacent_difference_implIS3_Lb0ELb0EPdS7_N6thrust23THRUST_200600_302600_NS4plusIdEEEE10hipError_tPvRmT2_T3_mT4_P12ihipStream_tbEUlT_E_NS1_11comp_targetILNS1_3genE2ELNS1_11target_archE906ELNS1_3gpuE6ELNS1_3repE0EEENS1_30default_config_static_selectorELNS0_4arch9wavefront6targetE1EEEvT1_
    .private_segment_fixed_size: 0
    .sgpr_count:     4
    .sgpr_spill_count: 0
    .symbol:         _ZN7rocprim17ROCPRIM_400000_NS6detail17trampoline_kernelINS0_14default_configENS1_35adjacent_difference_config_selectorILb0EdEEZNS1_24adjacent_difference_implIS3_Lb0ELb0EPdS7_N6thrust23THRUST_200600_302600_NS4plusIdEEEE10hipError_tPvRmT2_T3_mT4_P12ihipStream_tbEUlT_E_NS1_11comp_targetILNS1_3genE2ELNS1_11target_archE906ELNS1_3gpuE6ELNS1_3repE0EEENS1_30default_config_static_selectorELNS0_4arch9wavefront6targetE1EEEvT1_.kd
    .uniform_work_group_size: 1
    .uses_dynamic_stack: false
    .vgpr_count:     0
    .vgpr_spill_count: 0
    .wavefront_size: 64
  - .agpr_count:     0
    .args:
      - .offset:         0
        .size:           56
        .value_kind:     by_value
    .group_segment_fixed_size: 0
    .kernarg_segment_align: 8
    .kernarg_segment_size: 56
    .language:       OpenCL C
    .language_version:
      - 2
      - 0
    .max_flat_workgroup_size: 1024
    .name:           _ZN7rocprim17ROCPRIM_400000_NS6detail17trampoline_kernelINS0_14default_configENS1_35adjacent_difference_config_selectorILb0EdEEZNS1_24adjacent_difference_implIS3_Lb0ELb0EPdS7_N6thrust23THRUST_200600_302600_NS4plusIdEEEE10hipError_tPvRmT2_T3_mT4_P12ihipStream_tbEUlT_E_NS1_11comp_targetILNS1_3genE9ELNS1_11target_archE1100ELNS1_3gpuE3ELNS1_3repE0EEENS1_30default_config_static_selectorELNS0_4arch9wavefront6targetE1EEEvT1_
    .private_segment_fixed_size: 0
    .sgpr_count:     4
    .sgpr_spill_count: 0
    .symbol:         _ZN7rocprim17ROCPRIM_400000_NS6detail17trampoline_kernelINS0_14default_configENS1_35adjacent_difference_config_selectorILb0EdEEZNS1_24adjacent_difference_implIS3_Lb0ELb0EPdS7_N6thrust23THRUST_200600_302600_NS4plusIdEEEE10hipError_tPvRmT2_T3_mT4_P12ihipStream_tbEUlT_E_NS1_11comp_targetILNS1_3genE9ELNS1_11target_archE1100ELNS1_3gpuE3ELNS1_3repE0EEENS1_30default_config_static_selectorELNS0_4arch9wavefront6targetE1EEEvT1_.kd
    .uniform_work_group_size: 1
    .uses_dynamic_stack: false
    .vgpr_count:     0
    .vgpr_spill_count: 0
    .wavefront_size: 64
  - .agpr_count:     0
    .args:
      - .offset:         0
        .size:           56
        .value_kind:     by_value
    .group_segment_fixed_size: 0
    .kernarg_segment_align: 8
    .kernarg_segment_size: 56
    .language:       OpenCL C
    .language_version:
      - 2
      - 0
    .max_flat_workgroup_size: 1024
    .name:           _ZN7rocprim17ROCPRIM_400000_NS6detail17trampoline_kernelINS0_14default_configENS1_35adjacent_difference_config_selectorILb0EdEEZNS1_24adjacent_difference_implIS3_Lb0ELb0EPdS7_N6thrust23THRUST_200600_302600_NS4plusIdEEEE10hipError_tPvRmT2_T3_mT4_P12ihipStream_tbEUlT_E_NS1_11comp_targetILNS1_3genE8ELNS1_11target_archE1030ELNS1_3gpuE2ELNS1_3repE0EEENS1_30default_config_static_selectorELNS0_4arch9wavefront6targetE1EEEvT1_
    .private_segment_fixed_size: 0
    .sgpr_count:     4
    .sgpr_spill_count: 0
    .symbol:         _ZN7rocprim17ROCPRIM_400000_NS6detail17trampoline_kernelINS0_14default_configENS1_35adjacent_difference_config_selectorILb0EdEEZNS1_24adjacent_difference_implIS3_Lb0ELb0EPdS7_N6thrust23THRUST_200600_302600_NS4plusIdEEEE10hipError_tPvRmT2_T3_mT4_P12ihipStream_tbEUlT_E_NS1_11comp_targetILNS1_3genE8ELNS1_11target_archE1030ELNS1_3gpuE2ELNS1_3repE0EEENS1_30default_config_static_selectorELNS0_4arch9wavefront6targetE1EEEvT1_.kd
    .uniform_work_group_size: 1
    .uses_dynamic_stack: false
    .vgpr_count:     0
    .vgpr_spill_count: 0
    .wavefront_size: 64
  - .agpr_count:     0
    .args:
      - .offset:         0
        .size:           56
        .value_kind:     by_value
    .group_segment_fixed_size: 0
    .kernarg_segment_align: 8
    .kernarg_segment_size: 56
    .language:       OpenCL C
    .language_version:
      - 2
      - 0
    .max_flat_workgroup_size: 128
    .name:           _ZN7rocprim17ROCPRIM_400000_NS6detail17trampoline_kernelINS0_14default_configENS1_25transform_config_selectorIdLb0EEEZNS1_14transform_implILb0ES3_S5_NS0_18transform_iteratorINS0_17counting_iteratorImlEEZNS1_24adjacent_difference_implIS3_Lb1ELb0EPdSB_N6thrust23THRUST_200600_302600_NS4plusIdEEEE10hipError_tPvRmT2_T3_mT4_P12ihipStream_tbEUlmE_dEESB_NS0_8identityIvEEEESG_SJ_SK_mSL_SN_bEUlT_E_NS1_11comp_targetILNS1_3genE0ELNS1_11target_archE4294967295ELNS1_3gpuE0ELNS1_3repE0EEENS1_30default_config_static_selectorELNS0_4arch9wavefront6targetE1EEEvT1_
    .private_segment_fixed_size: 0
    .sgpr_count:     4
    .sgpr_spill_count: 0
    .symbol:         _ZN7rocprim17ROCPRIM_400000_NS6detail17trampoline_kernelINS0_14default_configENS1_25transform_config_selectorIdLb0EEEZNS1_14transform_implILb0ES3_S5_NS0_18transform_iteratorINS0_17counting_iteratorImlEEZNS1_24adjacent_difference_implIS3_Lb1ELb0EPdSB_N6thrust23THRUST_200600_302600_NS4plusIdEEEE10hipError_tPvRmT2_T3_mT4_P12ihipStream_tbEUlmE_dEESB_NS0_8identityIvEEEESG_SJ_SK_mSL_SN_bEUlT_E_NS1_11comp_targetILNS1_3genE0ELNS1_11target_archE4294967295ELNS1_3gpuE0ELNS1_3repE0EEENS1_30default_config_static_selectorELNS0_4arch9wavefront6targetE1EEEvT1_.kd
    .uniform_work_group_size: 1
    .uses_dynamic_stack: false
    .vgpr_count:     0
    .vgpr_spill_count: 0
    .wavefront_size: 64
  - .agpr_count:     0
    .args:
      - .offset:         0
        .size:           56
        .value_kind:     by_value
    .group_segment_fixed_size: 0
    .kernarg_segment_align: 8
    .kernarg_segment_size: 56
    .language:       OpenCL C
    .language_version:
      - 2
      - 0
    .max_flat_workgroup_size: 512
    .name:           _ZN7rocprim17ROCPRIM_400000_NS6detail17trampoline_kernelINS0_14default_configENS1_25transform_config_selectorIdLb0EEEZNS1_14transform_implILb0ES3_S5_NS0_18transform_iteratorINS0_17counting_iteratorImlEEZNS1_24adjacent_difference_implIS3_Lb1ELb0EPdSB_N6thrust23THRUST_200600_302600_NS4plusIdEEEE10hipError_tPvRmT2_T3_mT4_P12ihipStream_tbEUlmE_dEESB_NS0_8identityIvEEEESG_SJ_SK_mSL_SN_bEUlT_E_NS1_11comp_targetILNS1_3genE5ELNS1_11target_archE942ELNS1_3gpuE9ELNS1_3repE0EEENS1_30default_config_static_selectorELNS0_4arch9wavefront6targetE1EEEvT1_
    .private_segment_fixed_size: 0
    .sgpr_count:     4
    .sgpr_spill_count: 0
    .symbol:         _ZN7rocprim17ROCPRIM_400000_NS6detail17trampoline_kernelINS0_14default_configENS1_25transform_config_selectorIdLb0EEEZNS1_14transform_implILb0ES3_S5_NS0_18transform_iteratorINS0_17counting_iteratorImlEEZNS1_24adjacent_difference_implIS3_Lb1ELb0EPdSB_N6thrust23THRUST_200600_302600_NS4plusIdEEEE10hipError_tPvRmT2_T3_mT4_P12ihipStream_tbEUlmE_dEESB_NS0_8identityIvEEEESG_SJ_SK_mSL_SN_bEUlT_E_NS1_11comp_targetILNS1_3genE5ELNS1_11target_archE942ELNS1_3gpuE9ELNS1_3repE0EEENS1_30default_config_static_selectorELNS0_4arch9wavefront6targetE1EEEvT1_.kd
    .uniform_work_group_size: 1
    .uses_dynamic_stack: false
    .vgpr_count:     0
    .vgpr_spill_count: 0
    .wavefront_size: 64
  - .agpr_count:     0
    .args:
      - .offset:         0
        .size:           56
        .value_kind:     by_value
      - .offset:         56
        .size:           4
        .value_kind:     hidden_block_count_x
      - .offset:         60
        .size:           4
        .value_kind:     hidden_block_count_y
      - .offset:         64
        .size:           4
        .value_kind:     hidden_block_count_z
      - .offset:         68
        .size:           2
        .value_kind:     hidden_group_size_x
      - .offset:         70
        .size:           2
        .value_kind:     hidden_group_size_y
      - .offset:         72
        .size:           2
        .value_kind:     hidden_group_size_z
      - .offset:         74
        .size:           2
        .value_kind:     hidden_remainder_x
      - .offset:         76
        .size:           2
        .value_kind:     hidden_remainder_y
      - .offset:         78
        .size:           2
        .value_kind:     hidden_remainder_z
      - .offset:         96
        .size:           8
        .value_kind:     hidden_global_offset_x
      - .offset:         104
        .size:           8
        .value_kind:     hidden_global_offset_y
      - .offset:         112
        .size:           8
        .value_kind:     hidden_global_offset_z
      - .offset:         120
        .size:           2
        .value_kind:     hidden_grid_dims
    .group_segment_fixed_size: 0
    .kernarg_segment_align: 8
    .kernarg_segment_size: 312
    .language:       OpenCL C
    .language_version:
      - 2
      - 0
    .max_flat_workgroup_size: 256
    .name:           _ZN7rocprim17ROCPRIM_400000_NS6detail17trampoline_kernelINS0_14default_configENS1_25transform_config_selectorIdLb0EEEZNS1_14transform_implILb0ES3_S5_NS0_18transform_iteratorINS0_17counting_iteratorImlEEZNS1_24adjacent_difference_implIS3_Lb1ELb0EPdSB_N6thrust23THRUST_200600_302600_NS4plusIdEEEE10hipError_tPvRmT2_T3_mT4_P12ihipStream_tbEUlmE_dEESB_NS0_8identityIvEEEESG_SJ_SK_mSL_SN_bEUlT_E_NS1_11comp_targetILNS1_3genE4ELNS1_11target_archE910ELNS1_3gpuE8ELNS1_3repE0EEENS1_30default_config_static_selectorELNS0_4arch9wavefront6targetE1EEEvT1_
    .private_segment_fixed_size: 0
    .sgpr_count:     22
    .sgpr_spill_count: 0
    .symbol:         _ZN7rocprim17ROCPRIM_400000_NS6detail17trampoline_kernelINS0_14default_configENS1_25transform_config_selectorIdLb0EEEZNS1_14transform_implILb0ES3_S5_NS0_18transform_iteratorINS0_17counting_iteratorImlEEZNS1_24adjacent_difference_implIS3_Lb1ELb0EPdSB_N6thrust23THRUST_200600_302600_NS4plusIdEEEE10hipError_tPvRmT2_T3_mT4_P12ihipStream_tbEUlmE_dEESB_NS0_8identityIvEEEESG_SJ_SK_mSL_SN_bEUlT_E_NS1_11comp_targetILNS1_3genE4ELNS1_11target_archE910ELNS1_3gpuE8ELNS1_3repE0EEENS1_30default_config_static_selectorELNS0_4arch9wavefront6targetE1EEEvT1_.kd
    .uniform_work_group_size: 1
    .uses_dynamic_stack: false
    .vgpr_count:     10
    .vgpr_spill_count: 0
    .wavefront_size: 64
  - .agpr_count:     0
    .args:
      - .offset:         0
        .size:           56
        .value_kind:     by_value
    .group_segment_fixed_size: 0
    .kernarg_segment_align: 8
    .kernarg_segment_size: 56
    .language:       OpenCL C
    .language_version:
      - 2
      - 0
    .max_flat_workgroup_size: 128
    .name:           _ZN7rocprim17ROCPRIM_400000_NS6detail17trampoline_kernelINS0_14default_configENS1_25transform_config_selectorIdLb0EEEZNS1_14transform_implILb0ES3_S5_NS0_18transform_iteratorINS0_17counting_iteratorImlEEZNS1_24adjacent_difference_implIS3_Lb1ELb0EPdSB_N6thrust23THRUST_200600_302600_NS4plusIdEEEE10hipError_tPvRmT2_T3_mT4_P12ihipStream_tbEUlmE_dEESB_NS0_8identityIvEEEESG_SJ_SK_mSL_SN_bEUlT_E_NS1_11comp_targetILNS1_3genE3ELNS1_11target_archE908ELNS1_3gpuE7ELNS1_3repE0EEENS1_30default_config_static_selectorELNS0_4arch9wavefront6targetE1EEEvT1_
    .private_segment_fixed_size: 0
    .sgpr_count:     4
    .sgpr_spill_count: 0
    .symbol:         _ZN7rocprim17ROCPRIM_400000_NS6detail17trampoline_kernelINS0_14default_configENS1_25transform_config_selectorIdLb0EEEZNS1_14transform_implILb0ES3_S5_NS0_18transform_iteratorINS0_17counting_iteratorImlEEZNS1_24adjacent_difference_implIS3_Lb1ELb0EPdSB_N6thrust23THRUST_200600_302600_NS4plusIdEEEE10hipError_tPvRmT2_T3_mT4_P12ihipStream_tbEUlmE_dEESB_NS0_8identityIvEEEESG_SJ_SK_mSL_SN_bEUlT_E_NS1_11comp_targetILNS1_3genE3ELNS1_11target_archE908ELNS1_3gpuE7ELNS1_3repE0EEENS1_30default_config_static_selectorELNS0_4arch9wavefront6targetE1EEEvT1_.kd
    .uniform_work_group_size: 1
    .uses_dynamic_stack: false
    .vgpr_count:     0
    .vgpr_spill_count: 0
    .wavefront_size: 64
  - .agpr_count:     0
    .args:
      - .offset:         0
        .size:           56
        .value_kind:     by_value
    .group_segment_fixed_size: 0
    .kernarg_segment_align: 8
    .kernarg_segment_size: 56
    .language:       OpenCL C
    .language_version:
      - 2
      - 0
    .max_flat_workgroup_size: 1024
    .name:           _ZN7rocprim17ROCPRIM_400000_NS6detail17trampoline_kernelINS0_14default_configENS1_25transform_config_selectorIdLb0EEEZNS1_14transform_implILb0ES3_S5_NS0_18transform_iteratorINS0_17counting_iteratorImlEEZNS1_24adjacent_difference_implIS3_Lb1ELb0EPdSB_N6thrust23THRUST_200600_302600_NS4plusIdEEEE10hipError_tPvRmT2_T3_mT4_P12ihipStream_tbEUlmE_dEESB_NS0_8identityIvEEEESG_SJ_SK_mSL_SN_bEUlT_E_NS1_11comp_targetILNS1_3genE2ELNS1_11target_archE906ELNS1_3gpuE6ELNS1_3repE0EEENS1_30default_config_static_selectorELNS0_4arch9wavefront6targetE1EEEvT1_
    .private_segment_fixed_size: 0
    .sgpr_count:     4
    .sgpr_spill_count: 0
    .symbol:         _ZN7rocprim17ROCPRIM_400000_NS6detail17trampoline_kernelINS0_14default_configENS1_25transform_config_selectorIdLb0EEEZNS1_14transform_implILb0ES3_S5_NS0_18transform_iteratorINS0_17counting_iteratorImlEEZNS1_24adjacent_difference_implIS3_Lb1ELb0EPdSB_N6thrust23THRUST_200600_302600_NS4plusIdEEEE10hipError_tPvRmT2_T3_mT4_P12ihipStream_tbEUlmE_dEESB_NS0_8identityIvEEEESG_SJ_SK_mSL_SN_bEUlT_E_NS1_11comp_targetILNS1_3genE2ELNS1_11target_archE906ELNS1_3gpuE6ELNS1_3repE0EEENS1_30default_config_static_selectorELNS0_4arch9wavefront6targetE1EEEvT1_.kd
    .uniform_work_group_size: 1
    .uses_dynamic_stack: false
    .vgpr_count:     0
    .vgpr_spill_count: 0
    .wavefront_size: 64
  - .agpr_count:     0
    .args:
      - .offset:         0
        .size:           56
        .value_kind:     by_value
    .group_segment_fixed_size: 0
    .kernarg_segment_align: 8
    .kernarg_segment_size: 56
    .language:       OpenCL C
    .language_version:
      - 2
      - 0
    .max_flat_workgroup_size: 64
    .name:           _ZN7rocprim17ROCPRIM_400000_NS6detail17trampoline_kernelINS0_14default_configENS1_25transform_config_selectorIdLb0EEEZNS1_14transform_implILb0ES3_S5_NS0_18transform_iteratorINS0_17counting_iteratorImlEEZNS1_24adjacent_difference_implIS3_Lb1ELb0EPdSB_N6thrust23THRUST_200600_302600_NS4plusIdEEEE10hipError_tPvRmT2_T3_mT4_P12ihipStream_tbEUlmE_dEESB_NS0_8identityIvEEEESG_SJ_SK_mSL_SN_bEUlT_E_NS1_11comp_targetILNS1_3genE10ELNS1_11target_archE1201ELNS1_3gpuE5ELNS1_3repE0EEENS1_30default_config_static_selectorELNS0_4arch9wavefront6targetE1EEEvT1_
    .private_segment_fixed_size: 0
    .sgpr_count:     4
    .sgpr_spill_count: 0
    .symbol:         _ZN7rocprim17ROCPRIM_400000_NS6detail17trampoline_kernelINS0_14default_configENS1_25transform_config_selectorIdLb0EEEZNS1_14transform_implILb0ES3_S5_NS0_18transform_iteratorINS0_17counting_iteratorImlEEZNS1_24adjacent_difference_implIS3_Lb1ELb0EPdSB_N6thrust23THRUST_200600_302600_NS4plusIdEEEE10hipError_tPvRmT2_T3_mT4_P12ihipStream_tbEUlmE_dEESB_NS0_8identityIvEEEESG_SJ_SK_mSL_SN_bEUlT_E_NS1_11comp_targetILNS1_3genE10ELNS1_11target_archE1201ELNS1_3gpuE5ELNS1_3repE0EEENS1_30default_config_static_selectorELNS0_4arch9wavefront6targetE1EEEvT1_.kd
    .uniform_work_group_size: 1
    .uses_dynamic_stack: false
    .vgpr_count:     0
    .vgpr_spill_count: 0
    .wavefront_size: 64
  - .agpr_count:     0
    .args:
      - .offset:         0
        .size:           56
        .value_kind:     by_value
    .group_segment_fixed_size: 0
    .kernarg_segment_align: 8
    .kernarg_segment_size: 56
    .language:       OpenCL C
    .language_version:
      - 2
      - 0
    .max_flat_workgroup_size: 512
    .name:           _ZN7rocprim17ROCPRIM_400000_NS6detail17trampoline_kernelINS0_14default_configENS1_25transform_config_selectorIdLb0EEEZNS1_14transform_implILb0ES3_S5_NS0_18transform_iteratorINS0_17counting_iteratorImlEEZNS1_24adjacent_difference_implIS3_Lb1ELb0EPdSB_N6thrust23THRUST_200600_302600_NS4plusIdEEEE10hipError_tPvRmT2_T3_mT4_P12ihipStream_tbEUlmE_dEESB_NS0_8identityIvEEEESG_SJ_SK_mSL_SN_bEUlT_E_NS1_11comp_targetILNS1_3genE10ELNS1_11target_archE1200ELNS1_3gpuE4ELNS1_3repE0EEENS1_30default_config_static_selectorELNS0_4arch9wavefront6targetE1EEEvT1_
    .private_segment_fixed_size: 0
    .sgpr_count:     4
    .sgpr_spill_count: 0
    .symbol:         _ZN7rocprim17ROCPRIM_400000_NS6detail17trampoline_kernelINS0_14default_configENS1_25transform_config_selectorIdLb0EEEZNS1_14transform_implILb0ES3_S5_NS0_18transform_iteratorINS0_17counting_iteratorImlEEZNS1_24adjacent_difference_implIS3_Lb1ELb0EPdSB_N6thrust23THRUST_200600_302600_NS4plusIdEEEE10hipError_tPvRmT2_T3_mT4_P12ihipStream_tbEUlmE_dEESB_NS0_8identityIvEEEESG_SJ_SK_mSL_SN_bEUlT_E_NS1_11comp_targetILNS1_3genE10ELNS1_11target_archE1200ELNS1_3gpuE4ELNS1_3repE0EEENS1_30default_config_static_selectorELNS0_4arch9wavefront6targetE1EEEvT1_.kd
    .uniform_work_group_size: 1
    .uses_dynamic_stack: false
    .vgpr_count:     0
    .vgpr_spill_count: 0
    .wavefront_size: 64
  - .agpr_count:     0
    .args:
      - .offset:         0
        .size:           56
        .value_kind:     by_value
    .group_segment_fixed_size: 0
    .kernarg_segment_align: 8
    .kernarg_segment_size: 56
    .language:       OpenCL C
    .language_version:
      - 2
      - 0
    .max_flat_workgroup_size: 512
    .name:           _ZN7rocprim17ROCPRIM_400000_NS6detail17trampoline_kernelINS0_14default_configENS1_25transform_config_selectorIdLb0EEEZNS1_14transform_implILb0ES3_S5_NS0_18transform_iteratorINS0_17counting_iteratorImlEEZNS1_24adjacent_difference_implIS3_Lb1ELb0EPdSB_N6thrust23THRUST_200600_302600_NS4plusIdEEEE10hipError_tPvRmT2_T3_mT4_P12ihipStream_tbEUlmE_dEESB_NS0_8identityIvEEEESG_SJ_SK_mSL_SN_bEUlT_E_NS1_11comp_targetILNS1_3genE9ELNS1_11target_archE1100ELNS1_3gpuE3ELNS1_3repE0EEENS1_30default_config_static_selectorELNS0_4arch9wavefront6targetE1EEEvT1_
    .private_segment_fixed_size: 0
    .sgpr_count:     4
    .sgpr_spill_count: 0
    .symbol:         _ZN7rocprim17ROCPRIM_400000_NS6detail17trampoline_kernelINS0_14default_configENS1_25transform_config_selectorIdLb0EEEZNS1_14transform_implILb0ES3_S5_NS0_18transform_iteratorINS0_17counting_iteratorImlEEZNS1_24adjacent_difference_implIS3_Lb1ELb0EPdSB_N6thrust23THRUST_200600_302600_NS4plusIdEEEE10hipError_tPvRmT2_T3_mT4_P12ihipStream_tbEUlmE_dEESB_NS0_8identityIvEEEESG_SJ_SK_mSL_SN_bEUlT_E_NS1_11comp_targetILNS1_3genE9ELNS1_11target_archE1100ELNS1_3gpuE3ELNS1_3repE0EEENS1_30default_config_static_selectorELNS0_4arch9wavefront6targetE1EEEvT1_.kd
    .uniform_work_group_size: 1
    .uses_dynamic_stack: false
    .vgpr_count:     0
    .vgpr_spill_count: 0
    .wavefront_size: 64
  - .agpr_count:     0
    .args:
      - .offset:         0
        .size:           56
        .value_kind:     by_value
    .group_segment_fixed_size: 0
    .kernarg_segment_align: 8
    .kernarg_segment_size: 56
    .language:       OpenCL C
    .language_version:
      - 2
      - 0
    .max_flat_workgroup_size: 512
    .name:           _ZN7rocprim17ROCPRIM_400000_NS6detail17trampoline_kernelINS0_14default_configENS1_25transform_config_selectorIdLb0EEEZNS1_14transform_implILb0ES3_S5_NS0_18transform_iteratorINS0_17counting_iteratorImlEEZNS1_24adjacent_difference_implIS3_Lb1ELb0EPdSB_N6thrust23THRUST_200600_302600_NS4plusIdEEEE10hipError_tPvRmT2_T3_mT4_P12ihipStream_tbEUlmE_dEESB_NS0_8identityIvEEEESG_SJ_SK_mSL_SN_bEUlT_E_NS1_11comp_targetILNS1_3genE8ELNS1_11target_archE1030ELNS1_3gpuE2ELNS1_3repE0EEENS1_30default_config_static_selectorELNS0_4arch9wavefront6targetE1EEEvT1_
    .private_segment_fixed_size: 0
    .sgpr_count:     4
    .sgpr_spill_count: 0
    .symbol:         _ZN7rocprim17ROCPRIM_400000_NS6detail17trampoline_kernelINS0_14default_configENS1_25transform_config_selectorIdLb0EEEZNS1_14transform_implILb0ES3_S5_NS0_18transform_iteratorINS0_17counting_iteratorImlEEZNS1_24adjacent_difference_implIS3_Lb1ELb0EPdSB_N6thrust23THRUST_200600_302600_NS4plusIdEEEE10hipError_tPvRmT2_T3_mT4_P12ihipStream_tbEUlmE_dEESB_NS0_8identityIvEEEESG_SJ_SK_mSL_SN_bEUlT_E_NS1_11comp_targetILNS1_3genE8ELNS1_11target_archE1030ELNS1_3gpuE2ELNS1_3repE0EEENS1_30default_config_static_selectorELNS0_4arch9wavefront6targetE1EEEvT1_.kd
    .uniform_work_group_size: 1
    .uses_dynamic_stack: false
    .vgpr_count:     0
    .vgpr_spill_count: 0
    .wavefront_size: 64
  - .agpr_count:     0
    .args:
      - .offset:         0
        .size:           56
        .value_kind:     by_value
    .group_segment_fixed_size: 0
    .kernarg_segment_align: 8
    .kernarg_segment_size: 56
    .language:       OpenCL C
    .language_version:
      - 2
      - 0
    .max_flat_workgroup_size: 512
    .name:           _ZN7rocprim17ROCPRIM_400000_NS6detail17trampoline_kernelINS0_14default_configENS1_35adjacent_difference_config_selectorILb1EdEEZNS1_24adjacent_difference_implIS3_Lb1ELb0EPdS7_N6thrust23THRUST_200600_302600_NS4plusIdEEEE10hipError_tPvRmT2_T3_mT4_P12ihipStream_tbEUlT_E_NS1_11comp_targetILNS1_3genE0ELNS1_11target_archE4294967295ELNS1_3gpuE0ELNS1_3repE0EEENS1_30default_config_static_selectorELNS0_4arch9wavefront6targetE1EEEvT1_
    .private_segment_fixed_size: 0
    .sgpr_count:     4
    .sgpr_spill_count: 0
    .symbol:         _ZN7rocprim17ROCPRIM_400000_NS6detail17trampoline_kernelINS0_14default_configENS1_35adjacent_difference_config_selectorILb1EdEEZNS1_24adjacent_difference_implIS3_Lb1ELb0EPdS7_N6thrust23THRUST_200600_302600_NS4plusIdEEEE10hipError_tPvRmT2_T3_mT4_P12ihipStream_tbEUlT_E_NS1_11comp_targetILNS1_3genE0ELNS1_11target_archE4294967295ELNS1_3gpuE0ELNS1_3repE0EEENS1_30default_config_static_selectorELNS0_4arch9wavefront6targetE1EEEvT1_.kd
    .uniform_work_group_size: 1
    .uses_dynamic_stack: false
    .vgpr_count:     0
    .vgpr_spill_count: 0
    .wavefront_size: 64
  - .agpr_count:     0
    .args:
      - .offset:         0
        .size:           56
        .value_kind:     by_value
    .group_segment_fixed_size: 0
    .kernarg_segment_align: 8
    .kernarg_segment_size: 56
    .language:       OpenCL C
    .language_version:
      - 2
      - 0
    .max_flat_workgroup_size: 256
    .name:           _ZN7rocprim17ROCPRIM_400000_NS6detail17trampoline_kernelINS0_14default_configENS1_35adjacent_difference_config_selectorILb1EdEEZNS1_24adjacent_difference_implIS3_Lb1ELb0EPdS7_N6thrust23THRUST_200600_302600_NS4plusIdEEEE10hipError_tPvRmT2_T3_mT4_P12ihipStream_tbEUlT_E_NS1_11comp_targetILNS1_3genE10ELNS1_11target_archE1201ELNS1_3gpuE5ELNS1_3repE0EEENS1_30default_config_static_selectorELNS0_4arch9wavefront6targetE1EEEvT1_
    .private_segment_fixed_size: 0
    .sgpr_count:     4
    .sgpr_spill_count: 0
    .symbol:         _ZN7rocprim17ROCPRIM_400000_NS6detail17trampoline_kernelINS0_14default_configENS1_35adjacent_difference_config_selectorILb1EdEEZNS1_24adjacent_difference_implIS3_Lb1ELb0EPdS7_N6thrust23THRUST_200600_302600_NS4plusIdEEEE10hipError_tPvRmT2_T3_mT4_P12ihipStream_tbEUlT_E_NS1_11comp_targetILNS1_3genE10ELNS1_11target_archE1201ELNS1_3gpuE5ELNS1_3repE0EEENS1_30default_config_static_selectorELNS0_4arch9wavefront6targetE1EEEvT1_.kd
    .uniform_work_group_size: 1
    .uses_dynamic_stack: false
    .vgpr_count:     0
    .vgpr_spill_count: 0
    .wavefront_size: 64
  - .agpr_count:     0
    .args:
      - .offset:         0
        .size:           56
        .value_kind:     by_value
    .group_segment_fixed_size: 0
    .kernarg_segment_align: 8
    .kernarg_segment_size: 56
    .language:       OpenCL C
    .language_version:
      - 2
      - 0
    .max_flat_workgroup_size: 128
    .name:           _ZN7rocprim17ROCPRIM_400000_NS6detail17trampoline_kernelINS0_14default_configENS1_35adjacent_difference_config_selectorILb1EdEEZNS1_24adjacent_difference_implIS3_Lb1ELb0EPdS7_N6thrust23THRUST_200600_302600_NS4plusIdEEEE10hipError_tPvRmT2_T3_mT4_P12ihipStream_tbEUlT_E_NS1_11comp_targetILNS1_3genE5ELNS1_11target_archE942ELNS1_3gpuE9ELNS1_3repE0EEENS1_30default_config_static_selectorELNS0_4arch9wavefront6targetE1EEEvT1_
    .private_segment_fixed_size: 0
    .sgpr_count:     4
    .sgpr_spill_count: 0
    .symbol:         _ZN7rocprim17ROCPRIM_400000_NS6detail17trampoline_kernelINS0_14default_configENS1_35adjacent_difference_config_selectorILb1EdEEZNS1_24adjacent_difference_implIS3_Lb1ELb0EPdS7_N6thrust23THRUST_200600_302600_NS4plusIdEEEE10hipError_tPvRmT2_T3_mT4_P12ihipStream_tbEUlT_E_NS1_11comp_targetILNS1_3genE5ELNS1_11target_archE942ELNS1_3gpuE9ELNS1_3repE0EEENS1_30default_config_static_selectorELNS0_4arch9wavefront6targetE1EEEvT1_.kd
    .uniform_work_group_size: 1
    .uses_dynamic_stack: false
    .vgpr_count:     0
    .vgpr_spill_count: 0
    .wavefront_size: 64
  - .agpr_count:     0
    .args:
      - .offset:         0
        .size:           56
        .value_kind:     by_value
    .group_segment_fixed_size: 8448
    .kernarg_segment_align: 8
    .kernarg_segment_size: 56
    .language:       OpenCL C
    .language_version:
      - 2
      - 0
    .max_flat_workgroup_size: 512
    .name:           _ZN7rocprim17ROCPRIM_400000_NS6detail17trampoline_kernelINS0_14default_configENS1_35adjacent_difference_config_selectorILb1EdEEZNS1_24adjacent_difference_implIS3_Lb1ELb0EPdS7_N6thrust23THRUST_200600_302600_NS4plusIdEEEE10hipError_tPvRmT2_T3_mT4_P12ihipStream_tbEUlT_E_NS1_11comp_targetILNS1_3genE4ELNS1_11target_archE910ELNS1_3gpuE8ELNS1_3repE0EEENS1_30default_config_static_selectorELNS0_4arch9wavefront6targetE1EEEvT1_
    .private_segment_fixed_size: 0
    .sgpr_count:     32
    .sgpr_spill_count: 0
    .symbol:         _ZN7rocprim17ROCPRIM_400000_NS6detail17trampoline_kernelINS0_14default_configENS1_35adjacent_difference_config_selectorILb1EdEEZNS1_24adjacent_difference_implIS3_Lb1ELb0EPdS7_N6thrust23THRUST_200600_302600_NS4plusIdEEEE10hipError_tPvRmT2_T3_mT4_P12ihipStream_tbEUlT_E_NS1_11comp_targetILNS1_3genE4ELNS1_11target_archE910ELNS1_3gpuE8ELNS1_3repE0EEENS1_30default_config_static_selectorELNS0_4arch9wavefront6targetE1EEEvT1_.kd
    .uniform_work_group_size: 1
    .uses_dynamic_stack: false
    .vgpr_count:     14
    .vgpr_spill_count: 0
    .wavefront_size: 64
  - .agpr_count:     0
    .args:
      - .offset:         0
        .size:           56
        .value_kind:     by_value
    .group_segment_fixed_size: 0
    .kernarg_segment_align: 8
    .kernarg_segment_size: 56
    .language:       OpenCL C
    .language_version:
      - 2
      - 0
    .max_flat_workgroup_size: 512
    .name:           _ZN7rocprim17ROCPRIM_400000_NS6detail17trampoline_kernelINS0_14default_configENS1_35adjacent_difference_config_selectorILb1EdEEZNS1_24adjacent_difference_implIS3_Lb1ELb0EPdS7_N6thrust23THRUST_200600_302600_NS4plusIdEEEE10hipError_tPvRmT2_T3_mT4_P12ihipStream_tbEUlT_E_NS1_11comp_targetILNS1_3genE3ELNS1_11target_archE908ELNS1_3gpuE7ELNS1_3repE0EEENS1_30default_config_static_selectorELNS0_4arch9wavefront6targetE1EEEvT1_
    .private_segment_fixed_size: 0
    .sgpr_count:     4
    .sgpr_spill_count: 0
    .symbol:         _ZN7rocprim17ROCPRIM_400000_NS6detail17trampoline_kernelINS0_14default_configENS1_35adjacent_difference_config_selectorILb1EdEEZNS1_24adjacent_difference_implIS3_Lb1ELb0EPdS7_N6thrust23THRUST_200600_302600_NS4plusIdEEEE10hipError_tPvRmT2_T3_mT4_P12ihipStream_tbEUlT_E_NS1_11comp_targetILNS1_3genE3ELNS1_11target_archE908ELNS1_3gpuE7ELNS1_3repE0EEENS1_30default_config_static_selectorELNS0_4arch9wavefront6targetE1EEEvT1_.kd
    .uniform_work_group_size: 1
    .uses_dynamic_stack: false
    .vgpr_count:     0
    .vgpr_spill_count: 0
    .wavefront_size: 64
  - .agpr_count:     0
    .args:
      - .offset:         0
        .size:           56
        .value_kind:     by_value
    .group_segment_fixed_size: 0
    .kernarg_segment_align: 8
    .kernarg_segment_size: 56
    .language:       OpenCL C
    .language_version:
      - 2
      - 0
    .max_flat_workgroup_size: 128
    .name:           _ZN7rocprim17ROCPRIM_400000_NS6detail17trampoline_kernelINS0_14default_configENS1_35adjacent_difference_config_selectorILb1EdEEZNS1_24adjacent_difference_implIS3_Lb1ELb0EPdS7_N6thrust23THRUST_200600_302600_NS4plusIdEEEE10hipError_tPvRmT2_T3_mT4_P12ihipStream_tbEUlT_E_NS1_11comp_targetILNS1_3genE2ELNS1_11target_archE906ELNS1_3gpuE6ELNS1_3repE0EEENS1_30default_config_static_selectorELNS0_4arch9wavefront6targetE1EEEvT1_
    .private_segment_fixed_size: 0
    .sgpr_count:     4
    .sgpr_spill_count: 0
    .symbol:         _ZN7rocprim17ROCPRIM_400000_NS6detail17trampoline_kernelINS0_14default_configENS1_35adjacent_difference_config_selectorILb1EdEEZNS1_24adjacent_difference_implIS3_Lb1ELb0EPdS7_N6thrust23THRUST_200600_302600_NS4plusIdEEEE10hipError_tPvRmT2_T3_mT4_P12ihipStream_tbEUlT_E_NS1_11comp_targetILNS1_3genE2ELNS1_11target_archE906ELNS1_3gpuE6ELNS1_3repE0EEENS1_30default_config_static_selectorELNS0_4arch9wavefront6targetE1EEEvT1_.kd
    .uniform_work_group_size: 1
    .uses_dynamic_stack: false
    .vgpr_count:     0
    .vgpr_spill_count: 0
    .wavefront_size: 64
  - .agpr_count:     0
    .args:
      - .offset:         0
        .size:           56
        .value_kind:     by_value
    .group_segment_fixed_size: 0
    .kernarg_segment_align: 8
    .kernarg_segment_size: 56
    .language:       OpenCL C
    .language_version:
      - 2
      - 0
    .max_flat_workgroup_size: 128
    .name:           _ZN7rocprim17ROCPRIM_400000_NS6detail17trampoline_kernelINS0_14default_configENS1_35adjacent_difference_config_selectorILb1EdEEZNS1_24adjacent_difference_implIS3_Lb1ELb0EPdS7_N6thrust23THRUST_200600_302600_NS4plusIdEEEE10hipError_tPvRmT2_T3_mT4_P12ihipStream_tbEUlT_E_NS1_11comp_targetILNS1_3genE9ELNS1_11target_archE1100ELNS1_3gpuE3ELNS1_3repE0EEENS1_30default_config_static_selectorELNS0_4arch9wavefront6targetE1EEEvT1_
    .private_segment_fixed_size: 0
    .sgpr_count:     4
    .sgpr_spill_count: 0
    .symbol:         _ZN7rocprim17ROCPRIM_400000_NS6detail17trampoline_kernelINS0_14default_configENS1_35adjacent_difference_config_selectorILb1EdEEZNS1_24adjacent_difference_implIS3_Lb1ELb0EPdS7_N6thrust23THRUST_200600_302600_NS4plusIdEEEE10hipError_tPvRmT2_T3_mT4_P12ihipStream_tbEUlT_E_NS1_11comp_targetILNS1_3genE9ELNS1_11target_archE1100ELNS1_3gpuE3ELNS1_3repE0EEENS1_30default_config_static_selectorELNS0_4arch9wavefront6targetE1EEEvT1_.kd
    .uniform_work_group_size: 1
    .uses_dynamic_stack: false
    .vgpr_count:     0
    .vgpr_spill_count: 0
    .wavefront_size: 64
  - .agpr_count:     0
    .args:
      - .offset:         0
        .size:           56
        .value_kind:     by_value
    .group_segment_fixed_size: 0
    .kernarg_segment_align: 8
    .kernarg_segment_size: 56
    .language:       OpenCL C
    .language_version:
      - 2
      - 0
    .max_flat_workgroup_size: 32
    .name:           _ZN7rocprim17ROCPRIM_400000_NS6detail17trampoline_kernelINS0_14default_configENS1_35adjacent_difference_config_selectorILb1EdEEZNS1_24adjacent_difference_implIS3_Lb1ELb0EPdS7_N6thrust23THRUST_200600_302600_NS4plusIdEEEE10hipError_tPvRmT2_T3_mT4_P12ihipStream_tbEUlT_E_NS1_11comp_targetILNS1_3genE8ELNS1_11target_archE1030ELNS1_3gpuE2ELNS1_3repE0EEENS1_30default_config_static_selectorELNS0_4arch9wavefront6targetE1EEEvT1_
    .private_segment_fixed_size: 0
    .sgpr_count:     4
    .sgpr_spill_count: 0
    .symbol:         _ZN7rocprim17ROCPRIM_400000_NS6detail17trampoline_kernelINS0_14default_configENS1_35adjacent_difference_config_selectorILb1EdEEZNS1_24adjacent_difference_implIS3_Lb1ELb0EPdS7_N6thrust23THRUST_200600_302600_NS4plusIdEEEE10hipError_tPvRmT2_T3_mT4_P12ihipStream_tbEUlT_E_NS1_11comp_targetILNS1_3genE8ELNS1_11target_archE1030ELNS1_3gpuE2ELNS1_3repE0EEENS1_30default_config_static_selectorELNS0_4arch9wavefront6targetE1EEEvT1_.kd
    .uniform_work_group_size: 1
    .uses_dynamic_stack: false
    .vgpr_count:     0
    .vgpr_spill_count: 0
    .wavefront_size: 64
  - .agpr_count:     0
    .args:
      - .offset:         0
        .size:           56
        .value_kind:     by_value
    .group_segment_fixed_size: 0
    .kernarg_segment_align: 8
    .kernarg_segment_size: 56
    .language:       OpenCL C
    .language_version:
      - 2
      - 0
    .max_flat_workgroup_size: 64
    .name:           _ZN7rocprim17ROCPRIM_400000_NS6detail17trampoline_kernelINS0_14default_configENS1_35adjacent_difference_config_selectorILb0EaEEZNS1_24adjacent_difference_implIS3_Lb0ELb0EPKaPaN6thrust23THRUST_200600_302600_NS4plusIaEEEE10hipError_tPvRmT2_T3_mT4_P12ihipStream_tbEUlT_E_NS1_11comp_targetILNS1_3genE0ELNS1_11target_archE4294967295ELNS1_3gpuE0ELNS1_3repE0EEENS1_30default_config_static_selectorELNS0_4arch9wavefront6targetE1EEEvT1_
    .private_segment_fixed_size: 0
    .sgpr_count:     4
    .sgpr_spill_count: 0
    .symbol:         _ZN7rocprim17ROCPRIM_400000_NS6detail17trampoline_kernelINS0_14default_configENS1_35adjacent_difference_config_selectorILb0EaEEZNS1_24adjacent_difference_implIS3_Lb0ELb0EPKaPaN6thrust23THRUST_200600_302600_NS4plusIaEEEE10hipError_tPvRmT2_T3_mT4_P12ihipStream_tbEUlT_E_NS1_11comp_targetILNS1_3genE0ELNS1_11target_archE4294967295ELNS1_3gpuE0ELNS1_3repE0EEENS1_30default_config_static_selectorELNS0_4arch9wavefront6targetE1EEEvT1_.kd
    .uniform_work_group_size: 1
    .uses_dynamic_stack: false
    .vgpr_count:     0
    .vgpr_spill_count: 0
    .wavefront_size: 64
  - .agpr_count:     0
    .args:
      - .offset:         0
        .size:           56
        .value_kind:     by_value
    .group_segment_fixed_size: 0
    .kernarg_segment_align: 8
    .kernarg_segment_size: 56
    .language:       OpenCL C
    .language_version:
      - 2
      - 0
    .max_flat_workgroup_size: 1024
    .name:           _ZN7rocprim17ROCPRIM_400000_NS6detail17trampoline_kernelINS0_14default_configENS1_35adjacent_difference_config_selectorILb0EaEEZNS1_24adjacent_difference_implIS3_Lb0ELb0EPKaPaN6thrust23THRUST_200600_302600_NS4plusIaEEEE10hipError_tPvRmT2_T3_mT4_P12ihipStream_tbEUlT_E_NS1_11comp_targetILNS1_3genE10ELNS1_11target_archE1201ELNS1_3gpuE5ELNS1_3repE0EEENS1_30default_config_static_selectorELNS0_4arch9wavefront6targetE1EEEvT1_
    .private_segment_fixed_size: 0
    .sgpr_count:     4
    .sgpr_spill_count: 0
    .symbol:         _ZN7rocprim17ROCPRIM_400000_NS6detail17trampoline_kernelINS0_14default_configENS1_35adjacent_difference_config_selectorILb0EaEEZNS1_24adjacent_difference_implIS3_Lb0ELb0EPKaPaN6thrust23THRUST_200600_302600_NS4plusIaEEEE10hipError_tPvRmT2_T3_mT4_P12ihipStream_tbEUlT_E_NS1_11comp_targetILNS1_3genE10ELNS1_11target_archE1201ELNS1_3gpuE5ELNS1_3repE0EEENS1_30default_config_static_selectorELNS0_4arch9wavefront6targetE1EEEvT1_.kd
    .uniform_work_group_size: 1
    .uses_dynamic_stack: false
    .vgpr_count:     0
    .vgpr_spill_count: 0
    .wavefront_size: 64
  - .agpr_count:     0
    .args:
      - .offset:         0
        .size:           56
        .value_kind:     by_value
    .group_segment_fixed_size: 0
    .kernarg_segment_align: 8
    .kernarg_segment_size: 56
    .language:       OpenCL C
    .language_version:
      - 2
      - 0
    .max_flat_workgroup_size: 128
    .name:           _ZN7rocprim17ROCPRIM_400000_NS6detail17trampoline_kernelINS0_14default_configENS1_35adjacent_difference_config_selectorILb0EaEEZNS1_24adjacent_difference_implIS3_Lb0ELb0EPKaPaN6thrust23THRUST_200600_302600_NS4plusIaEEEE10hipError_tPvRmT2_T3_mT4_P12ihipStream_tbEUlT_E_NS1_11comp_targetILNS1_3genE5ELNS1_11target_archE942ELNS1_3gpuE9ELNS1_3repE0EEENS1_30default_config_static_selectorELNS0_4arch9wavefront6targetE1EEEvT1_
    .private_segment_fixed_size: 0
    .sgpr_count:     4
    .sgpr_spill_count: 0
    .symbol:         _ZN7rocprim17ROCPRIM_400000_NS6detail17trampoline_kernelINS0_14default_configENS1_35adjacent_difference_config_selectorILb0EaEEZNS1_24adjacent_difference_implIS3_Lb0ELb0EPKaPaN6thrust23THRUST_200600_302600_NS4plusIaEEEE10hipError_tPvRmT2_T3_mT4_P12ihipStream_tbEUlT_E_NS1_11comp_targetILNS1_3genE5ELNS1_11target_archE942ELNS1_3gpuE9ELNS1_3repE0EEENS1_30default_config_static_selectorELNS0_4arch9wavefront6targetE1EEEvT1_.kd
    .uniform_work_group_size: 1
    .uses_dynamic_stack: false
    .vgpr_count:     0
    .vgpr_spill_count: 0
    .wavefront_size: 64
  - .agpr_count:     0
    .args:
      - .offset:         0
        .size:           56
        .value_kind:     by_value
    .group_segment_fixed_size: 1216
    .kernarg_segment_align: 8
    .kernarg_segment_size: 56
    .language:       OpenCL C
    .language_version:
      - 2
      - 0
    .max_flat_workgroup_size: 64
    .name:           _ZN7rocprim17ROCPRIM_400000_NS6detail17trampoline_kernelINS0_14default_configENS1_35adjacent_difference_config_selectorILb0EaEEZNS1_24adjacent_difference_implIS3_Lb0ELb0EPKaPaN6thrust23THRUST_200600_302600_NS4plusIaEEEE10hipError_tPvRmT2_T3_mT4_P12ihipStream_tbEUlT_E_NS1_11comp_targetILNS1_3genE4ELNS1_11target_archE910ELNS1_3gpuE8ELNS1_3repE0EEENS1_30default_config_static_selectorELNS0_4arch9wavefront6targetE1EEEvT1_
    .private_segment_fixed_size: 0
    .sgpr_count:     52
    .sgpr_spill_count: 0
    .symbol:         _ZN7rocprim17ROCPRIM_400000_NS6detail17trampoline_kernelINS0_14default_configENS1_35adjacent_difference_config_selectorILb0EaEEZNS1_24adjacent_difference_implIS3_Lb0ELb0EPKaPaN6thrust23THRUST_200600_302600_NS4plusIaEEEE10hipError_tPvRmT2_T3_mT4_P12ihipStream_tbEUlT_E_NS1_11comp_targetILNS1_3genE4ELNS1_11target_archE910ELNS1_3gpuE8ELNS1_3repE0EEENS1_30default_config_static_selectorELNS0_4arch9wavefront6targetE1EEEvT1_.kd
    .uniform_work_group_size: 1
    .uses_dynamic_stack: false
    .vgpr_count:     42
    .vgpr_spill_count: 0
    .wavefront_size: 64
  - .agpr_count:     0
    .args:
      - .offset:         0
        .size:           56
        .value_kind:     by_value
    .group_segment_fixed_size: 0
    .kernarg_segment_align: 8
    .kernarg_segment_size: 56
    .language:       OpenCL C
    .language_version:
      - 2
      - 0
    .max_flat_workgroup_size: 64
    .name:           _ZN7rocprim17ROCPRIM_400000_NS6detail17trampoline_kernelINS0_14default_configENS1_35adjacent_difference_config_selectorILb0EaEEZNS1_24adjacent_difference_implIS3_Lb0ELb0EPKaPaN6thrust23THRUST_200600_302600_NS4plusIaEEEE10hipError_tPvRmT2_T3_mT4_P12ihipStream_tbEUlT_E_NS1_11comp_targetILNS1_3genE3ELNS1_11target_archE908ELNS1_3gpuE7ELNS1_3repE0EEENS1_30default_config_static_selectorELNS0_4arch9wavefront6targetE1EEEvT1_
    .private_segment_fixed_size: 0
    .sgpr_count:     4
    .sgpr_spill_count: 0
    .symbol:         _ZN7rocprim17ROCPRIM_400000_NS6detail17trampoline_kernelINS0_14default_configENS1_35adjacent_difference_config_selectorILb0EaEEZNS1_24adjacent_difference_implIS3_Lb0ELb0EPKaPaN6thrust23THRUST_200600_302600_NS4plusIaEEEE10hipError_tPvRmT2_T3_mT4_P12ihipStream_tbEUlT_E_NS1_11comp_targetILNS1_3genE3ELNS1_11target_archE908ELNS1_3gpuE7ELNS1_3repE0EEENS1_30default_config_static_selectorELNS0_4arch9wavefront6targetE1EEEvT1_.kd
    .uniform_work_group_size: 1
    .uses_dynamic_stack: false
    .vgpr_count:     0
    .vgpr_spill_count: 0
    .wavefront_size: 64
  - .agpr_count:     0
    .args:
      - .offset:         0
        .size:           56
        .value_kind:     by_value
    .group_segment_fixed_size: 0
    .kernarg_segment_align: 8
    .kernarg_segment_size: 56
    .language:       OpenCL C
    .language_version:
      - 2
      - 0
    .max_flat_workgroup_size: 64
    .name:           _ZN7rocprim17ROCPRIM_400000_NS6detail17trampoline_kernelINS0_14default_configENS1_35adjacent_difference_config_selectorILb0EaEEZNS1_24adjacent_difference_implIS3_Lb0ELb0EPKaPaN6thrust23THRUST_200600_302600_NS4plusIaEEEE10hipError_tPvRmT2_T3_mT4_P12ihipStream_tbEUlT_E_NS1_11comp_targetILNS1_3genE2ELNS1_11target_archE906ELNS1_3gpuE6ELNS1_3repE0EEENS1_30default_config_static_selectorELNS0_4arch9wavefront6targetE1EEEvT1_
    .private_segment_fixed_size: 0
    .sgpr_count:     4
    .sgpr_spill_count: 0
    .symbol:         _ZN7rocprim17ROCPRIM_400000_NS6detail17trampoline_kernelINS0_14default_configENS1_35adjacent_difference_config_selectorILb0EaEEZNS1_24adjacent_difference_implIS3_Lb0ELb0EPKaPaN6thrust23THRUST_200600_302600_NS4plusIaEEEE10hipError_tPvRmT2_T3_mT4_P12ihipStream_tbEUlT_E_NS1_11comp_targetILNS1_3genE2ELNS1_11target_archE906ELNS1_3gpuE6ELNS1_3repE0EEENS1_30default_config_static_selectorELNS0_4arch9wavefront6targetE1EEEvT1_.kd
    .uniform_work_group_size: 1
    .uses_dynamic_stack: false
    .vgpr_count:     0
    .vgpr_spill_count: 0
    .wavefront_size: 64
  - .agpr_count:     0
    .args:
      - .offset:         0
        .size:           56
        .value_kind:     by_value
    .group_segment_fixed_size: 0
    .kernarg_segment_align: 8
    .kernarg_segment_size: 56
    .language:       OpenCL C
    .language_version:
      - 2
      - 0
    .max_flat_workgroup_size: 64
    .name:           _ZN7rocprim17ROCPRIM_400000_NS6detail17trampoline_kernelINS0_14default_configENS1_35adjacent_difference_config_selectorILb0EaEEZNS1_24adjacent_difference_implIS3_Lb0ELb0EPKaPaN6thrust23THRUST_200600_302600_NS4plusIaEEEE10hipError_tPvRmT2_T3_mT4_P12ihipStream_tbEUlT_E_NS1_11comp_targetILNS1_3genE9ELNS1_11target_archE1100ELNS1_3gpuE3ELNS1_3repE0EEENS1_30default_config_static_selectorELNS0_4arch9wavefront6targetE1EEEvT1_
    .private_segment_fixed_size: 0
    .sgpr_count:     4
    .sgpr_spill_count: 0
    .symbol:         _ZN7rocprim17ROCPRIM_400000_NS6detail17trampoline_kernelINS0_14default_configENS1_35adjacent_difference_config_selectorILb0EaEEZNS1_24adjacent_difference_implIS3_Lb0ELb0EPKaPaN6thrust23THRUST_200600_302600_NS4plusIaEEEE10hipError_tPvRmT2_T3_mT4_P12ihipStream_tbEUlT_E_NS1_11comp_targetILNS1_3genE9ELNS1_11target_archE1100ELNS1_3gpuE3ELNS1_3repE0EEENS1_30default_config_static_selectorELNS0_4arch9wavefront6targetE1EEEvT1_.kd
    .uniform_work_group_size: 1
    .uses_dynamic_stack: false
    .vgpr_count:     0
    .vgpr_spill_count: 0
    .wavefront_size: 64
  - .agpr_count:     0
    .args:
      - .offset:         0
        .size:           56
        .value_kind:     by_value
    .group_segment_fixed_size: 0
    .kernarg_segment_align: 8
    .kernarg_segment_size: 56
    .language:       OpenCL C
    .language_version:
      - 2
      - 0
    .max_flat_workgroup_size: 64
    .name:           _ZN7rocprim17ROCPRIM_400000_NS6detail17trampoline_kernelINS0_14default_configENS1_35adjacent_difference_config_selectorILb0EaEEZNS1_24adjacent_difference_implIS3_Lb0ELb0EPKaPaN6thrust23THRUST_200600_302600_NS4plusIaEEEE10hipError_tPvRmT2_T3_mT4_P12ihipStream_tbEUlT_E_NS1_11comp_targetILNS1_3genE8ELNS1_11target_archE1030ELNS1_3gpuE2ELNS1_3repE0EEENS1_30default_config_static_selectorELNS0_4arch9wavefront6targetE1EEEvT1_
    .private_segment_fixed_size: 0
    .sgpr_count:     4
    .sgpr_spill_count: 0
    .symbol:         _ZN7rocprim17ROCPRIM_400000_NS6detail17trampoline_kernelINS0_14default_configENS1_35adjacent_difference_config_selectorILb0EaEEZNS1_24adjacent_difference_implIS3_Lb0ELb0EPKaPaN6thrust23THRUST_200600_302600_NS4plusIaEEEE10hipError_tPvRmT2_T3_mT4_P12ihipStream_tbEUlT_E_NS1_11comp_targetILNS1_3genE8ELNS1_11target_archE1030ELNS1_3gpuE2ELNS1_3repE0EEENS1_30default_config_static_selectorELNS0_4arch9wavefront6targetE1EEEvT1_.kd
    .uniform_work_group_size: 1
    .uses_dynamic_stack: false
    .vgpr_count:     0
    .vgpr_spill_count: 0
    .wavefront_size: 64
  - .agpr_count:     0
    .args:
      - .offset:         0
        .size:           56
        .value_kind:     by_value
    .group_segment_fixed_size: 0
    .kernarg_segment_align: 8
    .kernarg_segment_size: 56
    .language:       OpenCL C
    .language_version:
      - 2
      - 0
    .max_flat_workgroup_size: 128
    .name:           _ZN7rocprim17ROCPRIM_400000_NS6detail17trampoline_kernelINS0_14default_configENS1_25transform_config_selectorIaLb0EEEZNS1_14transform_implILb0ES3_S5_NS0_18transform_iteratorINS0_17counting_iteratorImlEEZNS1_24adjacent_difference_implIS3_Lb1ELb0EPKaPaN6thrust23THRUST_200600_302600_NS4plusIaEEEE10hipError_tPvRmT2_T3_mT4_P12ihipStream_tbEUlmE_aEESD_NS0_8identityIvEEEESI_SL_SM_mSN_SP_bEUlT_E_NS1_11comp_targetILNS1_3genE0ELNS1_11target_archE4294967295ELNS1_3gpuE0ELNS1_3repE0EEENS1_30default_config_static_selectorELNS0_4arch9wavefront6targetE1EEEvT1_
    .private_segment_fixed_size: 0
    .sgpr_count:     4
    .sgpr_spill_count: 0
    .symbol:         _ZN7rocprim17ROCPRIM_400000_NS6detail17trampoline_kernelINS0_14default_configENS1_25transform_config_selectorIaLb0EEEZNS1_14transform_implILb0ES3_S5_NS0_18transform_iteratorINS0_17counting_iteratorImlEEZNS1_24adjacent_difference_implIS3_Lb1ELb0EPKaPaN6thrust23THRUST_200600_302600_NS4plusIaEEEE10hipError_tPvRmT2_T3_mT4_P12ihipStream_tbEUlmE_aEESD_NS0_8identityIvEEEESI_SL_SM_mSN_SP_bEUlT_E_NS1_11comp_targetILNS1_3genE0ELNS1_11target_archE4294967295ELNS1_3gpuE0ELNS1_3repE0EEENS1_30default_config_static_selectorELNS0_4arch9wavefront6targetE1EEEvT1_.kd
    .uniform_work_group_size: 1
    .uses_dynamic_stack: false
    .vgpr_count:     0
    .vgpr_spill_count: 0
    .wavefront_size: 64
  - .agpr_count:     0
    .args:
      - .offset:         0
        .size:           56
        .value_kind:     by_value
    .group_segment_fixed_size: 0
    .kernarg_segment_align: 8
    .kernarg_segment_size: 56
    .language:       OpenCL C
    .language_version:
      - 2
      - 0
    .max_flat_workgroup_size: 1024
    .name:           _ZN7rocprim17ROCPRIM_400000_NS6detail17trampoline_kernelINS0_14default_configENS1_25transform_config_selectorIaLb0EEEZNS1_14transform_implILb0ES3_S5_NS0_18transform_iteratorINS0_17counting_iteratorImlEEZNS1_24adjacent_difference_implIS3_Lb1ELb0EPKaPaN6thrust23THRUST_200600_302600_NS4plusIaEEEE10hipError_tPvRmT2_T3_mT4_P12ihipStream_tbEUlmE_aEESD_NS0_8identityIvEEEESI_SL_SM_mSN_SP_bEUlT_E_NS1_11comp_targetILNS1_3genE5ELNS1_11target_archE942ELNS1_3gpuE9ELNS1_3repE0EEENS1_30default_config_static_selectorELNS0_4arch9wavefront6targetE1EEEvT1_
    .private_segment_fixed_size: 0
    .sgpr_count:     4
    .sgpr_spill_count: 0
    .symbol:         _ZN7rocprim17ROCPRIM_400000_NS6detail17trampoline_kernelINS0_14default_configENS1_25transform_config_selectorIaLb0EEEZNS1_14transform_implILb0ES3_S5_NS0_18transform_iteratorINS0_17counting_iteratorImlEEZNS1_24adjacent_difference_implIS3_Lb1ELb0EPKaPaN6thrust23THRUST_200600_302600_NS4plusIaEEEE10hipError_tPvRmT2_T3_mT4_P12ihipStream_tbEUlmE_aEESD_NS0_8identityIvEEEESI_SL_SM_mSN_SP_bEUlT_E_NS1_11comp_targetILNS1_3genE5ELNS1_11target_archE942ELNS1_3gpuE9ELNS1_3repE0EEENS1_30default_config_static_selectorELNS0_4arch9wavefront6targetE1EEEvT1_.kd
    .uniform_work_group_size: 1
    .uses_dynamic_stack: false
    .vgpr_count:     0
    .vgpr_spill_count: 0
    .wavefront_size: 64
  - .agpr_count:     0
    .args:
      - .offset:         0
        .size:           56
        .value_kind:     by_value
      - .offset:         56
        .size:           4
        .value_kind:     hidden_block_count_x
      - .offset:         60
        .size:           4
        .value_kind:     hidden_block_count_y
      - .offset:         64
        .size:           4
        .value_kind:     hidden_block_count_z
      - .offset:         68
        .size:           2
        .value_kind:     hidden_group_size_x
      - .offset:         70
        .size:           2
        .value_kind:     hidden_group_size_y
      - .offset:         72
        .size:           2
        .value_kind:     hidden_group_size_z
      - .offset:         74
        .size:           2
        .value_kind:     hidden_remainder_x
      - .offset:         76
        .size:           2
        .value_kind:     hidden_remainder_y
      - .offset:         78
        .size:           2
        .value_kind:     hidden_remainder_z
      - .offset:         96
        .size:           8
        .value_kind:     hidden_global_offset_x
      - .offset:         104
        .size:           8
        .value_kind:     hidden_global_offset_y
      - .offset:         112
        .size:           8
        .value_kind:     hidden_global_offset_z
      - .offset:         120
        .size:           2
        .value_kind:     hidden_grid_dims
    .group_segment_fixed_size: 0
    .kernarg_segment_align: 8
    .kernarg_segment_size: 312
    .language:       OpenCL C
    .language_version:
      - 2
      - 0
    .max_flat_workgroup_size: 64
    .name:           _ZN7rocprim17ROCPRIM_400000_NS6detail17trampoline_kernelINS0_14default_configENS1_25transform_config_selectorIaLb0EEEZNS1_14transform_implILb0ES3_S5_NS0_18transform_iteratorINS0_17counting_iteratorImlEEZNS1_24adjacent_difference_implIS3_Lb1ELb0EPKaPaN6thrust23THRUST_200600_302600_NS4plusIaEEEE10hipError_tPvRmT2_T3_mT4_P12ihipStream_tbEUlmE_aEESD_NS0_8identityIvEEEESI_SL_SM_mSN_SP_bEUlT_E_NS1_11comp_targetILNS1_3genE4ELNS1_11target_archE910ELNS1_3gpuE8ELNS1_3repE0EEENS1_30default_config_static_selectorELNS0_4arch9wavefront6targetE1EEEvT1_
    .private_segment_fixed_size: 0
    .sgpr_count:     50
    .sgpr_spill_count: 0
    .symbol:         _ZN7rocprim17ROCPRIM_400000_NS6detail17trampoline_kernelINS0_14default_configENS1_25transform_config_selectorIaLb0EEEZNS1_14transform_implILb0ES3_S5_NS0_18transform_iteratorINS0_17counting_iteratorImlEEZNS1_24adjacent_difference_implIS3_Lb1ELb0EPKaPaN6thrust23THRUST_200600_302600_NS4plusIaEEEE10hipError_tPvRmT2_T3_mT4_P12ihipStream_tbEUlmE_aEESD_NS0_8identityIvEEEESI_SL_SM_mSN_SP_bEUlT_E_NS1_11comp_targetILNS1_3genE4ELNS1_11target_archE910ELNS1_3gpuE8ELNS1_3repE0EEENS1_30default_config_static_selectorELNS0_4arch9wavefront6targetE1EEEvT1_.kd
    .uniform_work_group_size: 1
    .uses_dynamic_stack: false
    .vgpr_count:     20
    .vgpr_spill_count: 0
    .wavefront_size: 64
  - .agpr_count:     0
    .args:
      - .offset:         0
        .size:           56
        .value_kind:     by_value
    .group_segment_fixed_size: 0
    .kernarg_segment_align: 8
    .kernarg_segment_size: 56
    .language:       OpenCL C
    .language_version:
      - 2
      - 0
    .max_flat_workgroup_size: 128
    .name:           _ZN7rocprim17ROCPRIM_400000_NS6detail17trampoline_kernelINS0_14default_configENS1_25transform_config_selectorIaLb0EEEZNS1_14transform_implILb0ES3_S5_NS0_18transform_iteratorINS0_17counting_iteratorImlEEZNS1_24adjacent_difference_implIS3_Lb1ELb0EPKaPaN6thrust23THRUST_200600_302600_NS4plusIaEEEE10hipError_tPvRmT2_T3_mT4_P12ihipStream_tbEUlmE_aEESD_NS0_8identityIvEEEESI_SL_SM_mSN_SP_bEUlT_E_NS1_11comp_targetILNS1_3genE3ELNS1_11target_archE908ELNS1_3gpuE7ELNS1_3repE0EEENS1_30default_config_static_selectorELNS0_4arch9wavefront6targetE1EEEvT1_
    .private_segment_fixed_size: 0
    .sgpr_count:     4
    .sgpr_spill_count: 0
    .symbol:         _ZN7rocprim17ROCPRIM_400000_NS6detail17trampoline_kernelINS0_14default_configENS1_25transform_config_selectorIaLb0EEEZNS1_14transform_implILb0ES3_S5_NS0_18transform_iteratorINS0_17counting_iteratorImlEEZNS1_24adjacent_difference_implIS3_Lb1ELb0EPKaPaN6thrust23THRUST_200600_302600_NS4plusIaEEEE10hipError_tPvRmT2_T3_mT4_P12ihipStream_tbEUlmE_aEESD_NS0_8identityIvEEEESI_SL_SM_mSN_SP_bEUlT_E_NS1_11comp_targetILNS1_3genE3ELNS1_11target_archE908ELNS1_3gpuE7ELNS1_3repE0EEENS1_30default_config_static_selectorELNS0_4arch9wavefront6targetE1EEEvT1_.kd
    .uniform_work_group_size: 1
    .uses_dynamic_stack: false
    .vgpr_count:     0
    .vgpr_spill_count: 0
    .wavefront_size: 64
  - .agpr_count:     0
    .args:
      - .offset:         0
        .size:           56
        .value_kind:     by_value
    .group_segment_fixed_size: 0
    .kernarg_segment_align: 8
    .kernarg_segment_size: 56
    .language:       OpenCL C
    .language_version:
      - 2
      - 0
    .max_flat_workgroup_size: 64
    .name:           _ZN7rocprim17ROCPRIM_400000_NS6detail17trampoline_kernelINS0_14default_configENS1_25transform_config_selectorIaLb0EEEZNS1_14transform_implILb0ES3_S5_NS0_18transform_iteratorINS0_17counting_iteratorImlEEZNS1_24adjacent_difference_implIS3_Lb1ELb0EPKaPaN6thrust23THRUST_200600_302600_NS4plusIaEEEE10hipError_tPvRmT2_T3_mT4_P12ihipStream_tbEUlmE_aEESD_NS0_8identityIvEEEESI_SL_SM_mSN_SP_bEUlT_E_NS1_11comp_targetILNS1_3genE2ELNS1_11target_archE906ELNS1_3gpuE6ELNS1_3repE0EEENS1_30default_config_static_selectorELNS0_4arch9wavefront6targetE1EEEvT1_
    .private_segment_fixed_size: 0
    .sgpr_count:     4
    .sgpr_spill_count: 0
    .symbol:         _ZN7rocprim17ROCPRIM_400000_NS6detail17trampoline_kernelINS0_14default_configENS1_25transform_config_selectorIaLb0EEEZNS1_14transform_implILb0ES3_S5_NS0_18transform_iteratorINS0_17counting_iteratorImlEEZNS1_24adjacent_difference_implIS3_Lb1ELb0EPKaPaN6thrust23THRUST_200600_302600_NS4plusIaEEEE10hipError_tPvRmT2_T3_mT4_P12ihipStream_tbEUlmE_aEESD_NS0_8identityIvEEEESI_SL_SM_mSN_SP_bEUlT_E_NS1_11comp_targetILNS1_3genE2ELNS1_11target_archE906ELNS1_3gpuE6ELNS1_3repE0EEENS1_30default_config_static_selectorELNS0_4arch9wavefront6targetE1EEEvT1_.kd
    .uniform_work_group_size: 1
    .uses_dynamic_stack: false
    .vgpr_count:     0
    .vgpr_spill_count: 0
    .wavefront_size: 64
  - .agpr_count:     0
    .args:
      - .offset:         0
        .size:           56
        .value_kind:     by_value
    .group_segment_fixed_size: 0
    .kernarg_segment_align: 8
    .kernarg_segment_size: 56
    .language:       OpenCL C
    .language_version:
      - 2
      - 0
    .max_flat_workgroup_size: 256
    .name:           _ZN7rocprim17ROCPRIM_400000_NS6detail17trampoline_kernelINS0_14default_configENS1_25transform_config_selectorIaLb0EEEZNS1_14transform_implILb0ES3_S5_NS0_18transform_iteratorINS0_17counting_iteratorImlEEZNS1_24adjacent_difference_implIS3_Lb1ELb0EPKaPaN6thrust23THRUST_200600_302600_NS4plusIaEEEE10hipError_tPvRmT2_T3_mT4_P12ihipStream_tbEUlmE_aEESD_NS0_8identityIvEEEESI_SL_SM_mSN_SP_bEUlT_E_NS1_11comp_targetILNS1_3genE10ELNS1_11target_archE1201ELNS1_3gpuE5ELNS1_3repE0EEENS1_30default_config_static_selectorELNS0_4arch9wavefront6targetE1EEEvT1_
    .private_segment_fixed_size: 0
    .sgpr_count:     4
    .sgpr_spill_count: 0
    .symbol:         _ZN7rocprim17ROCPRIM_400000_NS6detail17trampoline_kernelINS0_14default_configENS1_25transform_config_selectorIaLb0EEEZNS1_14transform_implILb0ES3_S5_NS0_18transform_iteratorINS0_17counting_iteratorImlEEZNS1_24adjacent_difference_implIS3_Lb1ELb0EPKaPaN6thrust23THRUST_200600_302600_NS4plusIaEEEE10hipError_tPvRmT2_T3_mT4_P12ihipStream_tbEUlmE_aEESD_NS0_8identityIvEEEESI_SL_SM_mSN_SP_bEUlT_E_NS1_11comp_targetILNS1_3genE10ELNS1_11target_archE1201ELNS1_3gpuE5ELNS1_3repE0EEENS1_30default_config_static_selectorELNS0_4arch9wavefront6targetE1EEEvT1_.kd
    .uniform_work_group_size: 1
    .uses_dynamic_stack: false
    .vgpr_count:     0
    .vgpr_spill_count: 0
    .wavefront_size: 64
  - .agpr_count:     0
    .args:
      - .offset:         0
        .size:           56
        .value_kind:     by_value
    .group_segment_fixed_size: 0
    .kernarg_segment_align: 8
    .kernarg_segment_size: 56
    .language:       OpenCL C
    .language_version:
      - 2
      - 0
    .max_flat_workgroup_size: 256
    .name:           _ZN7rocprim17ROCPRIM_400000_NS6detail17trampoline_kernelINS0_14default_configENS1_25transform_config_selectorIaLb0EEEZNS1_14transform_implILb0ES3_S5_NS0_18transform_iteratorINS0_17counting_iteratorImlEEZNS1_24adjacent_difference_implIS3_Lb1ELb0EPKaPaN6thrust23THRUST_200600_302600_NS4plusIaEEEE10hipError_tPvRmT2_T3_mT4_P12ihipStream_tbEUlmE_aEESD_NS0_8identityIvEEEESI_SL_SM_mSN_SP_bEUlT_E_NS1_11comp_targetILNS1_3genE10ELNS1_11target_archE1200ELNS1_3gpuE4ELNS1_3repE0EEENS1_30default_config_static_selectorELNS0_4arch9wavefront6targetE1EEEvT1_
    .private_segment_fixed_size: 0
    .sgpr_count:     4
    .sgpr_spill_count: 0
    .symbol:         _ZN7rocprim17ROCPRIM_400000_NS6detail17trampoline_kernelINS0_14default_configENS1_25transform_config_selectorIaLb0EEEZNS1_14transform_implILb0ES3_S5_NS0_18transform_iteratorINS0_17counting_iteratorImlEEZNS1_24adjacent_difference_implIS3_Lb1ELb0EPKaPaN6thrust23THRUST_200600_302600_NS4plusIaEEEE10hipError_tPvRmT2_T3_mT4_P12ihipStream_tbEUlmE_aEESD_NS0_8identityIvEEEESI_SL_SM_mSN_SP_bEUlT_E_NS1_11comp_targetILNS1_3genE10ELNS1_11target_archE1200ELNS1_3gpuE4ELNS1_3repE0EEENS1_30default_config_static_selectorELNS0_4arch9wavefront6targetE1EEEvT1_.kd
    .uniform_work_group_size: 1
    .uses_dynamic_stack: false
    .vgpr_count:     0
    .vgpr_spill_count: 0
    .wavefront_size: 64
  - .agpr_count:     0
    .args:
      - .offset:         0
        .size:           56
        .value_kind:     by_value
    .group_segment_fixed_size: 0
    .kernarg_segment_align: 8
    .kernarg_segment_size: 56
    .language:       OpenCL C
    .language_version:
      - 2
      - 0
    .max_flat_workgroup_size: 1024
    .name:           _ZN7rocprim17ROCPRIM_400000_NS6detail17trampoline_kernelINS0_14default_configENS1_25transform_config_selectorIaLb0EEEZNS1_14transform_implILb0ES3_S5_NS0_18transform_iteratorINS0_17counting_iteratorImlEEZNS1_24adjacent_difference_implIS3_Lb1ELb0EPKaPaN6thrust23THRUST_200600_302600_NS4plusIaEEEE10hipError_tPvRmT2_T3_mT4_P12ihipStream_tbEUlmE_aEESD_NS0_8identityIvEEEESI_SL_SM_mSN_SP_bEUlT_E_NS1_11comp_targetILNS1_3genE9ELNS1_11target_archE1100ELNS1_3gpuE3ELNS1_3repE0EEENS1_30default_config_static_selectorELNS0_4arch9wavefront6targetE1EEEvT1_
    .private_segment_fixed_size: 0
    .sgpr_count:     4
    .sgpr_spill_count: 0
    .symbol:         _ZN7rocprim17ROCPRIM_400000_NS6detail17trampoline_kernelINS0_14default_configENS1_25transform_config_selectorIaLb0EEEZNS1_14transform_implILb0ES3_S5_NS0_18transform_iteratorINS0_17counting_iteratorImlEEZNS1_24adjacent_difference_implIS3_Lb1ELb0EPKaPaN6thrust23THRUST_200600_302600_NS4plusIaEEEE10hipError_tPvRmT2_T3_mT4_P12ihipStream_tbEUlmE_aEESD_NS0_8identityIvEEEESI_SL_SM_mSN_SP_bEUlT_E_NS1_11comp_targetILNS1_3genE9ELNS1_11target_archE1100ELNS1_3gpuE3ELNS1_3repE0EEENS1_30default_config_static_selectorELNS0_4arch9wavefront6targetE1EEEvT1_.kd
    .uniform_work_group_size: 1
    .uses_dynamic_stack: false
    .vgpr_count:     0
    .vgpr_spill_count: 0
    .wavefront_size: 64
  - .agpr_count:     0
    .args:
      - .offset:         0
        .size:           56
        .value_kind:     by_value
    .group_segment_fixed_size: 0
    .kernarg_segment_align: 8
    .kernarg_segment_size: 56
    .language:       OpenCL C
    .language_version:
      - 2
      - 0
    .max_flat_workgroup_size: 128
    .name:           _ZN7rocprim17ROCPRIM_400000_NS6detail17trampoline_kernelINS0_14default_configENS1_25transform_config_selectorIaLb0EEEZNS1_14transform_implILb0ES3_S5_NS0_18transform_iteratorINS0_17counting_iteratorImlEEZNS1_24adjacent_difference_implIS3_Lb1ELb0EPKaPaN6thrust23THRUST_200600_302600_NS4plusIaEEEE10hipError_tPvRmT2_T3_mT4_P12ihipStream_tbEUlmE_aEESD_NS0_8identityIvEEEESI_SL_SM_mSN_SP_bEUlT_E_NS1_11comp_targetILNS1_3genE8ELNS1_11target_archE1030ELNS1_3gpuE2ELNS1_3repE0EEENS1_30default_config_static_selectorELNS0_4arch9wavefront6targetE1EEEvT1_
    .private_segment_fixed_size: 0
    .sgpr_count:     4
    .sgpr_spill_count: 0
    .symbol:         _ZN7rocprim17ROCPRIM_400000_NS6detail17trampoline_kernelINS0_14default_configENS1_25transform_config_selectorIaLb0EEEZNS1_14transform_implILb0ES3_S5_NS0_18transform_iteratorINS0_17counting_iteratorImlEEZNS1_24adjacent_difference_implIS3_Lb1ELb0EPKaPaN6thrust23THRUST_200600_302600_NS4plusIaEEEE10hipError_tPvRmT2_T3_mT4_P12ihipStream_tbEUlmE_aEESD_NS0_8identityIvEEEESI_SL_SM_mSN_SP_bEUlT_E_NS1_11comp_targetILNS1_3genE8ELNS1_11target_archE1030ELNS1_3gpuE2ELNS1_3repE0EEENS1_30default_config_static_selectorELNS0_4arch9wavefront6targetE1EEEvT1_.kd
    .uniform_work_group_size: 1
    .uses_dynamic_stack: false
    .vgpr_count:     0
    .vgpr_spill_count: 0
    .wavefront_size: 64
  - .agpr_count:     0
    .args:
      - .offset:         0
        .size:           56
        .value_kind:     by_value
    .group_segment_fixed_size: 0
    .kernarg_segment_align: 8
    .kernarg_segment_size: 56
    .language:       OpenCL C
    .language_version:
      - 2
      - 0
    .max_flat_workgroup_size: 64
    .name:           _ZN7rocprim17ROCPRIM_400000_NS6detail17trampoline_kernelINS0_14default_configENS1_35adjacent_difference_config_selectorILb1EaEEZNS1_24adjacent_difference_implIS3_Lb1ELb0EPKaPaN6thrust23THRUST_200600_302600_NS4plusIaEEEE10hipError_tPvRmT2_T3_mT4_P12ihipStream_tbEUlT_E_NS1_11comp_targetILNS1_3genE0ELNS1_11target_archE4294967295ELNS1_3gpuE0ELNS1_3repE0EEENS1_30default_config_static_selectorELNS0_4arch9wavefront6targetE1EEEvT1_
    .private_segment_fixed_size: 0
    .sgpr_count:     4
    .sgpr_spill_count: 0
    .symbol:         _ZN7rocprim17ROCPRIM_400000_NS6detail17trampoline_kernelINS0_14default_configENS1_35adjacent_difference_config_selectorILb1EaEEZNS1_24adjacent_difference_implIS3_Lb1ELb0EPKaPaN6thrust23THRUST_200600_302600_NS4plusIaEEEE10hipError_tPvRmT2_T3_mT4_P12ihipStream_tbEUlT_E_NS1_11comp_targetILNS1_3genE0ELNS1_11target_archE4294967295ELNS1_3gpuE0ELNS1_3repE0EEENS1_30default_config_static_selectorELNS0_4arch9wavefront6targetE1EEEvT1_.kd
    .uniform_work_group_size: 1
    .uses_dynamic_stack: false
    .vgpr_count:     0
    .vgpr_spill_count: 0
    .wavefront_size: 64
  - .agpr_count:     0
    .args:
      - .offset:         0
        .size:           56
        .value_kind:     by_value
    .group_segment_fixed_size: 0
    .kernarg_segment_align: 8
    .kernarg_segment_size: 56
    .language:       OpenCL C
    .language_version:
      - 2
      - 0
    .max_flat_workgroup_size: 128
    .name:           _ZN7rocprim17ROCPRIM_400000_NS6detail17trampoline_kernelINS0_14default_configENS1_35adjacent_difference_config_selectorILb1EaEEZNS1_24adjacent_difference_implIS3_Lb1ELb0EPKaPaN6thrust23THRUST_200600_302600_NS4plusIaEEEE10hipError_tPvRmT2_T3_mT4_P12ihipStream_tbEUlT_E_NS1_11comp_targetILNS1_3genE10ELNS1_11target_archE1201ELNS1_3gpuE5ELNS1_3repE0EEENS1_30default_config_static_selectorELNS0_4arch9wavefront6targetE1EEEvT1_
    .private_segment_fixed_size: 0
    .sgpr_count:     4
    .sgpr_spill_count: 0
    .symbol:         _ZN7rocprim17ROCPRIM_400000_NS6detail17trampoline_kernelINS0_14default_configENS1_35adjacent_difference_config_selectorILb1EaEEZNS1_24adjacent_difference_implIS3_Lb1ELb0EPKaPaN6thrust23THRUST_200600_302600_NS4plusIaEEEE10hipError_tPvRmT2_T3_mT4_P12ihipStream_tbEUlT_E_NS1_11comp_targetILNS1_3genE10ELNS1_11target_archE1201ELNS1_3gpuE5ELNS1_3repE0EEENS1_30default_config_static_selectorELNS0_4arch9wavefront6targetE1EEEvT1_.kd
    .uniform_work_group_size: 1
    .uses_dynamic_stack: false
    .vgpr_count:     0
    .vgpr_spill_count: 0
    .wavefront_size: 64
  - .agpr_count:     0
    .args:
      - .offset:         0
        .size:           56
        .value_kind:     by_value
    .group_segment_fixed_size: 0
    .kernarg_segment_align: 8
    .kernarg_segment_size: 56
    .language:       OpenCL C
    .language_version:
      - 2
      - 0
    .max_flat_workgroup_size: 128
    .name:           _ZN7rocprim17ROCPRIM_400000_NS6detail17trampoline_kernelINS0_14default_configENS1_35adjacent_difference_config_selectorILb1EaEEZNS1_24adjacent_difference_implIS3_Lb1ELb0EPKaPaN6thrust23THRUST_200600_302600_NS4plusIaEEEE10hipError_tPvRmT2_T3_mT4_P12ihipStream_tbEUlT_E_NS1_11comp_targetILNS1_3genE5ELNS1_11target_archE942ELNS1_3gpuE9ELNS1_3repE0EEENS1_30default_config_static_selectorELNS0_4arch9wavefront6targetE1EEEvT1_
    .private_segment_fixed_size: 0
    .sgpr_count:     4
    .sgpr_spill_count: 0
    .symbol:         _ZN7rocprim17ROCPRIM_400000_NS6detail17trampoline_kernelINS0_14default_configENS1_35adjacent_difference_config_selectorILb1EaEEZNS1_24adjacent_difference_implIS3_Lb1ELb0EPKaPaN6thrust23THRUST_200600_302600_NS4plusIaEEEE10hipError_tPvRmT2_T3_mT4_P12ihipStream_tbEUlT_E_NS1_11comp_targetILNS1_3genE5ELNS1_11target_archE942ELNS1_3gpuE9ELNS1_3repE0EEENS1_30default_config_static_selectorELNS0_4arch9wavefront6targetE1EEEvT1_.kd
    .uniform_work_group_size: 1
    .uses_dynamic_stack: false
    .vgpr_count:     0
    .vgpr_spill_count: 0
    .wavefront_size: 64
  - .agpr_count:     0
    .args:
      - .offset:         0
        .size:           56
        .value_kind:     by_value
    .group_segment_fixed_size: 2432
    .kernarg_segment_align: 8
    .kernarg_segment_size: 56
    .language:       OpenCL C
    .language_version:
      - 2
      - 0
    .max_flat_workgroup_size: 128
    .name:           _ZN7rocprim17ROCPRIM_400000_NS6detail17trampoline_kernelINS0_14default_configENS1_35adjacent_difference_config_selectorILb1EaEEZNS1_24adjacent_difference_implIS3_Lb1ELb0EPKaPaN6thrust23THRUST_200600_302600_NS4plusIaEEEE10hipError_tPvRmT2_T3_mT4_P12ihipStream_tbEUlT_E_NS1_11comp_targetILNS1_3genE4ELNS1_11target_archE910ELNS1_3gpuE8ELNS1_3repE0EEENS1_30default_config_static_selectorELNS0_4arch9wavefront6targetE1EEEvT1_
    .private_segment_fixed_size: 0
    .sgpr_count:     52
    .sgpr_spill_count: 0
    .symbol:         _ZN7rocprim17ROCPRIM_400000_NS6detail17trampoline_kernelINS0_14default_configENS1_35adjacent_difference_config_selectorILb1EaEEZNS1_24adjacent_difference_implIS3_Lb1ELb0EPKaPaN6thrust23THRUST_200600_302600_NS4plusIaEEEE10hipError_tPvRmT2_T3_mT4_P12ihipStream_tbEUlT_E_NS1_11comp_targetILNS1_3genE4ELNS1_11target_archE910ELNS1_3gpuE8ELNS1_3repE0EEENS1_30default_config_static_selectorELNS0_4arch9wavefront6targetE1EEEvT1_.kd
    .uniform_work_group_size: 1
    .uses_dynamic_stack: false
    .vgpr_count:     42
    .vgpr_spill_count: 0
    .wavefront_size: 64
  - .agpr_count:     0
    .args:
      - .offset:         0
        .size:           56
        .value_kind:     by_value
    .group_segment_fixed_size: 0
    .kernarg_segment_align: 8
    .kernarg_segment_size: 56
    .language:       OpenCL C
    .language_version:
      - 2
      - 0
    .max_flat_workgroup_size: 64
    .name:           _ZN7rocprim17ROCPRIM_400000_NS6detail17trampoline_kernelINS0_14default_configENS1_35adjacent_difference_config_selectorILb1EaEEZNS1_24adjacent_difference_implIS3_Lb1ELb0EPKaPaN6thrust23THRUST_200600_302600_NS4plusIaEEEE10hipError_tPvRmT2_T3_mT4_P12ihipStream_tbEUlT_E_NS1_11comp_targetILNS1_3genE3ELNS1_11target_archE908ELNS1_3gpuE7ELNS1_3repE0EEENS1_30default_config_static_selectorELNS0_4arch9wavefront6targetE1EEEvT1_
    .private_segment_fixed_size: 0
    .sgpr_count:     4
    .sgpr_spill_count: 0
    .symbol:         _ZN7rocprim17ROCPRIM_400000_NS6detail17trampoline_kernelINS0_14default_configENS1_35adjacent_difference_config_selectorILb1EaEEZNS1_24adjacent_difference_implIS3_Lb1ELb0EPKaPaN6thrust23THRUST_200600_302600_NS4plusIaEEEE10hipError_tPvRmT2_T3_mT4_P12ihipStream_tbEUlT_E_NS1_11comp_targetILNS1_3genE3ELNS1_11target_archE908ELNS1_3gpuE7ELNS1_3repE0EEENS1_30default_config_static_selectorELNS0_4arch9wavefront6targetE1EEEvT1_.kd
    .uniform_work_group_size: 1
    .uses_dynamic_stack: false
    .vgpr_count:     0
    .vgpr_spill_count: 0
    .wavefront_size: 64
  - .agpr_count:     0
    .args:
      - .offset:         0
        .size:           56
        .value_kind:     by_value
    .group_segment_fixed_size: 0
    .kernarg_segment_align: 8
    .kernarg_segment_size: 56
    .language:       OpenCL C
    .language_version:
      - 2
      - 0
    .max_flat_workgroup_size: 64
    .name:           _ZN7rocprim17ROCPRIM_400000_NS6detail17trampoline_kernelINS0_14default_configENS1_35adjacent_difference_config_selectorILb1EaEEZNS1_24adjacent_difference_implIS3_Lb1ELb0EPKaPaN6thrust23THRUST_200600_302600_NS4plusIaEEEE10hipError_tPvRmT2_T3_mT4_P12ihipStream_tbEUlT_E_NS1_11comp_targetILNS1_3genE2ELNS1_11target_archE906ELNS1_3gpuE6ELNS1_3repE0EEENS1_30default_config_static_selectorELNS0_4arch9wavefront6targetE1EEEvT1_
    .private_segment_fixed_size: 0
    .sgpr_count:     4
    .sgpr_spill_count: 0
    .symbol:         _ZN7rocprim17ROCPRIM_400000_NS6detail17trampoline_kernelINS0_14default_configENS1_35adjacent_difference_config_selectorILb1EaEEZNS1_24adjacent_difference_implIS3_Lb1ELb0EPKaPaN6thrust23THRUST_200600_302600_NS4plusIaEEEE10hipError_tPvRmT2_T3_mT4_P12ihipStream_tbEUlT_E_NS1_11comp_targetILNS1_3genE2ELNS1_11target_archE906ELNS1_3gpuE6ELNS1_3repE0EEENS1_30default_config_static_selectorELNS0_4arch9wavefront6targetE1EEEvT1_.kd
    .uniform_work_group_size: 1
    .uses_dynamic_stack: false
    .vgpr_count:     0
    .vgpr_spill_count: 0
    .wavefront_size: 64
  - .agpr_count:     0
    .args:
      - .offset:         0
        .size:           56
        .value_kind:     by_value
    .group_segment_fixed_size: 0
    .kernarg_segment_align: 8
    .kernarg_segment_size: 56
    .language:       OpenCL C
    .language_version:
      - 2
      - 0
    .max_flat_workgroup_size: 512
    .name:           _ZN7rocprim17ROCPRIM_400000_NS6detail17trampoline_kernelINS0_14default_configENS1_35adjacent_difference_config_selectorILb1EaEEZNS1_24adjacent_difference_implIS3_Lb1ELb0EPKaPaN6thrust23THRUST_200600_302600_NS4plusIaEEEE10hipError_tPvRmT2_T3_mT4_P12ihipStream_tbEUlT_E_NS1_11comp_targetILNS1_3genE9ELNS1_11target_archE1100ELNS1_3gpuE3ELNS1_3repE0EEENS1_30default_config_static_selectorELNS0_4arch9wavefront6targetE1EEEvT1_
    .private_segment_fixed_size: 0
    .sgpr_count:     4
    .sgpr_spill_count: 0
    .symbol:         _ZN7rocprim17ROCPRIM_400000_NS6detail17trampoline_kernelINS0_14default_configENS1_35adjacent_difference_config_selectorILb1EaEEZNS1_24adjacent_difference_implIS3_Lb1ELb0EPKaPaN6thrust23THRUST_200600_302600_NS4plusIaEEEE10hipError_tPvRmT2_T3_mT4_P12ihipStream_tbEUlT_E_NS1_11comp_targetILNS1_3genE9ELNS1_11target_archE1100ELNS1_3gpuE3ELNS1_3repE0EEENS1_30default_config_static_selectorELNS0_4arch9wavefront6targetE1EEEvT1_.kd
    .uniform_work_group_size: 1
    .uses_dynamic_stack: false
    .vgpr_count:     0
    .vgpr_spill_count: 0
    .wavefront_size: 64
  - .agpr_count:     0
    .args:
      - .offset:         0
        .size:           56
        .value_kind:     by_value
    .group_segment_fixed_size: 0
    .kernarg_segment_align: 8
    .kernarg_segment_size: 56
    .language:       OpenCL C
    .language_version:
      - 2
      - 0
    .max_flat_workgroup_size: 1024
    .name:           _ZN7rocprim17ROCPRIM_400000_NS6detail17trampoline_kernelINS0_14default_configENS1_35adjacent_difference_config_selectorILb1EaEEZNS1_24adjacent_difference_implIS3_Lb1ELb0EPKaPaN6thrust23THRUST_200600_302600_NS4plusIaEEEE10hipError_tPvRmT2_T3_mT4_P12ihipStream_tbEUlT_E_NS1_11comp_targetILNS1_3genE8ELNS1_11target_archE1030ELNS1_3gpuE2ELNS1_3repE0EEENS1_30default_config_static_selectorELNS0_4arch9wavefront6targetE1EEEvT1_
    .private_segment_fixed_size: 0
    .sgpr_count:     4
    .sgpr_spill_count: 0
    .symbol:         _ZN7rocprim17ROCPRIM_400000_NS6detail17trampoline_kernelINS0_14default_configENS1_35adjacent_difference_config_selectorILb1EaEEZNS1_24adjacent_difference_implIS3_Lb1ELb0EPKaPaN6thrust23THRUST_200600_302600_NS4plusIaEEEE10hipError_tPvRmT2_T3_mT4_P12ihipStream_tbEUlT_E_NS1_11comp_targetILNS1_3genE8ELNS1_11target_archE1030ELNS1_3gpuE2ELNS1_3repE0EEENS1_30default_config_static_selectorELNS0_4arch9wavefront6targetE1EEEvT1_.kd
    .uniform_work_group_size: 1
    .uses_dynamic_stack: false
    .vgpr_count:     0
    .vgpr_spill_count: 0
    .wavefront_size: 64
  - .agpr_count:     0
    .args:
      - .offset:         0
        .size:           56
        .value_kind:     by_value
    .group_segment_fixed_size: 0
    .kernarg_segment_align: 8
    .kernarg_segment_size: 56
    .language:       OpenCL C
    .language_version:
      - 2
      - 0
    .max_flat_workgroup_size: 64
    .name:           _ZN7rocprim17ROCPRIM_400000_NS6detail17trampoline_kernelINS0_14default_configENS1_35adjacent_difference_config_selectorILb0EhEEZNS1_24adjacent_difference_implIS3_Lb0ELb0EPKhPhN6thrust23THRUST_200600_302600_NS4plusIhEEEE10hipError_tPvRmT2_T3_mT4_P12ihipStream_tbEUlT_E_NS1_11comp_targetILNS1_3genE0ELNS1_11target_archE4294967295ELNS1_3gpuE0ELNS1_3repE0EEENS1_30default_config_static_selectorELNS0_4arch9wavefront6targetE1EEEvT1_
    .private_segment_fixed_size: 0
    .sgpr_count:     4
    .sgpr_spill_count: 0
    .symbol:         _ZN7rocprim17ROCPRIM_400000_NS6detail17trampoline_kernelINS0_14default_configENS1_35adjacent_difference_config_selectorILb0EhEEZNS1_24adjacent_difference_implIS3_Lb0ELb0EPKhPhN6thrust23THRUST_200600_302600_NS4plusIhEEEE10hipError_tPvRmT2_T3_mT4_P12ihipStream_tbEUlT_E_NS1_11comp_targetILNS1_3genE0ELNS1_11target_archE4294967295ELNS1_3gpuE0ELNS1_3repE0EEENS1_30default_config_static_selectorELNS0_4arch9wavefront6targetE1EEEvT1_.kd
    .uniform_work_group_size: 1
    .uses_dynamic_stack: false
    .vgpr_count:     0
    .vgpr_spill_count: 0
    .wavefront_size: 64
  - .agpr_count:     0
    .args:
      - .offset:         0
        .size:           56
        .value_kind:     by_value
    .group_segment_fixed_size: 0
    .kernarg_segment_align: 8
    .kernarg_segment_size: 56
    .language:       OpenCL C
    .language_version:
      - 2
      - 0
    .max_flat_workgroup_size: 1024
    .name:           _ZN7rocprim17ROCPRIM_400000_NS6detail17trampoline_kernelINS0_14default_configENS1_35adjacent_difference_config_selectorILb0EhEEZNS1_24adjacent_difference_implIS3_Lb0ELb0EPKhPhN6thrust23THRUST_200600_302600_NS4plusIhEEEE10hipError_tPvRmT2_T3_mT4_P12ihipStream_tbEUlT_E_NS1_11comp_targetILNS1_3genE10ELNS1_11target_archE1201ELNS1_3gpuE5ELNS1_3repE0EEENS1_30default_config_static_selectorELNS0_4arch9wavefront6targetE1EEEvT1_
    .private_segment_fixed_size: 0
    .sgpr_count:     4
    .sgpr_spill_count: 0
    .symbol:         _ZN7rocprim17ROCPRIM_400000_NS6detail17trampoline_kernelINS0_14default_configENS1_35adjacent_difference_config_selectorILb0EhEEZNS1_24adjacent_difference_implIS3_Lb0ELb0EPKhPhN6thrust23THRUST_200600_302600_NS4plusIhEEEE10hipError_tPvRmT2_T3_mT4_P12ihipStream_tbEUlT_E_NS1_11comp_targetILNS1_3genE10ELNS1_11target_archE1201ELNS1_3gpuE5ELNS1_3repE0EEENS1_30default_config_static_selectorELNS0_4arch9wavefront6targetE1EEEvT1_.kd
    .uniform_work_group_size: 1
    .uses_dynamic_stack: false
    .vgpr_count:     0
    .vgpr_spill_count: 0
    .wavefront_size: 64
  - .agpr_count:     0
    .args:
      - .offset:         0
        .size:           56
        .value_kind:     by_value
    .group_segment_fixed_size: 0
    .kernarg_segment_align: 8
    .kernarg_segment_size: 56
    .language:       OpenCL C
    .language_version:
      - 2
      - 0
    .max_flat_workgroup_size: 128
    .name:           _ZN7rocprim17ROCPRIM_400000_NS6detail17trampoline_kernelINS0_14default_configENS1_35adjacent_difference_config_selectorILb0EhEEZNS1_24adjacent_difference_implIS3_Lb0ELb0EPKhPhN6thrust23THRUST_200600_302600_NS4plusIhEEEE10hipError_tPvRmT2_T3_mT4_P12ihipStream_tbEUlT_E_NS1_11comp_targetILNS1_3genE5ELNS1_11target_archE942ELNS1_3gpuE9ELNS1_3repE0EEENS1_30default_config_static_selectorELNS0_4arch9wavefront6targetE1EEEvT1_
    .private_segment_fixed_size: 0
    .sgpr_count:     4
    .sgpr_spill_count: 0
    .symbol:         _ZN7rocprim17ROCPRIM_400000_NS6detail17trampoline_kernelINS0_14default_configENS1_35adjacent_difference_config_selectorILb0EhEEZNS1_24adjacent_difference_implIS3_Lb0ELb0EPKhPhN6thrust23THRUST_200600_302600_NS4plusIhEEEE10hipError_tPvRmT2_T3_mT4_P12ihipStream_tbEUlT_E_NS1_11comp_targetILNS1_3genE5ELNS1_11target_archE942ELNS1_3gpuE9ELNS1_3repE0EEENS1_30default_config_static_selectorELNS0_4arch9wavefront6targetE1EEEvT1_.kd
    .uniform_work_group_size: 1
    .uses_dynamic_stack: false
    .vgpr_count:     0
    .vgpr_spill_count: 0
    .wavefront_size: 64
  - .agpr_count:     0
    .args:
      - .offset:         0
        .size:           56
        .value_kind:     by_value
    .group_segment_fixed_size: 1216
    .kernarg_segment_align: 8
    .kernarg_segment_size: 56
    .language:       OpenCL C
    .language_version:
      - 2
      - 0
    .max_flat_workgroup_size: 64
    .name:           _ZN7rocprim17ROCPRIM_400000_NS6detail17trampoline_kernelINS0_14default_configENS1_35adjacent_difference_config_selectorILb0EhEEZNS1_24adjacent_difference_implIS3_Lb0ELb0EPKhPhN6thrust23THRUST_200600_302600_NS4plusIhEEEE10hipError_tPvRmT2_T3_mT4_P12ihipStream_tbEUlT_E_NS1_11comp_targetILNS1_3genE4ELNS1_11target_archE910ELNS1_3gpuE8ELNS1_3repE0EEENS1_30default_config_static_selectorELNS0_4arch9wavefront6targetE1EEEvT1_
    .private_segment_fixed_size: 0
    .sgpr_count:     52
    .sgpr_spill_count: 0
    .symbol:         _ZN7rocprim17ROCPRIM_400000_NS6detail17trampoline_kernelINS0_14default_configENS1_35adjacent_difference_config_selectorILb0EhEEZNS1_24adjacent_difference_implIS3_Lb0ELb0EPKhPhN6thrust23THRUST_200600_302600_NS4plusIhEEEE10hipError_tPvRmT2_T3_mT4_P12ihipStream_tbEUlT_E_NS1_11comp_targetILNS1_3genE4ELNS1_11target_archE910ELNS1_3gpuE8ELNS1_3repE0EEENS1_30default_config_static_selectorELNS0_4arch9wavefront6targetE1EEEvT1_.kd
    .uniform_work_group_size: 1
    .uses_dynamic_stack: false
    .vgpr_count:     42
    .vgpr_spill_count: 0
    .wavefront_size: 64
  - .agpr_count:     0
    .args:
      - .offset:         0
        .size:           56
        .value_kind:     by_value
    .group_segment_fixed_size: 0
    .kernarg_segment_align: 8
    .kernarg_segment_size: 56
    .language:       OpenCL C
    .language_version:
      - 2
      - 0
    .max_flat_workgroup_size: 64
    .name:           _ZN7rocprim17ROCPRIM_400000_NS6detail17trampoline_kernelINS0_14default_configENS1_35adjacent_difference_config_selectorILb0EhEEZNS1_24adjacent_difference_implIS3_Lb0ELb0EPKhPhN6thrust23THRUST_200600_302600_NS4plusIhEEEE10hipError_tPvRmT2_T3_mT4_P12ihipStream_tbEUlT_E_NS1_11comp_targetILNS1_3genE3ELNS1_11target_archE908ELNS1_3gpuE7ELNS1_3repE0EEENS1_30default_config_static_selectorELNS0_4arch9wavefront6targetE1EEEvT1_
    .private_segment_fixed_size: 0
    .sgpr_count:     4
    .sgpr_spill_count: 0
    .symbol:         _ZN7rocprim17ROCPRIM_400000_NS6detail17trampoline_kernelINS0_14default_configENS1_35adjacent_difference_config_selectorILb0EhEEZNS1_24adjacent_difference_implIS3_Lb0ELb0EPKhPhN6thrust23THRUST_200600_302600_NS4plusIhEEEE10hipError_tPvRmT2_T3_mT4_P12ihipStream_tbEUlT_E_NS1_11comp_targetILNS1_3genE3ELNS1_11target_archE908ELNS1_3gpuE7ELNS1_3repE0EEENS1_30default_config_static_selectorELNS0_4arch9wavefront6targetE1EEEvT1_.kd
    .uniform_work_group_size: 1
    .uses_dynamic_stack: false
    .vgpr_count:     0
    .vgpr_spill_count: 0
    .wavefront_size: 64
  - .agpr_count:     0
    .args:
      - .offset:         0
        .size:           56
        .value_kind:     by_value
    .group_segment_fixed_size: 0
    .kernarg_segment_align: 8
    .kernarg_segment_size: 56
    .language:       OpenCL C
    .language_version:
      - 2
      - 0
    .max_flat_workgroup_size: 64
    .name:           _ZN7rocprim17ROCPRIM_400000_NS6detail17trampoline_kernelINS0_14default_configENS1_35adjacent_difference_config_selectorILb0EhEEZNS1_24adjacent_difference_implIS3_Lb0ELb0EPKhPhN6thrust23THRUST_200600_302600_NS4plusIhEEEE10hipError_tPvRmT2_T3_mT4_P12ihipStream_tbEUlT_E_NS1_11comp_targetILNS1_3genE2ELNS1_11target_archE906ELNS1_3gpuE6ELNS1_3repE0EEENS1_30default_config_static_selectorELNS0_4arch9wavefront6targetE1EEEvT1_
    .private_segment_fixed_size: 0
    .sgpr_count:     4
    .sgpr_spill_count: 0
    .symbol:         _ZN7rocprim17ROCPRIM_400000_NS6detail17trampoline_kernelINS0_14default_configENS1_35adjacent_difference_config_selectorILb0EhEEZNS1_24adjacent_difference_implIS3_Lb0ELb0EPKhPhN6thrust23THRUST_200600_302600_NS4plusIhEEEE10hipError_tPvRmT2_T3_mT4_P12ihipStream_tbEUlT_E_NS1_11comp_targetILNS1_3genE2ELNS1_11target_archE906ELNS1_3gpuE6ELNS1_3repE0EEENS1_30default_config_static_selectorELNS0_4arch9wavefront6targetE1EEEvT1_.kd
    .uniform_work_group_size: 1
    .uses_dynamic_stack: false
    .vgpr_count:     0
    .vgpr_spill_count: 0
    .wavefront_size: 64
  - .agpr_count:     0
    .args:
      - .offset:         0
        .size:           56
        .value_kind:     by_value
    .group_segment_fixed_size: 0
    .kernarg_segment_align: 8
    .kernarg_segment_size: 56
    .language:       OpenCL C
    .language_version:
      - 2
      - 0
    .max_flat_workgroup_size: 64
    .name:           _ZN7rocprim17ROCPRIM_400000_NS6detail17trampoline_kernelINS0_14default_configENS1_35adjacent_difference_config_selectorILb0EhEEZNS1_24adjacent_difference_implIS3_Lb0ELb0EPKhPhN6thrust23THRUST_200600_302600_NS4plusIhEEEE10hipError_tPvRmT2_T3_mT4_P12ihipStream_tbEUlT_E_NS1_11comp_targetILNS1_3genE9ELNS1_11target_archE1100ELNS1_3gpuE3ELNS1_3repE0EEENS1_30default_config_static_selectorELNS0_4arch9wavefront6targetE1EEEvT1_
    .private_segment_fixed_size: 0
    .sgpr_count:     4
    .sgpr_spill_count: 0
    .symbol:         _ZN7rocprim17ROCPRIM_400000_NS6detail17trampoline_kernelINS0_14default_configENS1_35adjacent_difference_config_selectorILb0EhEEZNS1_24adjacent_difference_implIS3_Lb0ELb0EPKhPhN6thrust23THRUST_200600_302600_NS4plusIhEEEE10hipError_tPvRmT2_T3_mT4_P12ihipStream_tbEUlT_E_NS1_11comp_targetILNS1_3genE9ELNS1_11target_archE1100ELNS1_3gpuE3ELNS1_3repE0EEENS1_30default_config_static_selectorELNS0_4arch9wavefront6targetE1EEEvT1_.kd
    .uniform_work_group_size: 1
    .uses_dynamic_stack: false
    .vgpr_count:     0
    .vgpr_spill_count: 0
    .wavefront_size: 64
  - .agpr_count:     0
    .args:
      - .offset:         0
        .size:           56
        .value_kind:     by_value
    .group_segment_fixed_size: 0
    .kernarg_segment_align: 8
    .kernarg_segment_size: 56
    .language:       OpenCL C
    .language_version:
      - 2
      - 0
    .max_flat_workgroup_size: 64
    .name:           _ZN7rocprim17ROCPRIM_400000_NS6detail17trampoline_kernelINS0_14default_configENS1_35adjacent_difference_config_selectorILb0EhEEZNS1_24adjacent_difference_implIS3_Lb0ELb0EPKhPhN6thrust23THRUST_200600_302600_NS4plusIhEEEE10hipError_tPvRmT2_T3_mT4_P12ihipStream_tbEUlT_E_NS1_11comp_targetILNS1_3genE8ELNS1_11target_archE1030ELNS1_3gpuE2ELNS1_3repE0EEENS1_30default_config_static_selectorELNS0_4arch9wavefront6targetE1EEEvT1_
    .private_segment_fixed_size: 0
    .sgpr_count:     4
    .sgpr_spill_count: 0
    .symbol:         _ZN7rocprim17ROCPRIM_400000_NS6detail17trampoline_kernelINS0_14default_configENS1_35adjacent_difference_config_selectorILb0EhEEZNS1_24adjacent_difference_implIS3_Lb0ELb0EPKhPhN6thrust23THRUST_200600_302600_NS4plusIhEEEE10hipError_tPvRmT2_T3_mT4_P12ihipStream_tbEUlT_E_NS1_11comp_targetILNS1_3genE8ELNS1_11target_archE1030ELNS1_3gpuE2ELNS1_3repE0EEENS1_30default_config_static_selectorELNS0_4arch9wavefront6targetE1EEEvT1_.kd
    .uniform_work_group_size: 1
    .uses_dynamic_stack: false
    .vgpr_count:     0
    .vgpr_spill_count: 0
    .wavefront_size: 64
  - .agpr_count:     0
    .args:
      - .offset:         0
        .size:           56
        .value_kind:     by_value
    .group_segment_fixed_size: 0
    .kernarg_segment_align: 8
    .kernarg_segment_size: 56
    .language:       OpenCL C
    .language_version:
      - 2
      - 0
    .max_flat_workgroup_size: 128
    .name:           _ZN7rocprim17ROCPRIM_400000_NS6detail17trampoline_kernelINS0_14default_configENS1_25transform_config_selectorIhLb0EEEZNS1_14transform_implILb0ES3_S5_NS0_18transform_iteratorINS0_17counting_iteratorImlEEZNS1_24adjacent_difference_implIS3_Lb1ELb0EPKhPhN6thrust23THRUST_200600_302600_NS4plusIhEEEE10hipError_tPvRmT2_T3_mT4_P12ihipStream_tbEUlmE_hEESD_NS0_8identityIvEEEESI_SL_SM_mSN_SP_bEUlT_E_NS1_11comp_targetILNS1_3genE0ELNS1_11target_archE4294967295ELNS1_3gpuE0ELNS1_3repE0EEENS1_30default_config_static_selectorELNS0_4arch9wavefront6targetE1EEEvT1_
    .private_segment_fixed_size: 0
    .sgpr_count:     4
    .sgpr_spill_count: 0
    .symbol:         _ZN7rocprim17ROCPRIM_400000_NS6detail17trampoline_kernelINS0_14default_configENS1_25transform_config_selectorIhLb0EEEZNS1_14transform_implILb0ES3_S5_NS0_18transform_iteratorINS0_17counting_iteratorImlEEZNS1_24adjacent_difference_implIS3_Lb1ELb0EPKhPhN6thrust23THRUST_200600_302600_NS4plusIhEEEE10hipError_tPvRmT2_T3_mT4_P12ihipStream_tbEUlmE_hEESD_NS0_8identityIvEEEESI_SL_SM_mSN_SP_bEUlT_E_NS1_11comp_targetILNS1_3genE0ELNS1_11target_archE4294967295ELNS1_3gpuE0ELNS1_3repE0EEENS1_30default_config_static_selectorELNS0_4arch9wavefront6targetE1EEEvT1_.kd
    .uniform_work_group_size: 1
    .uses_dynamic_stack: false
    .vgpr_count:     0
    .vgpr_spill_count: 0
    .wavefront_size: 64
  - .agpr_count:     0
    .args:
      - .offset:         0
        .size:           56
        .value_kind:     by_value
    .group_segment_fixed_size: 0
    .kernarg_segment_align: 8
    .kernarg_segment_size: 56
    .language:       OpenCL C
    .language_version:
      - 2
      - 0
    .max_flat_workgroup_size: 1024
    .name:           _ZN7rocprim17ROCPRIM_400000_NS6detail17trampoline_kernelINS0_14default_configENS1_25transform_config_selectorIhLb0EEEZNS1_14transform_implILb0ES3_S5_NS0_18transform_iteratorINS0_17counting_iteratorImlEEZNS1_24adjacent_difference_implIS3_Lb1ELb0EPKhPhN6thrust23THRUST_200600_302600_NS4plusIhEEEE10hipError_tPvRmT2_T3_mT4_P12ihipStream_tbEUlmE_hEESD_NS0_8identityIvEEEESI_SL_SM_mSN_SP_bEUlT_E_NS1_11comp_targetILNS1_3genE5ELNS1_11target_archE942ELNS1_3gpuE9ELNS1_3repE0EEENS1_30default_config_static_selectorELNS0_4arch9wavefront6targetE1EEEvT1_
    .private_segment_fixed_size: 0
    .sgpr_count:     4
    .sgpr_spill_count: 0
    .symbol:         _ZN7rocprim17ROCPRIM_400000_NS6detail17trampoline_kernelINS0_14default_configENS1_25transform_config_selectorIhLb0EEEZNS1_14transform_implILb0ES3_S5_NS0_18transform_iteratorINS0_17counting_iteratorImlEEZNS1_24adjacent_difference_implIS3_Lb1ELb0EPKhPhN6thrust23THRUST_200600_302600_NS4plusIhEEEE10hipError_tPvRmT2_T3_mT4_P12ihipStream_tbEUlmE_hEESD_NS0_8identityIvEEEESI_SL_SM_mSN_SP_bEUlT_E_NS1_11comp_targetILNS1_3genE5ELNS1_11target_archE942ELNS1_3gpuE9ELNS1_3repE0EEENS1_30default_config_static_selectorELNS0_4arch9wavefront6targetE1EEEvT1_.kd
    .uniform_work_group_size: 1
    .uses_dynamic_stack: false
    .vgpr_count:     0
    .vgpr_spill_count: 0
    .wavefront_size: 64
  - .agpr_count:     0
    .args:
      - .offset:         0
        .size:           56
        .value_kind:     by_value
      - .offset:         56
        .size:           4
        .value_kind:     hidden_block_count_x
      - .offset:         60
        .size:           4
        .value_kind:     hidden_block_count_y
      - .offset:         64
        .size:           4
        .value_kind:     hidden_block_count_z
      - .offset:         68
        .size:           2
        .value_kind:     hidden_group_size_x
      - .offset:         70
        .size:           2
        .value_kind:     hidden_group_size_y
      - .offset:         72
        .size:           2
        .value_kind:     hidden_group_size_z
      - .offset:         74
        .size:           2
        .value_kind:     hidden_remainder_x
      - .offset:         76
        .size:           2
        .value_kind:     hidden_remainder_y
      - .offset:         78
        .size:           2
        .value_kind:     hidden_remainder_z
      - .offset:         96
        .size:           8
        .value_kind:     hidden_global_offset_x
      - .offset:         104
        .size:           8
        .value_kind:     hidden_global_offset_y
      - .offset:         112
        .size:           8
        .value_kind:     hidden_global_offset_z
      - .offset:         120
        .size:           2
        .value_kind:     hidden_grid_dims
    .group_segment_fixed_size: 0
    .kernarg_segment_align: 8
    .kernarg_segment_size: 312
    .language:       OpenCL C
    .language_version:
      - 2
      - 0
    .max_flat_workgroup_size: 64
    .name:           _ZN7rocprim17ROCPRIM_400000_NS6detail17trampoline_kernelINS0_14default_configENS1_25transform_config_selectorIhLb0EEEZNS1_14transform_implILb0ES3_S5_NS0_18transform_iteratorINS0_17counting_iteratorImlEEZNS1_24adjacent_difference_implIS3_Lb1ELb0EPKhPhN6thrust23THRUST_200600_302600_NS4plusIhEEEE10hipError_tPvRmT2_T3_mT4_P12ihipStream_tbEUlmE_hEESD_NS0_8identityIvEEEESI_SL_SM_mSN_SP_bEUlT_E_NS1_11comp_targetILNS1_3genE4ELNS1_11target_archE910ELNS1_3gpuE8ELNS1_3repE0EEENS1_30default_config_static_selectorELNS0_4arch9wavefront6targetE1EEEvT1_
    .private_segment_fixed_size: 0
    .sgpr_count:     50
    .sgpr_spill_count: 0
    .symbol:         _ZN7rocprim17ROCPRIM_400000_NS6detail17trampoline_kernelINS0_14default_configENS1_25transform_config_selectorIhLb0EEEZNS1_14transform_implILb0ES3_S5_NS0_18transform_iteratorINS0_17counting_iteratorImlEEZNS1_24adjacent_difference_implIS3_Lb1ELb0EPKhPhN6thrust23THRUST_200600_302600_NS4plusIhEEEE10hipError_tPvRmT2_T3_mT4_P12ihipStream_tbEUlmE_hEESD_NS0_8identityIvEEEESI_SL_SM_mSN_SP_bEUlT_E_NS1_11comp_targetILNS1_3genE4ELNS1_11target_archE910ELNS1_3gpuE8ELNS1_3repE0EEENS1_30default_config_static_selectorELNS0_4arch9wavefront6targetE1EEEvT1_.kd
    .uniform_work_group_size: 1
    .uses_dynamic_stack: false
    .vgpr_count:     20
    .vgpr_spill_count: 0
    .wavefront_size: 64
  - .agpr_count:     0
    .args:
      - .offset:         0
        .size:           56
        .value_kind:     by_value
    .group_segment_fixed_size: 0
    .kernarg_segment_align: 8
    .kernarg_segment_size: 56
    .language:       OpenCL C
    .language_version:
      - 2
      - 0
    .max_flat_workgroup_size: 128
    .name:           _ZN7rocprim17ROCPRIM_400000_NS6detail17trampoline_kernelINS0_14default_configENS1_25transform_config_selectorIhLb0EEEZNS1_14transform_implILb0ES3_S5_NS0_18transform_iteratorINS0_17counting_iteratorImlEEZNS1_24adjacent_difference_implIS3_Lb1ELb0EPKhPhN6thrust23THRUST_200600_302600_NS4plusIhEEEE10hipError_tPvRmT2_T3_mT4_P12ihipStream_tbEUlmE_hEESD_NS0_8identityIvEEEESI_SL_SM_mSN_SP_bEUlT_E_NS1_11comp_targetILNS1_3genE3ELNS1_11target_archE908ELNS1_3gpuE7ELNS1_3repE0EEENS1_30default_config_static_selectorELNS0_4arch9wavefront6targetE1EEEvT1_
    .private_segment_fixed_size: 0
    .sgpr_count:     4
    .sgpr_spill_count: 0
    .symbol:         _ZN7rocprim17ROCPRIM_400000_NS6detail17trampoline_kernelINS0_14default_configENS1_25transform_config_selectorIhLb0EEEZNS1_14transform_implILb0ES3_S5_NS0_18transform_iteratorINS0_17counting_iteratorImlEEZNS1_24adjacent_difference_implIS3_Lb1ELb0EPKhPhN6thrust23THRUST_200600_302600_NS4plusIhEEEE10hipError_tPvRmT2_T3_mT4_P12ihipStream_tbEUlmE_hEESD_NS0_8identityIvEEEESI_SL_SM_mSN_SP_bEUlT_E_NS1_11comp_targetILNS1_3genE3ELNS1_11target_archE908ELNS1_3gpuE7ELNS1_3repE0EEENS1_30default_config_static_selectorELNS0_4arch9wavefront6targetE1EEEvT1_.kd
    .uniform_work_group_size: 1
    .uses_dynamic_stack: false
    .vgpr_count:     0
    .vgpr_spill_count: 0
    .wavefront_size: 64
  - .agpr_count:     0
    .args:
      - .offset:         0
        .size:           56
        .value_kind:     by_value
    .group_segment_fixed_size: 0
    .kernarg_segment_align: 8
    .kernarg_segment_size: 56
    .language:       OpenCL C
    .language_version:
      - 2
      - 0
    .max_flat_workgroup_size: 64
    .name:           _ZN7rocprim17ROCPRIM_400000_NS6detail17trampoline_kernelINS0_14default_configENS1_25transform_config_selectorIhLb0EEEZNS1_14transform_implILb0ES3_S5_NS0_18transform_iteratorINS0_17counting_iteratorImlEEZNS1_24adjacent_difference_implIS3_Lb1ELb0EPKhPhN6thrust23THRUST_200600_302600_NS4plusIhEEEE10hipError_tPvRmT2_T3_mT4_P12ihipStream_tbEUlmE_hEESD_NS0_8identityIvEEEESI_SL_SM_mSN_SP_bEUlT_E_NS1_11comp_targetILNS1_3genE2ELNS1_11target_archE906ELNS1_3gpuE6ELNS1_3repE0EEENS1_30default_config_static_selectorELNS0_4arch9wavefront6targetE1EEEvT1_
    .private_segment_fixed_size: 0
    .sgpr_count:     4
    .sgpr_spill_count: 0
    .symbol:         _ZN7rocprim17ROCPRIM_400000_NS6detail17trampoline_kernelINS0_14default_configENS1_25transform_config_selectorIhLb0EEEZNS1_14transform_implILb0ES3_S5_NS0_18transform_iteratorINS0_17counting_iteratorImlEEZNS1_24adjacent_difference_implIS3_Lb1ELb0EPKhPhN6thrust23THRUST_200600_302600_NS4plusIhEEEE10hipError_tPvRmT2_T3_mT4_P12ihipStream_tbEUlmE_hEESD_NS0_8identityIvEEEESI_SL_SM_mSN_SP_bEUlT_E_NS1_11comp_targetILNS1_3genE2ELNS1_11target_archE906ELNS1_3gpuE6ELNS1_3repE0EEENS1_30default_config_static_selectorELNS0_4arch9wavefront6targetE1EEEvT1_.kd
    .uniform_work_group_size: 1
    .uses_dynamic_stack: false
    .vgpr_count:     0
    .vgpr_spill_count: 0
    .wavefront_size: 64
  - .agpr_count:     0
    .args:
      - .offset:         0
        .size:           56
        .value_kind:     by_value
    .group_segment_fixed_size: 0
    .kernarg_segment_align: 8
    .kernarg_segment_size: 56
    .language:       OpenCL C
    .language_version:
      - 2
      - 0
    .max_flat_workgroup_size: 256
    .name:           _ZN7rocprim17ROCPRIM_400000_NS6detail17trampoline_kernelINS0_14default_configENS1_25transform_config_selectorIhLb0EEEZNS1_14transform_implILb0ES3_S5_NS0_18transform_iteratorINS0_17counting_iteratorImlEEZNS1_24adjacent_difference_implIS3_Lb1ELb0EPKhPhN6thrust23THRUST_200600_302600_NS4plusIhEEEE10hipError_tPvRmT2_T3_mT4_P12ihipStream_tbEUlmE_hEESD_NS0_8identityIvEEEESI_SL_SM_mSN_SP_bEUlT_E_NS1_11comp_targetILNS1_3genE10ELNS1_11target_archE1201ELNS1_3gpuE5ELNS1_3repE0EEENS1_30default_config_static_selectorELNS0_4arch9wavefront6targetE1EEEvT1_
    .private_segment_fixed_size: 0
    .sgpr_count:     4
    .sgpr_spill_count: 0
    .symbol:         _ZN7rocprim17ROCPRIM_400000_NS6detail17trampoline_kernelINS0_14default_configENS1_25transform_config_selectorIhLb0EEEZNS1_14transform_implILb0ES3_S5_NS0_18transform_iteratorINS0_17counting_iteratorImlEEZNS1_24adjacent_difference_implIS3_Lb1ELb0EPKhPhN6thrust23THRUST_200600_302600_NS4plusIhEEEE10hipError_tPvRmT2_T3_mT4_P12ihipStream_tbEUlmE_hEESD_NS0_8identityIvEEEESI_SL_SM_mSN_SP_bEUlT_E_NS1_11comp_targetILNS1_3genE10ELNS1_11target_archE1201ELNS1_3gpuE5ELNS1_3repE0EEENS1_30default_config_static_selectorELNS0_4arch9wavefront6targetE1EEEvT1_.kd
    .uniform_work_group_size: 1
    .uses_dynamic_stack: false
    .vgpr_count:     0
    .vgpr_spill_count: 0
    .wavefront_size: 64
  - .agpr_count:     0
    .args:
      - .offset:         0
        .size:           56
        .value_kind:     by_value
    .group_segment_fixed_size: 0
    .kernarg_segment_align: 8
    .kernarg_segment_size: 56
    .language:       OpenCL C
    .language_version:
      - 2
      - 0
    .max_flat_workgroup_size: 256
    .name:           _ZN7rocprim17ROCPRIM_400000_NS6detail17trampoline_kernelINS0_14default_configENS1_25transform_config_selectorIhLb0EEEZNS1_14transform_implILb0ES3_S5_NS0_18transform_iteratorINS0_17counting_iteratorImlEEZNS1_24adjacent_difference_implIS3_Lb1ELb0EPKhPhN6thrust23THRUST_200600_302600_NS4plusIhEEEE10hipError_tPvRmT2_T3_mT4_P12ihipStream_tbEUlmE_hEESD_NS0_8identityIvEEEESI_SL_SM_mSN_SP_bEUlT_E_NS1_11comp_targetILNS1_3genE10ELNS1_11target_archE1200ELNS1_3gpuE4ELNS1_3repE0EEENS1_30default_config_static_selectorELNS0_4arch9wavefront6targetE1EEEvT1_
    .private_segment_fixed_size: 0
    .sgpr_count:     4
    .sgpr_spill_count: 0
    .symbol:         _ZN7rocprim17ROCPRIM_400000_NS6detail17trampoline_kernelINS0_14default_configENS1_25transform_config_selectorIhLb0EEEZNS1_14transform_implILb0ES3_S5_NS0_18transform_iteratorINS0_17counting_iteratorImlEEZNS1_24adjacent_difference_implIS3_Lb1ELb0EPKhPhN6thrust23THRUST_200600_302600_NS4plusIhEEEE10hipError_tPvRmT2_T3_mT4_P12ihipStream_tbEUlmE_hEESD_NS0_8identityIvEEEESI_SL_SM_mSN_SP_bEUlT_E_NS1_11comp_targetILNS1_3genE10ELNS1_11target_archE1200ELNS1_3gpuE4ELNS1_3repE0EEENS1_30default_config_static_selectorELNS0_4arch9wavefront6targetE1EEEvT1_.kd
    .uniform_work_group_size: 1
    .uses_dynamic_stack: false
    .vgpr_count:     0
    .vgpr_spill_count: 0
    .wavefront_size: 64
  - .agpr_count:     0
    .args:
      - .offset:         0
        .size:           56
        .value_kind:     by_value
    .group_segment_fixed_size: 0
    .kernarg_segment_align: 8
    .kernarg_segment_size: 56
    .language:       OpenCL C
    .language_version:
      - 2
      - 0
    .max_flat_workgroup_size: 1024
    .name:           _ZN7rocprim17ROCPRIM_400000_NS6detail17trampoline_kernelINS0_14default_configENS1_25transform_config_selectorIhLb0EEEZNS1_14transform_implILb0ES3_S5_NS0_18transform_iteratorINS0_17counting_iteratorImlEEZNS1_24adjacent_difference_implIS3_Lb1ELb0EPKhPhN6thrust23THRUST_200600_302600_NS4plusIhEEEE10hipError_tPvRmT2_T3_mT4_P12ihipStream_tbEUlmE_hEESD_NS0_8identityIvEEEESI_SL_SM_mSN_SP_bEUlT_E_NS1_11comp_targetILNS1_3genE9ELNS1_11target_archE1100ELNS1_3gpuE3ELNS1_3repE0EEENS1_30default_config_static_selectorELNS0_4arch9wavefront6targetE1EEEvT1_
    .private_segment_fixed_size: 0
    .sgpr_count:     4
    .sgpr_spill_count: 0
    .symbol:         _ZN7rocprim17ROCPRIM_400000_NS6detail17trampoline_kernelINS0_14default_configENS1_25transform_config_selectorIhLb0EEEZNS1_14transform_implILb0ES3_S5_NS0_18transform_iteratorINS0_17counting_iteratorImlEEZNS1_24adjacent_difference_implIS3_Lb1ELb0EPKhPhN6thrust23THRUST_200600_302600_NS4plusIhEEEE10hipError_tPvRmT2_T3_mT4_P12ihipStream_tbEUlmE_hEESD_NS0_8identityIvEEEESI_SL_SM_mSN_SP_bEUlT_E_NS1_11comp_targetILNS1_3genE9ELNS1_11target_archE1100ELNS1_3gpuE3ELNS1_3repE0EEENS1_30default_config_static_selectorELNS0_4arch9wavefront6targetE1EEEvT1_.kd
    .uniform_work_group_size: 1
    .uses_dynamic_stack: false
    .vgpr_count:     0
    .vgpr_spill_count: 0
    .wavefront_size: 64
  - .agpr_count:     0
    .args:
      - .offset:         0
        .size:           56
        .value_kind:     by_value
    .group_segment_fixed_size: 0
    .kernarg_segment_align: 8
    .kernarg_segment_size: 56
    .language:       OpenCL C
    .language_version:
      - 2
      - 0
    .max_flat_workgroup_size: 128
    .name:           _ZN7rocprim17ROCPRIM_400000_NS6detail17trampoline_kernelINS0_14default_configENS1_25transform_config_selectorIhLb0EEEZNS1_14transform_implILb0ES3_S5_NS0_18transform_iteratorINS0_17counting_iteratorImlEEZNS1_24adjacent_difference_implIS3_Lb1ELb0EPKhPhN6thrust23THRUST_200600_302600_NS4plusIhEEEE10hipError_tPvRmT2_T3_mT4_P12ihipStream_tbEUlmE_hEESD_NS0_8identityIvEEEESI_SL_SM_mSN_SP_bEUlT_E_NS1_11comp_targetILNS1_3genE8ELNS1_11target_archE1030ELNS1_3gpuE2ELNS1_3repE0EEENS1_30default_config_static_selectorELNS0_4arch9wavefront6targetE1EEEvT1_
    .private_segment_fixed_size: 0
    .sgpr_count:     4
    .sgpr_spill_count: 0
    .symbol:         _ZN7rocprim17ROCPRIM_400000_NS6detail17trampoline_kernelINS0_14default_configENS1_25transform_config_selectorIhLb0EEEZNS1_14transform_implILb0ES3_S5_NS0_18transform_iteratorINS0_17counting_iteratorImlEEZNS1_24adjacent_difference_implIS3_Lb1ELb0EPKhPhN6thrust23THRUST_200600_302600_NS4plusIhEEEE10hipError_tPvRmT2_T3_mT4_P12ihipStream_tbEUlmE_hEESD_NS0_8identityIvEEEESI_SL_SM_mSN_SP_bEUlT_E_NS1_11comp_targetILNS1_3genE8ELNS1_11target_archE1030ELNS1_3gpuE2ELNS1_3repE0EEENS1_30default_config_static_selectorELNS0_4arch9wavefront6targetE1EEEvT1_.kd
    .uniform_work_group_size: 1
    .uses_dynamic_stack: false
    .vgpr_count:     0
    .vgpr_spill_count: 0
    .wavefront_size: 64
  - .agpr_count:     0
    .args:
      - .offset:         0
        .size:           56
        .value_kind:     by_value
    .group_segment_fixed_size: 0
    .kernarg_segment_align: 8
    .kernarg_segment_size: 56
    .language:       OpenCL C
    .language_version:
      - 2
      - 0
    .max_flat_workgroup_size: 64
    .name:           _ZN7rocprim17ROCPRIM_400000_NS6detail17trampoline_kernelINS0_14default_configENS1_35adjacent_difference_config_selectorILb1EhEEZNS1_24adjacent_difference_implIS3_Lb1ELb0EPKhPhN6thrust23THRUST_200600_302600_NS4plusIhEEEE10hipError_tPvRmT2_T3_mT4_P12ihipStream_tbEUlT_E_NS1_11comp_targetILNS1_3genE0ELNS1_11target_archE4294967295ELNS1_3gpuE0ELNS1_3repE0EEENS1_30default_config_static_selectorELNS0_4arch9wavefront6targetE1EEEvT1_
    .private_segment_fixed_size: 0
    .sgpr_count:     4
    .sgpr_spill_count: 0
    .symbol:         _ZN7rocprim17ROCPRIM_400000_NS6detail17trampoline_kernelINS0_14default_configENS1_35adjacent_difference_config_selectorILb1EhEEZNS1_24adjacent_difference_implIS3_Lb1ELb0EPKhPhN6thrust23THRUST_200600_302600_NS4plusIhEEEE10hipError_tPvRmT2_T3_mT4_P12ihipStream_tbEUlT_E_NS1_11comp_targetILNS1_3genE0ELNS1_11target_archE4294967295ELNS1_3gpuE0ELNS1_3repE0EEENS1_30default_config_static_selectorELNS0_4arch9wavefront6targetE1EEEvT1_.kd
    .uniform_work_group_size: 1
    .uses_dynamic_stack: false
    .vgpr_count:     0
    .vgpr_spill_count: 0
    .wavefront_size: 64
  - .agpr_count:     0
    .args:
      - .offset:         0
        .size:           56
        .value_kind:     by_value
    .group_segment_fixed_size: 0
    .kernarg_segment_align: 8
    .kernarg_segment_size: 56
    .language:       OpenCL C
    .language_version:
      - 2
      - 0
    .max_flat_workgroup_size: 128
    .name:           _ZN7rocprim17ROCPRIM_400000_NS6detail17trampoline_kernelINS0_14default_configENS1_35adjacent_difference_config_selectorILb1EhEEZNS1_24adjacent_difference_implIS3_Lb1ELb0EPKhPhN6thrust23THRUST_200600_302600_NS4plusIhEEEE10hipError_tPvRmT2_T3_mT4_P12ihipStream_tbEUlT_E_NS1_11comp_targetILNS1_3genE10ELNS1_11target_archE1201ELNS1_3gpuE5ELNS1_3repE0EEENS1_30default_config_static_selectorELNS0_4arch9wavefront6targetE1EEEvT1_
    .private_segment_fixed_size: 0
    .sgpr_count:     4
    .sgpr_spill_count: 0
    .symbol:         _ZN7rocprim17ROCPRIM_400000_NS6detail17trampoline_kernelINS0_14default_configENS1_35adjacent_difference_config_selectorILb1EhEEZNS1_24adjacent_difference_implIS3_Lb1ELb0EPKhPhN6thrust23THRUST_200600_302600_NS4plusIhEEEE10hipError_tPvRmT2_T3_mT4_P12ihipStream_tbEUlT_E_NS1_11comp_targetILNS1_3genE10ELNS1_11target_archE1201ELNS1_3gpuE5ELNS1_3repE0EEENS1_30default_config_static_selectorELNS0_4arch9wavefront6targetE1EEEvT1_.kd
    .uniform_work_group_size: 1
    .uses_dynamic_stack: false
    .vgpr_count:     0
    .vgpr_spill_count: 0
    .wavefront_size: 64
  - .agpr_count:     0
    .args:
      - .offset:         0
        .size:           56
        .value_kind:     by_value
    .group_segment_fixed_size: 0
    .kernarg_segment_align: 8
    .kernarg_segment_size: 56
    .language:       OpenCL C
    .language_version:
      - 2
      - 0
    .max_flat_workgroup_size: 128
    .name:           _ZN7rocprim17ROCPRIM_400000_NS6detail17trampoline_kernelINS0_14default_configENS1_35adjacent_difference_config_selectorILb1EhEEZNS1_24adjacent_difference_implIS3_Lb1ELb0EPKhPhN6thrust23THRUST_200600_302600_NS4plusIhEEEE10hipError_tPvRmT2_T3_mT4_P12ihipStream_tbEUlT_E_NS1_11comp_targetILNS1_3genE5ELNS1_11target_archE942ELNS1_3gpuE9ELNS1_3repE0EEENS1_30default_config_static_selectorELNS0_4arch9wavefront6targetE1EEEvT1_
    .private_segment_fixed_size: 0
    .sgpr_count:     4
    .sgpr_spill_count: 0
    .symbol:         _ZN7rocprim17ROCPRIM_400000_NS6detail17trampoline_kernelINS0_14default_configENS1_35adjacent_difference_config_selectorILb1EhEEZNS1_24adjacent_difference_implIS3_Lb1ELb0EPKhPhN6thrust23THRUST_200600_302600_NS4plusIhEEEE10hipError_tPvRmT2_T3_mT4_P12ihipStream_tbEUlT_E_NS1_11comp_targetILNS1_3genE5ELNS1_11target_archE942ELNS1_3gpuE9ELNS1_3repE0EEENS1_30default_config_static_selectorELNS0_4arch9wavefront6targetE1EEEvT1_.kd
    .uniform_work_group_size: 1
    .uses_dynamic_stack: false
    .vgpr_count:     0
    .vgpr_spill_count: 0
    .wavefront_size: 64
  - .agpr_count:     0
    .args:
      - .offset:         0
        .size:           56
        .value_kind:     by_value
    .group_segment_fixed_size: 2432
    .kernarg_segment_align: 8
    .kernarg_segment_size: 56
    .language:       OpenCL C
    .language_version:
      - 2
      - 0
    .max_flat_workgroup_size: 128
    .name:           _ZN7rocprim17ROCPRIM_400000_NS6detail17trampoline_kernelINS0_14default_configENS1_35adjacent_difference_config_selectorILb1EhEEZNS1_24adjacent_difference_implIS3_Lb1ELb0EPKhPhN6thrust23THRUST_200600_302600_NS4plusIhEEEE10hipError_tPvRmT2_T3_mT4_P12ihipStream_tbEUlT_E_NS1_11comp_targetILNS1_3genE4ELNS1_11target_archE910ELNS1_3gpuE8ELNS1_3repE0EEENS1_30default_config_static_selectorELNS0_4arch9wavefront6targetE1EEEvT1_
    .private_segment_fixed_size: 0
    .sgpr_count:     52
    .sgpr_spill_count: 0
    .symbol:         _ZN7rocprim17ROCPRIM_400000_NS6detail17trampoline_kernelINS0_14default_configENS1_35adjacent_difference_config_selectorILb1EhEEZNS1_24adjacent_difference_implIS3_Lb1ELb0EPKhPhN6thrust23THRUST_200600_302600_NS4plusIhEEEE10hipError_tPvRmT2_T3_mT4_P12ihipStream_tbEUlT_E_NS1_11comp_targetILNS1_3genE4ELNS1_11target_archE910ELNS1_3gpuE8ELNS1_3repE0EEENS1_30default_config_static_selectorELNS0_4arch9wavefront6targetE1EEEvT1_.kd
    .uniform_work_group_size: 1
    .uses_dynamic_stack: false
    .vgpr_count:     42
    .vgpr_spill_count: 0
    .wavefront_size: 64
  - .agpr_count:     0
    .args:
      - .offset:         0
        .size:           56
        .value_kind:     by_value
    .group_segment_fixed_size: 0
    .kernarg_segment_align: 8
    .kernarg_segment_size: 56
    .language:       OpenCL C
    .language_version:
      - 2
      - 0
    .max_flat_workgroup_size: 64
    .name:           _ZN7rocprim17ROCPRIM_400000_NS6detail17trampoline_kernelINS0_14default_configENS1_35adjacent_difference_config_selectorILb1EhEEZNS1_24adjacent_difference_implIS3_Lb1ELb0EPKhPhN6thrust23THRUST_200600_302600_NS4plusIhEEEE10hipError_tPvRmT2_T3_mT4_P12ihipStream_tbEUlT_E_NS1_11comp_targetILNS1_3genE3ELNS1_11target_archE908ELNS1_3gpuE7ELNS1_3repE0EEENS1_30default_config_static_selectorELNS0_4arch9wavefront6targetE1EEEvT1_
    .private_segment_fixed_size: 0
    .sgpr_count:     4
    .sgpr_spill_count: 0
    .symbol:         _ZN7rocprim17ROCPRIM_400000_NS6detail17trampoline_kernelINS0_14default_configENS1_35adjacent_difference_config_selectorILb1EhEEZNS1_24adjacent_difference_implIS3_Lb1ELb0EPKhPhN6thrust23THRUST_200600_302600_NS4plusIhEEEE10hipError_tPvRmT2_T3_mT4_P12ihipStream_tbEUlT_E_NS1_11comp_targetILNS1_3genE3ELNS1_11target_archE908ELNS1_3gpuE7ELNS1_3repE0EEENS1_30default_config_static_selectorELNS0_4arch9wavefront6targetE1EEEvT1_.kd
    .uniform_work_group_size: 1
    .uses_dynamic_stack: false
    .vgpr_count:     0
    .vgpr_spill_count: 0
    .wavefront_size: 64
  - .agpr_count:     0
    .args:
      - .offset:         0
        .size:           56
        .value_kind:     by_value
    .group_segment_fixed_size: 0
    .kernarg_segment_align: 8
    .kernarg_segment_size: 56
    .language:       OpenCL C
    .language_version:
      - 2
      - 0
    .max_flat_workgroup_size: 64
    .name:           _ZN7rocprim17ROCPRIM_400000_NS6detail17trampoline_kernelINS0_14default_configENS1_35adjacent_difference_config_selectorILb1EhEEZNS1_24adjacent_difference_implIS3_Lb1ELb0EPKhPhN6thrust23THRUST_200600_302600_NS4plusIhEEEE10hipError_tPvRmT2_T3_mT4_P12ihipStream_tbEUlT_E_NS1_11comp_targetILNS1_3genE2ELNS1_11target_archE906ELNS1_3gpuE6ELNS1_3repE0EEENS1_30default_config_static_selectorELNS0_4arch9wavefront6targetE1EEEvT1_
    .private_segment_fixed_size: 0
    .sgpr_count:     4
    .sgpr_spill_count: 0
    .symbol:         _ZN7rocprim17ROCPRIM_400000_NS6detail17trampoline_kernelINS0_14default_configENS1_35adjacent_difference_config_selectorILb1EhEEZNS1_24adjacent_difference_implIS3_Lb1ELb0EPKhPhN6thrust23THRUST_200600_302600_NS4plusIhEEEE10hipError_tPvRmT2_T3_mT4_P12ihipStream_tbEUlT_E_NS1_11comp_targetILNS1_3genE2ELNS1_11target_archE906ELNS1_3gpuE6ELNS1_3repE0EEENS1_30default_config_static_selectorELNS0_4arch9wavefront6targetE1EEEvT1_.kd
    .uniform_work_group_size: 1
    .uses_dynamic_stack: false
    .vgpr_count:     0
    .vgpr_spill_count: 0
    .wavefront_size: 64
  - .agpr_count:     0
    .args:
      - .offset:         0
        .size:           56
        .value_kind:     by_value
    .group_segment_fixed_size: 0
    .kernarg_segment_align: 8
    .kernarg_segment_size: 56
    .language:       OpenCL C
    .language_version:
      - 2
      - 0
    .max_flat_workgroup_size: 512
    .name:           _ZN7rocprim17ROCPRIM_400000_NS6detail17trampoline_kernelINS0_14default_configENS1_35adjacent_difference_config_selectorILb1EhEEZNS1_24adjacent_difference_implIS3_Lb1ELb0EPKhPhN6thrust23THRUST_200600_302600_NS4plusIhEEEE10hipError_tPvRmT2_T3_mT4_P12ihipStream_tbEUlT_E_NS1_11comp_targetILNS1_3genE9ELNS1_11target_archE1100ELNS1_3gpuE3ELNS1_3repE0EEENS1_30default_config_static_selectorELNS0_4arch9wavefront6targetE1EEEvT1_
    .private_segment_fixed_size: 0
    .sgpr_count:     4
    .sgpr_spill_count: 0
    .symbol:         _ZN7rocprim17ROCPRIM_400000_NS6detail17trampoline_kernelINS0_14default_configENS1_35adjacent_difference_config_selectorILb1EhEEZNS1_24adjacent_difference_implIS3_Lb1ELb0EPKhPhN6thrust23THRUST_200600_302600_NS4plusIhEEEE10hipError_tPvRmT2_T3_mT4_P12ihipStream_tbEUlT_E_NS1_11comp_targetILNS1_3genE9ELNS1_11target_archE1100ELNS1_3gpuE3ELNS1_3repE0EEENS1_30default_config_static_selectorELNS0_4arch9wavefront6targetE1EEEvT1_.kd
    .uniform_work_group_size: 1
    .uses_dynamic_stack: false
    .vgpr_count:     0
    .vgpr_spill_count: 0
    .wavefront_size: 64
  - .agpr_count:     0
    .args:
      - .offset:         0
        .size:           56
        .value_kind:     by_value
    .group_segment_fixed_size: 0
    .kernarg_segment_align: 8
    .kernarg_segment_size: 56
    .language:       OpenCL C
    .language_version:
      - 2
      - 0
    .max_flat_workgroup_size: 1024
    .name:           _ZN7rocprim17ROCPRIM_400000_NS6detail17trampoline_kernelINS0_14default_configENS1_35adjacent_difference_config_selectorILb1EhEEZNS1_24adjacent_difference_implIS3_Lb1ELb0EPKhPhN6thrust23THRUST_200600_302600_NS4plusIhEEEE10hipError_tPvRmT2_T3_mT4_P12ihipStream_tbEUlT_E_NS1_11comp_targetILNS1_3genE8ELNS1_11target_archE1030ELNS1_3gpuE2ELNS1_3repE0EEENS1_30default_config_static_selectorELNS0_4arch9wavefront6targetE1EEEvT1_
    .private_segment_fixed_size: 0
    .sgpr_count:     4
    .sgpr_spill_count: 0
    .symbol:         _ZN7rocprim17ROCPRIM_400000_NS6detail17trampoline_kernelINS0_14default_configENS1_35adjacent_difference_config_selectorILb1EhEEZNS1_24adjacent_difference_implIS3_Lb1ELb0EPKhPhN6thrust23THRUST_200600_302600_NS4plusIhEEEE10hipError_tPvRmT2_T3_mT4_P12ihipStream_tbEUlT_E_NS1_11comp_targetILNS1_3genE8ELNS1_11target_archE1030ELNS1_3gpuE2ELNS1_3repE0EEENS1_30default_config_static_selectorELNS0_4arch9wavefront6targetE1EEEvT1_.kd
    .uniform_work_group_size: 1
    .uses_dynamic_stack: false
    .vgpr_count:     0
    .vgpr_spill_count: 0
    .wavefront_size: 64
  - .agpr_count:     0
    .args:
      - .offset:         0
        .size:           56
        .value_kind:     by_value
    .group_segment_fixed_size: 0
    .kernarg_segment_align: 8
    .kernarg_segment_size: 56
    .language:       OpenCL C
    .language_version:
      - 2
      - 0
    .max_flat_workgroup_size: 64
    .name:           _ZN7rocprim17ROCPRIM_400000_NS6detail17trampoline_kernelINS0_14default_configENS1_35adjacent_difference_config_selectorILb0EsEEZNS1_24adjacent_difference_implIS3_Lb0ELb0EPKsPsN6thrust23THRUST_200600_302600_NS4plusIsEEEE10hipError_tPvRmT2_T3_mT4_P12ihipStream_tbEUlT_E_NS1_11comp_targetILNS1_3genE0ELNS1_11target_archE4294967295ELNS1_3gpuE0ELNS1_3repE0EEENS1_30default_config_static_selectorELNS0_4arch9wavefront6targetE1EEEvT1_
    .private_segment_fixed_size: 0
    .sgpr_count:     4
    .sgpr_spill_count: 0
    .symbol:         _ZN7rocprim17ROCPRIM_400000_NS6detail17trampoline_kernelINS0_14default_configENS1_35adjacent_difference_config_selectorILb0EsEEZNS1_24adjacent_difference_implIS3_Lb0ELb0EPKsPsN6thrust23THRUST_200600_302600_NS4plusIsEEEE10hipError_tPvRmT2_T3_mT4_P12ihipStream_tbEUlT_E_NS1_11comp_targetILNS1_3genE0ELNS1_11target_archE4294967295ELNS1_3gpuE0ELNS1_3repE0EEENS1_30default_config_static_selectorELNS0_4arch9wavefront6targetE1EEEvT1_.kd
    .uniform_work_group_size: 1
    .uses_dynamic_stack: false
    .vgpr_count:     0
    .vgpr_spill_count: 0
    .wavefront_size: 64
  - .agpr_count:     0
    .args:
      - .offset:         0
        .size:           56
        .value_kind:     by_value
    .group_segment_fixed_size: 0
    .kernarg_segment_align: 8
    .kernarg_segment_size: 56
    .language:       OpenCL C
    .language_version:
      - 2
      - 0
    .max_flat_workgroup_size: 128
    .name:           _ZN7rocprim17ROCPRIM_400000_NS6detail17trampoline_kernelINS0_14default_configENS1_35adjacent_difference_config_selectorILb0EsEEZNS1_24adjacent_difference_implIS3_Lb0ELb0EPKsPsN6thrust23THRUST_200600_302600_NS4plusIsEEEE10hipError_tPvRmT2_T3_mT4_P12ihipStream_tbEUlT_E_NS1_11comp_targetILNS1_3genE10ELNS1_11target_archE1201ELNS1_3gpuE5ELNS1_3repE0EEENS1_30default_config_static_selectorELNS0_4arch9wavefront6targetE1EEEvT1_
    .private_segment_fixed_size: 0
    .sgpr_count:     4
    .sgpr_spill_count: 0
    .symbol:         _ZN7rocprim17ROCPRIM_400000_NS6detail17trampoline_kernelINS0_14default_configENS1_35adjacent_difference_config_selectorILb0EsEEZNS1_24adjacent_difference_implIS3_Lb0ELb0EPKsPsN6thrust23THRUST_200600_302600_NS4plusIsEEEE10hipError_tPvRmT2_T3_mT4_P12ihipStream_tbEUlT_E_NS1_11comp_targetILNS1_3genE10ELNS1_11target_archE1201ELNS1_3gpuE5ELNS1_3repE0EEENS1_30default_config_static_selectorELNS0_4arch9wavefront6targetE1EEEvT1_.kd
    .uniform_work_group_size: 1
    .uses_dynamic_stack: false
    .vgpr_count:     0
    .vgpr_spill_count: 0
    .wavefront_size: 64
  - .agpr_count:     0
    .args:
      - .offset:         0
        .size:           56
        .value_kind:     by_value
    .group_segment_fixed_size: 0
    .kernarg_segment_align: 8
    .kernarg_segment_size: 56
    .language:       OpenCL C
    .language_version:
      - 2
      - 0
    .max_flat_workgroup_size: 256
    .name:           _ZN7rocprim17ROCPRIM_400000_NS6detail17trampoline_kernelINS0_14default_configENS1_35adjacent_difference_config_selectorILb0EsEEZNS1_24adjacent_difference_implIS3_Lb0ELb0EPKsPsN6thrust23THRUST_200600_302600_NS4plusIsEEEE10hipError_tPvRmT2_T3_mT4_P12ihipStream_tbEUlT_E_NS1_11comp_targetILNS1_3genE5ELNS1_11target_archE942ELNS1_3gpuE9ELNS1_3repE0EEENS1_30default_config_static_selectorELNS0_4arch9wavefront6targetE1EEEvT1_
    .private_segment_fixed_size: 0
    .sgpr_count:     4
    .sgpr_spill_count: 0
    .symbol:         _ZN7rocprim17ROCPRIM_400000_NS6detail17trampoline_kernelINS0_14default_configENS1_35adjacent_difference_config_selectorILb0EsEEZNS1_24adjacent_difference_implIS3_Lb0ELb0EPKsPsN6thrust23THRUST_200600_302600_NS4plusIsEEEE10hipError_tPvRmT2_T3_mT4_P12ihipStream_tbEUlT_E_NS1_11comp_targetILNS1_3genE5ELNS1_11target_archE942ELNS1_3gpuE9ELNS1_3repE0EEENS1_30default_config_static_selectorELNS0_4arch9wavefront6targetE1EEEvT1_.kd
    .uniform_work_group_size: 1
    .uses_dynamic_stack: false
    .vgpr_count:     0
    .vgpr_spill_count: 0
    .wavefront_size: 64
  - .agpr_count:     0
    .args:
      - .offset:         0
        .size:           56
        .value_kind:     by_value
    .group_segment_fixed_size: 2176
    .kernarg_segment_align: 8
    .kernarg_segment_size: 56
    .language:       OpenCL C
    .language_version:
      - 2
      - 0
    .max_flat_workgroup_size: 64
    .name:           _ZN7rocprim17ROCPRIM_400000_NS6detail17trampoline_kernelINS0_14default_configENS1_35adjacent_difference_config_selectorILb0EsEEZNS1_24adjacent_difference_implIS3_Lb0ELb0EPKsPsN6thrust23THRUST_200600_302600_NS4plusIsEEEE10hipError_tPvRmT2_T3_mT4_P12ihipStream_tbEUlT_E_NS1_11comp_targetILNS1_3genE4ELNS1_11target_archE910ELNS1_3gpuE8ELNS1_3repE0EEENS1_30default_config_static_selectorELNS0_4arch9wavefront6targetE1EEEvT1_
    .private_segment_fixed_size: 0
    .sgpr_count:     27
    .sgpr_spill_count: 0
    .symbol:         _ZN7rocprim17ROCPRIM_400000_NS6detail17trampoline_kernelINS0_14default_configENS1_35adjacent_difference_config_selectorILb0EsEEZNS1_24adjacent_difference_implIS3_Lb0ELb0EPKsPsN6thrust23THRUST_200600_302600_NS4plusIsEEEE10hipError_tPvRmT2_T3_mT4_P12ihipStream_tbEUlT_E_NS1_11comp_targetILNS1_3genE4ELNS1_11target_archE910ELNS1_3gpuE8ELNS1_3repE0EEENS1_30default_config_static_selectorELNS0_4arch9wavefront6targetE1EEEvT1_.kd
    .uniform_work_group_size: 1
    .uses_dynamic_stack: false
    .vgpr_count:     32
    .vgpr_spill_count: 0
    .wavefront_size: 64
  - .agpr_count:     0
    .args:
      - .offset:         0
        .size:           56
        .value_kind:     by_value
    .group_segment_fixed_size: 0
    .kernarg_segment_align: 8
    .kernarg_segment_size: 56
    .language:       OpenCL C
    .language_version:
      - 2
      - 0
    .max_flat_workgroup_size: 64
    .name:           _ZN7rocprim17ROCPRIM_400000_NS6detail17trampoline_kernelINS0_14default_configENS1_35adjacent_difference_config_selectorILb0EsEEZNS1_24adjacent_difference_implIS3_Lb0ELb0EPKsPsN6thrust23THRUST_200600_302600_NS4plusIsEEEE10hipError_tPvRmT2_T3_mT4_P12ihipStream_tbEUlT_E_NS1_11comp_targetILNS1_3genE3ELNS1_11target_archE908ELNS1_3gpuE7ELNS1_3repE0EEENS1_30default_config_static_selectorELNS0_4arch9wavefront6targetE1EEEvT1_
    .private_segment_fixed_size: 0
    .sgpr_count:     4
    .sgpr_spill_count: 0
    .symbol:         _ZN7rocprim17ROCPRIM_400000_NS6detail17trampoline_kernelINS0_14default_configENS1_35adjacent_difference_config_selectorILb0EsEEZNS1_24adjacent_difference_implIS3_Lb0ELb0EPKsPsN6thrust23THRUST_200600_302600_NS4plusIsEEEE10hipError_tPvRmT2_T3_mT4_P12ihipStream_tbEUlT_E_NS1_11comp_targetILNS1_3genE3ELNS1_11target_archE908ELNS1_3gpuE7ELNS1_3repE0EEENS1_30default_config_static_selectorELNS0_4arch9wavefront6targetE1EEEvT1_.kd
    .uniform_work_group_size: 1
    .uses_dynamic_stack: false
    .vgpr_count:     0
    .vgpr_spill_count: 0
    .wavefront_size: 64
  - .agpr_count:     0
    .args:
      - .offset:         0
        .size:           56
        .value_kind:     by_value
    .group_segment_fixed_size: 0
    .kernarg_segment_align: 8
    .kernarg_segment_size: 56
    .language:       OpenCL C
    .language_version:
      - 2
      - 0
    .max_flat_workgroup_size: 64
    .name:           _ZN7rocprim17ROCPRIM_400000_NS6detail17trampoline_kernelINS0_14default_configENS1_35adjacent_difference_config_selectorILb0EsEEZNS1_24adjacent_difference_implIS3_Lb0ELb0EPKsPsN6thrust23THRUST_200600_302600_NS4plusIsEEEE10hipError_tPvRmT2_T3_mT4_P12ihipStream_tbEUlT_E_NS1_11comp_targetILNS1_3genE2ELNS1_11target_archE906ELNS1_3gpuE6ELNS1_3repE0EEENS1_30default_config_static_selectorELNS0_4arch9wavefront6targetE1EEEvT1_
    .private_segment_fixed_size: 0
    .sgpr_count:     4
    .sgpr_spill_count: 0
    .symbol:         _ZN7rocprim17ROCPRIM_400000_NS6detail17trampoline_kernelINS0_14default_configENS1_35adjacent_difference_config_selectorILb0EsEEZNS1_24adjacent_difference_implIS3_Lb0ELb0EPKsPsN6thrust23THRUST_200600_302600_NS4plusIsEEEE10hipError_tPvRmT2_T3_mT4_P12ihipStream_tbEUlT_E_NS1_11comp_targetILNS1_3genE2ELNS1_11target_archE906ELNS1_3gpuE6ELNS1_3repE0EEENS1_30default_config_static_selectorELNS0_4arch9wavefront6targetE1EEEvT1_.kd
    .uniform_work_group_size: 1
    .uses_dynamic_stack: false
    .vgpr_count:     0
    .vgpr_spill_count: 0
    .wavefront_size: 64
  - .agpr_count:     0
    .args:
      - .offset:         0
        .size:           56
        .value_kind:     by_value
    .group_segment_fixed_size: 0
    .kernarg_segment_align: 8
    .kernarg_segment_size: 56
    .language:       OpenCL C
    .language_version:
      - 2
      - 0
    .max_flat_workgroup_size: 64
    .name:           _ZN7rocprim17ROCPRIM_400000_NS6detail17trampoline_kernelINS0_14default_configENS1_35adjacent_difference_config_selectorILb0EsEEZNS1_24adjacent_difference_implIS3_Lb0ELb0EPKsPsN6thrust23THRUST_200600_302600_NS4plusIsEEEE10hipError_tPvRmT2_T3_mT4_P12ihipStream_tbEUlT_E_NS1_11comp_targetILNS1_3genE9ELNS1_11target_archE1100ELNS1_3gpuE3ELNS1_3repE0EEENS1_30default_config_static_selectorELNS0_4arch9wavefront6targetE1EEEvT1_
    .private_segment_fixed_size: 0
    .sgpr_count:     4
    .sgpr_spill_count: 0
    .symbol:         _ZN7rocprim17ROCPRIM_400000_NS6detail17trampoline_kernelINS0_14default_configENS1_35adjacent_difference_config_selectorILb0EsEEZNS1_24adjacent_difference_implIS3_Lb0ELb0EPKsPsN6thrust23THRUST_200600_302600_NS4plusIsEEEE10hipError_tPvRmT2_T3_mT4_P12ihipStream_tbEUlT_E_NS1_11comp_targetILNS1_3genE9ELNS1_11target_archE1100ELNS1_3gpuE3ELNS1_3repE0EEENS1_30default_config_static_selectorELNS0_4arch9wavefront6targetE1EEEvT1_.kd
    .uniform_work_group_size: 1
    .uses_dynamic_stack: false
    .vgpr_count:     0
    .vgpr_spill_count: 0
    .wavefront_size: 64
  - .agpr_count:     0
    .args:
      - .offset:         0
        .size:           56
        .value_kind:     by_value
    .group_segment_fixed_size: 0
    .kernarg_segment_align: 8
    .kernarg_segment_size: 56
    .language:       OpenCL C
    .language_version:
      - 2
      - 0
    .max_flat_workgroup_size: 1024
    .name:           _ZN7rocprim17ROCPRIM_400000_NS6detail17trampoline_kernelINS0_14default_configENS1_35adjacent_difference_config_selectorILb0EsEEZNS1_24adjacent_difference_implIS3_Lb0ELb0EPKsPsN6thrust23THRUST_200600_302600_NS4plusIsEEEE10hipError_tPvRmT2_T3_mT4_P12ihipStream_tbEUlT_E_NS1_11comp_targetILNS1_3genE8ELNS1_11target_archE1030ELNS1_3gpuE2ELNS1_3repE0EEENS1_30default_config_static_selectorELNS0_4arch9wavefront6targetE1EEEvT1_
    .private_segment_fixed_size: 0
    .sgpr_count:     4
    .sgpr_spill_count: 0
    .symbol:         _ZN7rocprim17ROCPRIM_400000_NS6detail17trampoline_kernelINS0_14default_configENS1_35adjacent_difference_config_selectorILb0EsEEZNS1_24adjacent_difference_implIS3_Lb0ELb0EPKsPsN6thrust23THRUST_200600_302600_NS4plusIsEEEE10hipError_tPvRmT2_T3_mT4_P12ihipStream_tbEUlT_E_NS1_11comp_targetILNS1_3genE8ELNS1_11target_archE1030ELNS1_3gpuE2ELNS1_3repE0EEENS1_30default_config_static_selectorELNS0_4arch9wavefront6targetE1EEEvT1_.kd
    .uniform_work_group_size: 1
    .uses_dynamic_stack: false
    .vgpr_count:     0
    .vgpr_spill_count: 0
    .wavefront_size: 64
  - .agpr_count:     0
    .args:
      - .offset:         0
        .size:           56
        .value_kind:     by_value
    .group_segment_fixed_size: 0
    .kernarg_segment_align: 8
    .kernarg_segment_size: 56
    .language:       OpenCL C
    .language_version:
      - 2
      - 0
    .max_flat_workgroup_size: 128
    .name:           _ZN7rocprim17ROCPRIM_400000_NS6detail17trampoline_kernelINS0_14default_configENS1_25transform_config_selectorIsLb0EEEZNS1_14transform_implILb0ES3_S5_NS0_18transform_iteratorINS0_17counting_iteratorImlEEZNS1_24adjacent_difference_implIS3_Lb1ELb0EPKsPsN6thrust23THRUST_200600_302600_NS4plusIsEEEE10hipError_tPvRmT2_T3_mT4_P12ihipStream_tbEUlmE_sEESD_NS0_8identityIvEEEESI_SL_SM_mSN_SP_bEUlT_E_NS1_11comp_targetILNS1_3genE0ELNS1_11target_archE4294967295ELNS1_3gpuE0ELNS1_3repE0EEENS1_30default_config_static_selectorELNS0_4arch9wavefront6targetE1EEEvT1_
    .private_segment_fixed_size: 0
    .sgpr_count:     4
    .sgpr_spill_count: 0
    .symbol:         _ZN7rocprim17ROCPRIM_400000_NS6detail17trampoline_kernelINS0_14default_configENS1_25transform_config_selectorIsLb0EEEZNS1_14transform_implILb0ES3_S5_NS0_18transform_iteratorINS0_17counting_iteratorImlEEZNS1_24adjacent_difference_implIS3_Lb1ELb0EPKsPsN6thrust23THRUST_200600_302600_NS4plusIsEEEE10hipError_tPvRmT2_T3_mT4_P12ihipStream_tbEUlmE_sEESD_NS0_8identityIvEEEESI_SL_SM_mSN_SP_bEUlT_E_NS1_11comp_targetILNS1_3genE0ELNS1_11target_archE4294967295ELNS1_3gpuE0ELNS1_3repE0EEENS1_30default_config_static_selectorELNS0_4arch9wavefront6targetE1EEEvT1_.kd
    .uniform_work_group_size: 1
    .uses_dynamic_stack: false
    .vgpr_count:     0
    .vgpr_spill_count: 0
    .wavefront_size: 64
  - .agpr_count:     0
    .args:
      - .offset:         0
        .size:           56
        .value_kind:     by_value
    .group_segment_fixed_size: 0
    .kernarg_segment_align: 8
    .kernarg_segment_size: 56
    .language:       OpenCL C
    .language_version:
      - 2
      - 0
    .max_flat_workgroup_size: 256
    .name:           _ZN7rocprim17ROCPRIM_400000_NS6detail17trampoline_kernelINS0_14default_configENS1_25transform_config_selectorIsLb0EEEZNS1_14transform_implILb0ES3_S5_NS0_18transform_iteratorINS0_17counting_iteratorImlEEZNS1_24adjacent_difference_implIS3_Lb1ELb0EPKsPsN6thrust23THRUST_200600_302600_NS4plusIsEEEE10hipError_tPvRmT2_T3_mT4_P12ihipStream_tbEUlmE_sEESD_NS0_8identityIvEEEESI_SL_SM_mSN_SP_bEUlT_E_NS1_11comp_targetILNS1_3genE5ELNS1_11target_archE942ELNS1_3gpuE9ELNS1_3repE0EEENS1_30default_config_static_selectorELNS0_4arch9wavefront6targetE1EEEvT1_
    .private_segment_fixed_size: 0
    .sgpr_count:     4
    .sgpr_spill_count: 0
    .symbol:         _ZN7rocprim17ROCPRIM_400000_NS6detail17trampoline_kernelINS0_14default_configENS1_25transform_config_selectorIsLb0EEEZNS1_14transform_implILb0ES3_S5_NS0_18transform_iteratorINS0_17counting_iteratorImlEEZNS1_24adjacent_difference_implIS3_Lb1ELb0EPKsPsN6thrust23THRUST_200600_302600_NS4plusIsEEEE10hipError_tPvRmT2_T3_mT4_P12ihipStream_tbEUlmE_sEESD_NS0_8identityIvEEEESI_SL_SM_mSN_SP_bEUlT_E_NS1_11comp_targetILNS1_3genE5ELNS1_11target_archE942ELNS1_3gpuE9ELNS1_3repE0EEENS1_30default_config_static_selectorELNS0_4arch9wavefront6targetE1EEEvT1_.kd
    .uniform_work_group_size: 1
    .uses_dynamic_stack: false
    .vgpr_count:     0
    .vgpr_spill_count: 0
    .wavefront_size: 64
  - .agpr_count:     0
    .args:
      - .offset:         0
        .size:           56
        .value_kind:     by_value
      - .offset:         56
        .size:           4
        .value_kind:     hidden_block_count_x
      - .offset:         60
        .size:           4
        .value_kind:     hidden_block_count_y
      - .offset:         64
        .size:           4
        .value_kind:     hidden_block_count_z
      - .offset:         68
        .size:           2
        .value_kind:     hidden_group_size_x
      - .offset:         70
        .size:           2
        .value_kind:     hidden_group_size_y
      - .offset:         72
        .size:           2
        .value_kind:     hidden_group_size_z
      - .offset:         74
        .size:           2
        .value_kind:     hidden_remainder_x
      - .offset:         76
        .size:           2
        .value_kind:     hidden_remainder_y
      - .offset:         78
        .size:           2
        .value_kind:     hidden_remainder_z
      - .offset:         96
        .size:           8
        .value_kind:     hidden_global_offset_x
      - .offset:         104
        .size:           8
        .value_kind:     hidden_global_offset_y
      - .offset:         112
        .size:           8
        .value_kind:     hidden_global_offset_z
      - .offset:         120
        .size:           2
        .value_kind:     hidden_grid_dims
    .group_segment_fixed_size: 0
    .kernarg_segment_align: 8
    .kernarg_segment_size: 312
    .language:       OpenCL C
    .language_version:
      - 2
      - 0
    .max_flat_workgroup_size: 64
    .name:           _ZN7rocprim17ROCPRIM_400000_NS6detail17trampoline_kernelINS0_14default_configENS1_25transform_config_selectorIsLb0EEEZNS1_14transform_implILb0ES3_S5_NS0_18transform_iteratorINS0_17counting_iteratorImlEEZNS1_24adjacent_difference_implIS3_Lb1ELb0EPKsPsN6thrust23THRUST_200600_302600_NS4plusIsEEEE10hipError_tPvRmT2_T3_mT4_P12ihipStream_tbEUlmE_sEESD_NS0_8identityIvEEEESI_SL_SM_mSN_SP_bEUlT_E_NS1_11comp_targetILNS1_3genE4ELNS1_11target_archE910ELNS1_3gpuE8ELNS1_3repE0EEENS1_30default_config_static_selectorELNS0_4arch9wavefront6targetE1EEEvT1_
    .private_segment_fixed_size: 0
    .sgpr_count:     34
    .sgpr_spill_count: 0
    .symbol:         _ZN7rocprim17ROCPRIM_400000_NS6detail17trampoline_kernelINS0_14default_configENS1_25transform_config_selectorIsLb0EEEZNS1_14transform_implILb0ES3_S5_NS0_18transform_iteratorINS0_17counting_iteratorImlEEZNS1_24adjacent_difference_implIS3_Lb1ELb0EPKsPsN6thrust23THRUST_200600_302600_NS4plusIsEEEE10hipError_tPvRmT2_T3_mT4_P12ihipStream_tbEUlmE_sEESD_NS0_8identityIvEEEESI_SL_SM_mSN_SP_bEUlT_E_NS1_11comp_targetILNS1_3genE4ELNS1_11target_archE910ELNS1_3gpuE8ELNS1_3repE0EEENS1_30default_config_static_selectorELNS0_4arch9wavefront6targetE1EEEvT1_.kd
    .uniform_work_group_size: 1
    .uses_dynamic_stack: false
    .vgpr_count:     18
    .vgpr_spill_count: 0
    .wavefront_size: 64
  - .agpr_count:     0
    .args:
      - .offset:         0
        .size:           56
        .value_kind:     by_value
    .group_segment_fixed_size: 0
    .kernarg_segment_align: 8
    .kernarg_segment_size: 56
    .language:       OpenCL C
    .language_version:
      - 2
      - 0
    .max_flat_workgroup_size: 128
    .name:           _ZN7rocprim17ROCPRIM_400000_NS6detail17trampoline_kernelINS0_14default_configENS1_25transform_config_selectorIsLb0EEEZNS1_14transform_implILb0ES3_S5_NS0_18transform_iteratorINS0_17counting_iteratorImlEEZNS1_24adjacent_difference_implIS3_Lb1ELb0EPKsPsN6thrust23THRUST_200600_302600_NS4plusIsEEEE10hipError_tPvRmT2_T3_mT4_P12ihipStream_tbEUlmE_sEESD_NS0_8identityIvEEEESI_SL_SM_mSN_SP_bEUlT_E_NS1_11comp_targetILNS1_3genE3ELNS1_11target_archE908ELNS1_3gpuE7ELNS1_3repE0EEENS1_30default_config_static_selectorELNS0_4arch9wavefront6targetE1EEEvT1_
    .private_segment_fixed_size: 0
    .sgpr_count:     4
    .sgpr_spill_count: 0
    .symbol:         _ZN7rocprim17ROCPRIM_400000_NS6detail17trampoline_kernelINS0_14default_configENS1_25transform_config_selectorIsLb0EEEZNS1_14transform_implILb0ES3_S5_NS0_18transform_iteratorINS0_17counting_iteratorImlEEZNS1_24adjacent_difference_implIS3_Lb1ELb0EPKsPsN6thrust23THRUST_200600_302600_NS4plusIsEEEE10hipError_tPvRmT2_T3_mT4_P12ihipStream_tbEUlmE_sEESD_NS0_8identityIvEEEESI_SL_SM_mSN_SP_bEUlT_E_NS1_11comp_targetILNS1_3genE3ELNS1_11target_archE908ELNS1_3gpuE7ELNS1_3repE0EEENS1_30default_config_static_selectorELNS0_4arch9wavefront6targetE1EEEvT1_.kd
    .uniform_work_group_size: 1
    .uses_dynamic_stack: false
    .vgpr_count:     0
    .vgpr_spill_count: 0
    .wavefront_size: 64
  - .agpr_count:     0
    .args:
      - .offset:         0
        .size:           56
        .value_kind:     by_value
    .group_segment_fixed_size: 0
    .kernarg_segment_align: 8
    .kernarg_segment_size: 56
    .language:       OpenCL C
    .language_version:
      - 2
      - 0
    .max_flat_workgroup_size: 512
    .name:           _ZN7rocprim17ROCPRIM_400000_NS6detail17trampoline_kernelINS0_14default_configENS1_25transform_config_selectorIsLb0EEEZNS1_14transform_implILb0ES3_S5_NS0_18transform_iteratorINS0_17counting_iteratorImlEEZNS1_24adjacent_difference_implIS3_Lb1ELb0EPKsPsN6thrust23THRUST_200600_302600_NS4plusIsEEEE10hipError_tPvRmT2_T3_mT4_P12ihipStream_tbEUlmE_sEESD_NS0_8identityIvEEEESI_SL_SM_mSN_SP_bEUlT_E_NS1_11comp_targetILNS1_3genE2ELNS1_11target_archE906ELNS1_3gpuE6ELNS1_3repE0EEENS1_30default_config_static_selectorELNS0_4arch9wavefront6targetE1EEEvT1_
    .private_segment_fixed_size: 0
    .sgpr_count:     4
    .sgpr_spill_count: 0
    .symbol:         _ZN7rocprim17ROCPRIM_400000_NS6detail17trampoline_kernelINS0_14default_configENS1_25transform_config_selectorIsLb0EEEZNS1_14transform_implILb0ES3_S5_NS0_18transform_iteratorINS0_17counting_iteratorImlEEZNS1_24adjacent_difference_implIS3_Lb1ELb0EPKsPsN6thrust23THRUST_200600_302600_NS4plusIsEEEE10hipError_tPvRmT2_T3_mT4_P12ihipStream_tbEUlmE_sEESD_NS0_8identityIvEEEESI_SL_SM_mSN_SP_bEUlT_E_NS1_11comp_targetILNS1_3genE2ELNS1_11target_archE906ELNS1_3gpuE6ELNS1_3repE0EEENS1_30default_config_static_selectorELNS0_4arch9wavefront6targetE1EEEvT1_.kd
    .uniform_work_group_size: 1
    .uses_dynamic_stack: false
    .vgpr_count:     0
    .vgpr_spill_count: 0
    .wavefront_size: 64
  - .agpr_count:     0
    .args:
      - .offset:         0
        .size:           56
        .value_kind:     by_value
    .group_segment_fixed_size: 0
    .kernarg_segment_align: 8
    .kernarg_segment_size: 56
    .language:       OpenCL C
    .language_version:
      - 2
      - 0
    .max_flat_workgroup_size: 1024
    .name:           _ZN7rocprim17ROCPRIM_400000_NS6detail17trampoline_kernelINS0_14default_configENS1_25transform_config_selectorIsLb0EEEZNS1_14transform_implILb0ES3_S5_NS0_18transform_iteratorINS0_17counting_iteratorImlEEZNS1_24adjacent_difference_implIS3_Lb1ELb0EPKsPsN6thrust23THRUST_200600_302600_NS4plusIsEEEE10hipError_tPvRmT2_T3_mT4_P12ihipStream_tbEUlmE_sEESD_NS0_8identityIvEEEESI_SL_SM_mSN_SP_bEUlT_E_NS1_11comp_targetILNS1_3genE10ELNS1_11target_archE1201ELNS1_3gpuE5ELNS1_3repE0EEENS1_30default_config_static_selectorELNS0_4arch9wavefront6targetE1EEEvT1_
    .private_segment_fixed_size: 0
    .sgpr_count:     4
    .sgpr_spill_count: 0
    .symbol:         _ZN7rocprim17ROCPRIM_400000_NS6detail17trampoline_kernelINS0_14default_configENS1_25transform_config_selectorIsLb0EEEZNS1_14transform_implILb0ES3_S5_NS0_18transform_iteratorINS0_17counting_iteratorImlEEZNS1_24adjacent_difference_implIS3_Lb1ELb0EPKsPsN6thrust23THRUST_200600_302600_NS4plusIsEEEE10hipError_tPvRmT2_T3_mT4_P12ihipStream_tbEUlmE_sEESD_NS0_8identityIvEEEESI_SL_SM_mSN_SP_bEUlT_E_NS1_11comp_targetILNS1_3genE10ELNS1_11target_archE1201ELNS1_3gpuE5ELNS1_3repE0EEENS1_30default_config_static_selectorELNS0_4arch9wavefront6targetE1EEEvT1_.kd
    .uniform_work_group_size: 1
    .uses_dynamic_stack: false
    .vgpr_count:     0
    .vgpr_spill_count: 0
    .wavefront_size: 64
  - .agpr_count:     0
    .args:
      - .offset:         0
        .size:           56
        .value_kind:     by_value
    .group_segment_fixed_size: 0
    .kernarg_segment_align: 8
    .kernarg_segment_size: 56
    .language:       OpenCL C
    .language_version:
      - 2
      - 0
    .max_flat_workgroup_size: 512
    .name:           _ZN7rocprim17ROCPRIM_400000_NS6detail17trampoline_kernelINS0_14default_configENS1_25transform_config_selectorIsLb0EEEZNS1_14transform_implILb0ES3_S5_NS0_18transform_iteratorINS0_17counting_iteratorImlEEZNS1_24adjacent_difference_implIS3_Lb1ELb0EPKsPsN6thrust23THRUST_200600_302600_NS4plusIsEEEE10hipError_tPvRmT2_T3_mT4_P12ihipStream_tbEUlmE_sEESD_NS0_8identityIvEEEESI_SL_SM_mSN_SP_bEUlT_E_NS1_11comp_targetILNS1_3genE10ELNS1_11target_archE1200ELNS1_3gpuE4ELNS1_3repE0EEENS1_30default_config_static_selectorELNS0_4arch9wavefront6targetE1EEEvT1_
    .private_segment_fixed_size: 0
    .sgpr_count:     4
    .sgpr_spill_count: 0
    .symbol:         _ZN7rocprim17ROCPRIM_400000_NS6detail17trampoline_kernelINS0_14default_configENS1_25transform_config_selectorIsLb0EEEZNS1_14transform_implILb0ES3_S5_NS0_18transform_iteratorINS0_17counting_iteratorImlEEZNS1_24adjacent_difference_implIS3_Lb1ELb0EPKsPsN6thrust23THRUST_200600_302600_NS4plusIsEEEE10hipError_tPvRmT2_T3_mT4_P12ihipStream_tbEUlmE_sEESD_NS0_8identityIvEEEESI_SL_SM_mSN_SP_bEUlT_E_NS1_11comp_targetILNS1_3genE10ELNS1_11target_archE1200ELNS1_3gpuE4ELNS1_3repE0EEENS1_30default_config_static_selectorELNS0_4arch9wavefront6targetE1EEEvT1_.kd
    .uniform_work_group_size: 1
    .uses_dynamic_stack: false
    .vgpr_count:     0
    .vgpr_spill_count: 0
    .wavefront_size: 64
  - .agpr_count:     0
    .args:
      - .offset:         0
        .size:           56
        .value_kind:     by_value
    .group_segment_fixed_size: 0
    .kernarg_segment_align: 8
    .kernarg_segment_size: 56
    .language:       OpenCL C
    .language_version:
      - 2
      - 0
    .max_flat_workgroup_size: 1024
    .name:           _ZN7rocprim17ROCPRIM_400000_NS6detail17trampoline_kernelINS0_14default_configENS1_25transform_config_selectorIsLb0EEEZNS1_14transform_implILb0ES3_S5_NS0_18transform_iteratorINS0_17counting_iteratorImlEEZNS1_24adjacent_difference_implIS3_Lb1ELb0EPKsPsN6thrust23THRUST_200600_302600_NS4plusIsEEEE10hipError_tPvRmT2_T3_mT4_P12ihipStream_tbEUlmE_sEESD_NS0_8identityIvEEEESI_SL_SM_mSN_SP_bEUlT_E_NS1_11comp_targetILNS1_3genE9ELNS1_11target_archE1100ELNS1_3gpuE3ELNS1_3repE0EEENS1_30default_config_static_selectorELNS0_4arch9wavefront6targetE1EEEvT1_
    .private_segment_fixed_size: 0
    .sgpr_count:     4
    .sgpr_spill_count: 0
    .symbol:         _ZN7rocprim17ROCPRIM_400000_NS6detail17trampoline_kernelINS0_14default_configENS1_25transform_config_selectorIsLb0EEEZNS1_14transform_implILb0ES3_S5_NS0_18transform_iteratorINS0_17counting_iteratorImlEEZNS1_24adjacent_difference_implIS3_Lb1ELb0EPKsPsN6thrust23THRUST_200600_302600_NS4plusIsEEEE10hipError_tPvRmT2_T3_mT4_P12ihipStream_tbEUlmE_sEESD_NS0_8identityIvEEEESI_SL_SM_mSN_SP_bEUlT_E_NS1_11comp_targetILNS1_3genE9ELNS1_11target_archE1100ELNS1_3gpuE3ELNS1_3repE0EEENS1_30default_config_static_selectorELNS0_4arch9wavefront6targetE1EEEvT1_.kd
    .uniform_work_group_size: 1
    .uses_dynamic_stack: false
    .vgpr_count:     0
    .vgpr_spill_count: 0
    .wavefront_size: 64
  - .agpr_count:     0
    .args:
      - .offset:         0
        .size:           56
        .value_kind:     by_value
    .group_segment_fixed_size: 0
    .kernarg_segment_align: 8
    .kernarg_segment_size: 56
    .language:       OpenCL C
    .language_version:
      - 2
      - 0
    .max_flat_workgroup_size: 1024
    .name:           _ZN7rocprim17ROCPRIM_400000_NS6detail17trampoline_kernelINS0_14default_configENS1_25transform_config_selectorIsLb0EEEZNS1_14transform_implILb0ES3_S5_NS0_18transform_iteratorINS0_17counting_iteratorImlEEZNS1_24adjacent_difference_implIS3_Lb1ELb0EPKsPsN6thrust23THRUST_200600_302600_NS4plusIsEEEE10hipError_tPvRmT2_T3_mT4_P12ihipStream_tbEUlmE_sEESD_NS0_8identityIvEEEESI_SL_SM_mSN_SP_bEUlT_E_NS1_11comp_targetILNS1_3genE8ELNS1_11target_archE1030ELNS1_3gpuE2ELNS1_3repE0EEENS1_30default_config_static_selectorELNS0_4arch9wavefront6targetE1EEEvT1_
    .private_segment_fixed_size: 0
    .sgpr_count:     4
    .sgpr_spill_count: 0
    .symbol:         _ZN7rocprim17ROCPRIM_400000_NS6detail17trampoline_kernelINS0_14default_configENS1_25transform_config_selectorIsLb0EEEZNS1_14transform_implILb0ES3_S5_NS0_18transform_iteratorINS0_17counting_iteratorImlEEZNS1_24adjacent_difference_implIS3_Lb1ELb0EPKsPsN6thrust23THRUST_200600_302600_NS4plusIsEEEE10hipError_tPvRmT2_T3_mT4_P12ihipStream_tbEUlmE_sEESD_NS0_8identityIvEEEESI_SL_SM_mSN_SP_bEUlT_E_NS1_11comp_targetILNS1_3genE8ELNS1_11target_archE1030ELNS1_3gpuE2ELNS1_3repE0EEENS1_30default_config_static_selectorELNS0_4arch9wavefront6targetE1EEEvT1_.kd
    .uniform_work_group_size: 1
    .uses_dynamic_stack: false
    .vgpr_count:     0
    .vgpr_spill_count: 0
    .wavefront_size: 64
  - .agpr_count:     0
    .args:
      - .offset:         0
        .size:           56
        .value_kind:     by_value
    .group_segment_fixed_size: 0
    .kernarg_segment_align: 8
    .kernarg_segment_size: 56
    .language:       OpenCL C
    .language_version:
      - 2
      - 0
    .max_flat_workgroup_size: 32
    .name:           _ZN7rocprim17ROCPRIM_400000_NS6detail17trampoline_kernelINS0_14default_configENS1_35adjacent_difference_config_selectorILb1EsEEZNS1_24adjacent_difference_implIS3_Lb1ELb0EPKsPsN6thrust23THRUST_200600_302600_NS4plusIsEEEE10hipError_tPvRmT2_T3_mT4_P12ihipStream_tbEUlT_E_NS1_11comp_targetILNS1_3genE0ELNS1_11target_archE4294967295ELNS1_3gpuE0ELNS1_3repE0EEENS1_30default_config_static_selectorELNS0_4arch9wavefront6targetE1EEEvT1_
    .private_segment_fixed_size: 0
    .sgpr_count:     4
    .sgpr_spill_count: 0
    .symbol:         _ZN7rocprim17ROCPRIM_400000_NS6detail17trampoline_kernelINS0_14default_configENS1_35adjacent_difference_config_selectorILb1EsEEZNS1_24adjacent_difference_implIS3_Lb1ELb0EPKsPsN6thrust23THRUST_200600_302600_NS4plusIsEEEE10hipError_tPvRmT2_T3_mT4_P12ihipStream_tbEUlT_E_NS1_11comp_targetILNS1_3genE0ELNS1_11target_archE4294967295ELNS1_3gpuE0ELNS1_3repE0EEENS1_30default_config_static_selectorELNS0_4arch9wavefront6targetE1EEEvT1_.kd
    .uniform_work_group_size: 1
    .uses_dynamic_stack: false
    .vgpr_count:     0
    .vgpr_spill_count: 0
    .wavefront_size: 64
  - .agpr_count:     0
    .args:
      - .offset:         0
        .size:           56
        .value_kind:     by_value
    .group_segment_fixed_size: 0
    .kernarg_segment_align: 8
    .kernarg_segment_size: 56
    .language:       OpenCL C
    .language_version:
      - 2
      - 0
    .max_flat_workgroup_size: 512
    .name:           _ZN7rocprim17ROCPRIM_400000_NS6detail17trampoline_kernelINS0_14default_configENS1_35adjacent_difference_config_selectorILb1EsEEZNS1_24adjacent_difference_implIS3_Lb1ELb0EPKsPsN6thrust23THRUST_200600_302600_NS4plusIsEEEE10hipError_tPvRmT2_T3_mT4_P12ihipStream_tbEUlT_E_NS1_11comp_targetILNS1_3genE10ELNS1_11target_archE1201ELNS1_3gpuE5ELNS1_3repE0EEENS1_30default_config_static_selectorELNS0_4arch9wavefront6targetE1EEEvT1_
    .private_segment_fixed_size: 0
    .sgpr_count:     4
    .sgpr_spill_count: 0
    .symbol:         _ZN7rocprim17ROCPRIM_400000_NS6detail17trampoline_kernelINS0_14default_configENS1_35adjacent_difference_config_selectorILb1EsEEZNS1_24adjacent_difference_implIS3_Lb1ELb0EPKsPsN6thrust23THRUST_200600_302600_NS4plusIsEEEE10hipError_tPvRmT2_T3_mT4_P12ihipStream_tbEUlT_E_NS1_11comp_targetILNS1_3genE10ELNS1_11target_archE1201ELNS1_3gpuE5ELNS1_3repE0EEENS1_30default_config_static_selectorELNS0_4arch9wavefront6targetE1EEEvT1_.kd
    .uniform_work_group_size: 1
    .uses_dynamic_stack: false
    .vgpr_count:     0
    .vgpr_spill_count: 0
    .wavefront_size: 64
  - .agpr_count:     0
    .args:
      - .offset:         0
        .size:           56
        .value_kind:     by_value
    .group_segment_fixed_size: 0
    .kernarg_segment_align: 8
    .kernarg_segment_size: 56
    .language:       OpenCL C
    .language_version:
      - 2
      - 0
    .max_flat_workgroup_size: 64
    .name:           _ZN7rocprim17ROCPRIM_400000_NS6detail17trampoline_kernelINS0_14default_configENS1_35adjacent_difference_config_selectorILb1EsEEZNS1_24adjacent_difference_implIS3_Lb1ELb0EPKsPsN6thrust23THRUST_200600_302600_NS4plusIsEEEE10hipError_tPvRmT2_T3_mT4_P12ihipStream_tbEUlT_E_NS1_11comp_targetILNS1_3genE5ELNS1_11target_archE942ELNS1_3gpuE9ELNS1_3repE0EEENS1_30default_config_static_selectorELNS0_4arch9wavefront6targetE1EEEvT1_
    .private_segment_fixed_size: 0
    .sgpr_count:     4
    .sgpr_spill_count: 0
    .symbol:         _ZN7rocprim17ROCPRIM_400000_NS6detail17trampoline_kernelINS0_14default_configENS1_35adjacent_difference_config_selectorILb1EsEEZNS1_24adjacent_difference_implIS3_Lb1ELb0EPKsPsN6thrust23THRUST_200600_302600_NS4plusIsEEEE10hipError_tPvRmT2_T3_mT4_P12ihipStream_tbEUlT_E_NS1_11comp_targetILNS1_3genE5ELNS1_11target_archE942ELNS1_3gpuE9ELNS1_3repE0EEENS1_30default_config_static_selectorELNS0_4arch9wavefront6targetE1EEEvT1_.kd
    .uniform_work_group_size: 1
    .uses_dynamic_stack: false
    .vgpr_count:     0
    .vgpr_spill_count: 0
    .wavefront_size: 64
  - .agpr_count:     0
    .args:
      - .offset:         0
        .size:           56
        .value_kind:     by_value
    .group_segment_fixed_size: 2176
    .kernarg_segment_align: 8
    .kernarg_segment_size: 56
    .language:       OpenCL C
    .language_version:
      - 2
      - 0
    .max_flat_workgroup_size: 64
    .name:           _ZN7rocprim17ROCPRIM_400000_NS6detail17trampoline_kernelINS0_14default_configENS1_35adjacent_difference_config_selectorILb1EsEEZNS1_24adjacent_difference_implIS3_Lb1ELb0EPKsPsN6thrust23THRUST_200600_302600_NS4plusIsEEEE10hipError_tPvRmT2_T3_mT4_P12ihipStream_tbEUlT_E_NS1_11comp_targetILNS1_3genE4ELNS1_11target_archE910ELNS1_3gpuE8ELNS1_3repE0EEENS1_30default_config_static_selectorELNS0_4arch9wavefront6targetE1EEEvT1_
    .private_segment_fixed_size: 0
    .sgpr_count:     33
    .sgpr_spill_count: 0
    .symbol:         _ZN7rocprim17ROCPRIM_400000_NS6detail17trampoline_kernelINS0_14default_configENS1_35adjacent_difference_config_selectorILb1EsEEZNS1_24adjacent_difference_implIS3_Lb1ELb0EPKsPsN6thrust23THRUST_200600_302600_NS4plusIsEEEE10hipError_tPvRmT2_T3_mT4_P12ihipStream_tbEUlT_E_NS1_11comp_targetILNS1_3genE4ELNS1_11target_archE910ELNS1_3gpuE8ELNS1_3repE0EEENS1_30default_config_static_selectorELNS0_4arch9wavefront6targetE1EEEvT1_.kd
    .uniform_work_group_size: 1
    .uses_dynamic_stack: false
    .vgpr_count:     32
    .vgpr_spill_count: 0
    .wavefront_size: 64
  - .agpr_count:     0
    .args:
      - .offset:         0
        .size:           56
        .value_kind:     by_value
    .group_segment_fixed_size: 0
    .kernarg_segment_align: 8
    .kernarg_segment_size: 56
    .language:       OpenCL C
    .language_version:
      - 2
      - 0
    .max_flat_workgroup_size: 32
    .name:           _ZN7rocprim17ROCPRIM_400000_NS6detail17trampoline_kernelINS0_14default_configENS1_35adjacent_difference_config_selectorILb1EsEEZNS1_24adjacent_difference_implIS3_Lb1ELb0EPKsPsN6thrust23THRUST_200600_302600_NS4plusIsEEEE10hipError_tPvRmT2_T3_mT4_P12ihipStream_tbEUlT_E_NS1_11comp_targetILNS1_3genE3ELNS1_11target_archE908ELNS1_3gpuE7ELNS1_3repE0EEENS1_30default_config_static_selectorELNS0_4arch9wavefront6targetE1EEEvT1_
    .private_segment_fixed_size: 0
    .sgpr_count:     4
    .sgpr_spill_count: 0
    .symbol:         _ZN7rocprim17ROCPRIM_400000_NS6detail17trampoline_kernelINS0_14default_configENS1_35adjacent_difference_config_selectorILb1EsEEZNS1_24adjacent_difference_implIS3_Lb1ELb0EPKsPsN6thrust23THRUST_200600_302600_NS4plusIsEEEE10hipError_tPvRmT2_T3_mT4_P12ihipStream_tbEUlT_E_NS1_11comp_targetILNS1_3genE3ELNS1_11target_archE908ELNS1_3gpuE7ELNS1_3repE0EEENS1_30default_config_static_selectorELNS0_4arch9wavefront6targetE1EEEvT1_.kd
    .uniform_work_group_size: 1
    .uses_dynamic_stack: false
    .vgpr_count:     0
    .vgpr_spill_count: 0
    .wavefront_size: 64
  - .agpr_count:     0
    .args:
      - .offset:         0
        .size:           56
        .value_kind:     by_value
    .group_segment_fixed_size: 0
    .kernarg_segment_align: 8
    .kernarg_segment_size: 56
    .language:       OpenCL C
    .language_version:
      - 2
      - 0
    .max_flat_workgroup_size: 64
    .name:           _ZN7rocprim17ROCPRIM_400000_NS6detail17trampoline_kernelINS0_14default_configENS1_35adjacent_difference_config_selectorILb1EsEEZNS1_24adjacent_difference_implIS3_Lb1ELb0EPKsPsN6thrust23THRUST_200600_302600_NS4plusIsEEEE10hipError_tPvRmT2_T3_mT4_P12ihipStream_tbEUlT_E_NS1_11comp_targetILNS1_3genE2ELNS1_11target_archE906ELNS1_3gpuE6ELNS1_3repE0EEENS1_30default_config_static_selectorELNS0_4arch9wavefront6targetE1EEEvT1_
    .private_segment_fixed_size: 0
    .sgpr_count:     4
    .sgpr_spill_count: 0
    .symbol:         _ZN7rocprim17ROCPRIM_400000_NS6detail17trampoline_kernelINS0_14default_configENS1_35adjacent_difference_config_selectorILb1EsEEZNS1_24adjacent_difference_implIS3_Lb1ELb0EPKsPsN6thrust23THRUST_200600_302600_NS4plusIsEEEE10hipError_tPvRmT2_T3_mT4_P12ihipStream_tbEUlT_E_NS1_11comp_targetILNS1_3genE2ELNS1_11target_archE906ELNS1_3gpuE6ELNS1_3repE0EEENS1_30default_config_static_selectorELNS0_4arch9wavefront6targetE1EEEvT1_.kd
    .uniform_work_group_size: 1
    .uses_dynamic_stack: false
    .vgpr_count:     0
    .vgpr_spill_count: 0
    .wavefront_size: 64
  - .agpr_count:     0
    .args:
      - .offset:         0
        .size:           56
        .value_kind:     by_value
    .group_segment_fixed_size: 0
    .kernarg_segment_align: 8
    .kernarg_segment_size: 56
    .language:       OpenCL C
    .language_version:
      - 2
      - 0
    .max_flat_workgroup_size: 128
    .name:           _ZN7rocprim17ROCPRIM_400000_NS6detail17trampoline_kernelINS0_14default_configENS1_35adjacent_difference_config_selectorILb1EsEEZNS1_24adjacent_difference_implIS3_Lb1ELb0EPKsPsN6thrust23THRUST_200600_302600_NS4plusIsEEEE10hipError_tPvRmT2_T3_mT4_P12ihipStream_tbEUlT_E_NS1_11comp_targetILNS1_3genE9ELNS1_11target_archE1100ELNS1_3gpuE3ELNS1_3repE0EEENS1_30default_config_static_selectorELNS0_4arch9wavefront6targetE1EEEvT1_
    .private_segment_fixed_size: 0
    .sgpr_count:     4
    .sgpr_spill_count: 0
    .symbol:         _ZN7rocprim17ROCPRIM_400000_NS6detail17trampoline_kernelINS0_14default_configENS1_35adjacent_difference_config_selectorILb1EsEEZNS1_24adjacent_difference_implIS3_Lb1ELb0EPKsPsN6thrust23THRUST_200600_302600_NS4plusIsEEEE10hipError_tPvRmT2_T3_mT4_P12ihipStream_tbEUlT_E_NS1_11comp_targetILNS1_3genE9ELNS1_11target_archE1100ELNS1_3gpuE3ELNS1_3repE0EEENS1_30default_config_static_selectorELNS0_4arch9wavefront6targetE1EEEvT1_.kd
    .uniform_work_group_size: 1
    .uses_dynamic_stack: false
    .vgpr_count:     0
    .vgpr_spill_count: 0
    .wavefront_size: 64
  - .agpr_count:     0
    .args:
      - .offset:         0
        .size:           56
        .value_kind:     by_value
    .group_segment_fixed_size: 0
    .kernarg_segment_align: 8
    .kernarg_segment_size: 56
    .language:       OpenCL C
    .language_version:
      - 2
      - 0
    .max_flat_workgroup_size: 512
    .name:           _ZN7rocprim17ROCPRIM_400000_NS6detail17trampoline_kernelINS0_14default_configENS1_35adjacent_difference_config_selectorILb1EsEEZNS1_24adjacent_difference_implIS3_Lb1ELb0EPKsPsN6thrust23THRUST_200600_302600_NS4plusIsEEEE10hipError_tPvRmT2_T3_mT4_P12ihipStream_tbEUlT_E_NS1_11comp_targetILNS1_3genE8ELNS1_11target_archE1030ELNS1_3gpuE2ELNS1_3repE0EEENS1_30default_config_static_selectorELNS0_4arch9wavefront6targetE1EEEvT1_
    .private_segment_fixed_size: 0
    .sgpr_count:     4
    .sgpr_spill_count: 0
    .symbol:         _ZN7rocprim17ROCPRIM_400000_NS6detail17trampoline_kernelINS0_14default_configENS1_35adjacent_difference_config_selectorILb1EsEEZNS1_24adjacent_difference_implIS3_Lb1ELb0EPKsPsN6thrust23THRUST_200600_302600_NS4plusIsEEEE10hipError_tPvRmT2_T3_mT4_P12ihipStream_tbEUlT_E_NS1_11comp_targetILNS1_3genE8ELNS1_11target_archE1030ELNS1_3gpuE2ELNS1_3repE0EEENS1_30default_config_static_selectorELNS0_4arch9wavefront6targetE1EEEvT1_.kd
    .uniform_work_group_size: 1
    .uses_dynamic_stack: false
    .vgpr_count:     0
    .vgpr_spill_count: 0
    .wavefront_size: 64
  - .agpr_count:     0
    .args:
      - .offset:         0
        .size:           56
        .value_kind:     by_value
    .group_segment_fixed_size: 0
    .kernarg_segment_align: 8
    .kernarg_segment_size: 56
    .language:       OpenCL C
    .language_version:
      - 2
      - 0
    .max_flat_workgroup_size: 64
    .name:           _ZN7rocprim17ROCPRIM_400000_NS6detail17trampoline_kernelINS0_14default_configENS1_35adjacent_difference_config_selectorILb0EtEEZNS1_24adjacent_difference_implIS3_Lb0ELb0EPKtPtN6thrust23THRUST_200600_302600_NS4plusItEEEE10hipError_tPvRmT2_T3_mT4_P12ihipStream_tbEUlT_E_NS1_11comp_targetILNS1_3genE0ELNS1_11target_archE4294967295ELNS1_3gpuE0ELNS1_3repE0EEENS1_30default_config_static_selectorELNS0_4arch9wavefront6targetE1EEEvT1_
    .private_segment_fixed_size: 0
    .sgpr_count:     4
    .sgpr_spill_count: 0
    .symbol:         _ZN7rocprim17ROCPRIM_400000_NS6detail17trampoline_kernelINS0_14default_configENS1_35adjacent_difference_config_selectorILb0EtEEZNS1_24adjacent_difference_implIS3_Lb0ELb0EPKtPtN6thrust23THRUST_200600_302600_NS4plusItEEEE10hipError_tPvRmT2_T3_mT4_P12ihipStream_tbEUlT_E_NS1_11comp_targetILNS1_3genE0ELNS1_11target_archE4294967295ELNS1_3gpuE0ELNS1_3repE0EEENS1_30default_config_static_selectorELNS0_4arch9wavefront6targetE1EEEvT1_.kd
    .uniform_work_group_size: 1
    .uses_dynamic_stack: false
    .vgpr_count:     0
    .vgpr_spill_count: 0
    .wavefront_size: 64
  - .agpr_count:     0
    .args:
      - .offset:         0
        .size:           56
        .value_kind:     by_value
    .group_segment_fixed_size: 0
    .kernarg_segment_align: 8
    .kernarg_segment_size: 56
    .language:       OpenCL C
    .language_version:
      - 2
      - 0
    .max_flat_workgroup_size: 128
    .name:           _ZN7rocprim17ROCPRIM_400000_NS6detail17trampoline_kernelINS0_14default_configENS1_35adjacent_difference_config_selectorILb0EtEEZNS1_24adjacent_difference_implIS3_Lb0ELb0EPKtPtN6thrust23THRUST_200600_302600_NS4plusItEEEE10hipError_tPvRmT2_T3_mT4_P12ihipStream_tbEUlT_E_NS1_11comp_targetILNS1_3genE10ELNS1_11target_archE1201ELNS1_3gpuE5ELNS1_3repE0EEENS1_30default_config_static_selectorELNS0_4arch9wavefront6targetE1EEEvT1_
    .private_segment_fixed_size: 0
    .sgpr_count:     4
    .sgpr_spill_count: 0
    .symbol:         _ZN7rocprim17ROCPRIM_400000_NS6detail17trampoline_kernelINS0_14default_configENS1_35adjacent_difference_config_selectorILb0EtEEZNS1_24adjacent_difference_implIS3_Lb0ELb0EPKtPtN6thrust23THRUST_200600_302600_NS4plusItEEEE10hipError_tPvRmT2_T3_mT4_P12ihipStream_tbEUlT_E_NS1_11comp_targetILNS1_3genE10ELNS1_11target_archE1201ELNS1_3gpuE5ELNS1_3repE0EEENS1_30default_config_static_selectorELNS0_4arch9wavefront6targetE1EEEvT1_.kd
    .uniform_work_group_size: 1
    .uses_dynamic_stack: false
    .vgpr_count:     0
    .vgpr_spill_count: 0
    .wavefront_size: 64
  - .agpr_count:     0
    .args:
      - .offset:         0
        .size:           56
        .value_kind:     by_value
    .group_segment_fixed_size: 0
    .kernarg_segment_align: 8
    .kernarg_segment_size: 56
    .language:       OpenCL C
    .language_version:
      - 2
      - 0
    .max_flat_workgroup_size: 256
    .name:           _ZN7rocprim17ROCPRIM_400000_NS6detail17trampoline_kernelINS0_14default_configENS1_35adjacent_difference_config_selectorILb0EtEEZNS1_24adjacent_difference_implIS3_Lb0ELb0EPKtPtN6thrust23THRUST_200600_302600_NS4plusItEEEE10hipError_tPvRmT2_T3_mT4_P12ihipStream_tbEUlT_E_NS1_11comp_targetILNS1_3genE5ELNS1_11target_archE942ELNS1_3gpuE9ELNS1_3repE0EEENS1_30default_config_static_selectorELNS0_4arch9wavefront6targetE1EEEvT1_
    .private_segment_fixed_size: 0
    .sgpr_count:     4
    .sgpr_spill_count: 0
    .symbol:         _ZN7rocprim17ROCPRIM_400000_NS6detail17trampoline_kernelINS0_14default_configENS1_35adjacent_difference_config_selectorILb0EtEEZNS1_24adjacent_difference_implIS3_Lb0ELb0EPKtPtN6thrust23THRUST_200600_302600_NS4plusItEEEE10hipError_tPvRmT2_T3_mT4_P12ihipStream_tbEUlT_E_NS1_11comp_targetILNS1_3genE5ELNS1_11target_archE942ELNS1_3gpuE9ELNS1_3repE0EEENS1_30default_config_static_selectorELNS0_4arch9wavefront6targetE1EEEvT1_.kd
    .uniform_work_group_size: 1
    .uses_dynamic_stack: false
    .vgpr_count:     0
    .vgpr_spill_count: 0
    .wavefront_size: 64
  - .agpr_count:     0
    .args:
      - .offset:         0
        .size:           56
        .value_kind:     by_value
    .group_segment_fixed_size: 2176
    .kernarg_segment_align: 8
    .kernarg_segment_size: 56
    .language:       OpenCL C
    .language_version:
      - 2
      - 0
    .max_flat_workgroup_size: 64
    .name:           _ZN7rocprim17ROCPRIM_400000_NS6detail17trampoline_kernelINS0_14default_configENS1_35adjacent_difference_config_selectorILb0EtEEZNS1_24adjacent_difference_implIS3_Lb0ELb0EPKtPtN6thrust23THRUST_200600_302600_NS4plusItEEEE10hipError_tPvRmT2_T3_mT4_P12ihipStream_tbEUlT_E_NS1_11comp_targetILNS1_3genE4ELNS1_11target_archE910ELNS1_3gpuE8ELNS1_3repE0EEENS1_30default_config_static_selectorELNS0_4arch9wavefront6targetE1EEEvT1_
    .private_segment_fixed_size: 0
    .sgpr_count:     27
    .sgpr_spill_count: 0
    .symbol:         _ZN7rocprim17ROCPRIM_400000_NS6detail17trampoline_kernelINS0_14default_configENS1_35adjacent_difference_config_selectorILb0EtEEZNS1_24adjacent_difference_implIS3_Lb0ELb0EPKtPtN6thrust23THRUST_200600_302600_NS4plusItEEEE10hipError_tPvRmT2_T3_mT4_P12ihipStream_tbEUlT_E_NS1_11comp_targetILNS1_3genE4ELNS1_11target_archE910ELNS1_3gpuE8ELNS1_3repE0EEENS1_30default_config_static_selectorELNS0_4arch9wavefront6targetE1EEEvT1_.kd
    .uniform_work_group_size: 1
    .uses_dynamic_stack: false
    .vgpr_count:     32
    .vgpr_spill_count: 0
    .wavefront_size: 64
  - .agpr_count:     0
    .args:
      - .offset:         0
        .size:           56
        .value_kind:     by_value
    .group_segment_fixed_size: 0
    .kernarg_segment_align: 8
    .kernarg_segment_size: 56
    .language:       OpenCL C
    .language_version:
      - 2
      - 0
    .max_flat_workgroup_size: 64
    .name:           _ZN7rocprim17ROCPRIM_400000_NS6detail17trampoline_kernelINS0_14default_configENS1_35adjacent_difference_config_selectorILb0EtEEZNS1_24adjacent_difference_implIS3_Lb0ELb0EPKtPtN6thrust23THRUST_200600_302600_NS4plusItEEEE10hipError_tPvRmT2_T3_mT4_P12ihipStream_tbEUlT_E_NS1_11comp_targetILNS1_3genE3ELNS1_11target_archE908ELNS1_3gpuE7ELNS1_3repE0EEENS1_30default_config_static_selectorELNS0_4arch9wavefront6targetE1EEEvT1_
    .private_segment_fixed_size: 0
    .sgpr_count:     4
    .sgpr_spill_count: 0
    .symbol:         _ZN7rocprim17ROCPRIM_400000_NS6detail17trampoline_kernelINS0_14default_configENS1_35adjacent_difference_config_selectorILb0EtEEZNS1_24adjacent_difference_implIS3_Lb0ELb0EPKtPtN6thrust23THRUST_200600_302600_NS4plusItEEEE10hipError_tPvRmT2_T3_mT4_P12ihipStream_tbEUlT_E_NS1_11comp_targetILNS1_3genE3ELNS1_11target_archE908ELNS1_3gpuE7ELNS1_3repE0EEENS1_30default_config_static_selectorELNS0_4arch9wavefront6targetE1EEEvT1_.kd
    .uniform_work_group_size: 1
    .uses_dynamic_stack: false
    .vgpr_count:     0
    .vgpr_spill_count: 0
    .wavefront_size: 64
  - .agpr_count:     0
    .args:
      - .offset:         0
        .size:           56
        .value_kind:     by_value
    .group_segment_fixed_size: 0
    .kernarg_segment_align: 8
    .kernarg_segment_size: 56
    .language:       OpenCL C
    .language_version:
      - 2
      - 0
    .max_flat_workgroup_size: 64
    .name:           _ZN7rocprim17ROCPRIM_400000_NS6detail17trampoline_kernelINS0_14default_configENS1_35adjacent_difference_config_selectorILb0EtEEZNS1_24adjacent_difference_implIS3_Lb0ELb0EPKtPtN6thrust23THRUST_200600_302600_NS4plusItEEEE10hipError_tPvRmT2_T3_mT4_P12ihipStream_tbEUlT_E_NS1_11comp_targetILNS1_3genE2ELNS1_11target_archE906ELNS1_3gpuE6ELNS1_3repE0EEENS1_30default_config_static_selectorELNS0_4arch9wavefront6targetE1EEEvT1_
    .private_segment_fixed_size: 0
    .sgpr_count:     4
    .sgpr_spill_count: 0
    .symbol:         _ZN7rocprim17ROCPRIM_400000_NS6detail17trampoline_kernelINS0_14default_configENS1_35adjacent_difference_config_selectorILb0EtEEZNS1_24adjacent_difference_implIS3_Lb0ELb0EPKtPtN6thrust23THRUST_200600_302600_NS4plusItEEEE10hipError_tPvRmT2_T3_mT4_P12ihipStream_tbEUlT_E_NS1_11comp_targetILNS1_3genE2ELNS1_11target_archE906ELNS1_3gpuE6ELNS1_3repE0EEENS1_30default_config_static_selectorELNS0_4arch9wavefront6targetE1EEEvT1_.kd
    .uniform_work_group_size: 1
    .uses_dynamic_stack: false
    .vgpr_count:     0
    .vgpr_spill_count: 0
    .wavefront_size: 64
  - .agpr_count:     0
    .args:
      - .offset:         0
        .size:           56
        .value_kind:     by_value
    .group_segment_fixed_size: 0
    .kernarg_segment_align: 8
    .kernarg_segment_size: 56
    .language:       OpenCL C
    .language_version:
      - 2
      - 0
    .max_flat_workgroup_size: 64
    .name:           _ZN7rocprim17ROCPRIM_400000_NS6detail17trampoline_kernelINS0_14default_configENS1_35adjacent_difference_config_selectorILb0EtEEZNS1_24adjacent_difference_implIS3_Lb0ELb0EPKtPtN6thrust23THRUST_200600_302600_NS4plusItEEEE10hipError_tPvRmT2_T3_mT4_P12ihipStream_tbEUlT_E_NS1_11comp_targetILNS1_3genE9ELNS1_11target_archE1100ELNS1_3gpuE3ELNS1_3repE0EEENS1_30default_config_static_selectorELNS0_4arch9wavefront6targetE1EEEvT1_
    .private_segment_fixed_size: 0
    .sgpr_count:     4
    .sgpr_spill_count: 0
    .symbol:         _ZN7rocprim17ROCPRIM_400000_NS6detail17trampoline_kernelINS0_14default_configENS1_35adjacent_difference_config_selectorILb0EtEEZNS1_24adjacent_difference_implIS3_Lb0ELb0EPKtPtN6thrust23THRUST_200600_302600_NS4plusItEEEE10hipError_tPvRmT2_T3_mT4_P12ihipStream_tbEUlT_E_NS1_11comp_targetILNS1_3genE9ELNS1_11target_archE1100ELNS1_3gpuE3ELNS1_3repE0EEENS1_30default_config_static_selectorELNS0_4arch9wavefront6targetE1EEEvT1_.kd
    .uniform_work_group_size: 1
    .uses_dynamic_stack: false
    .vgpr_count:     0
    .vgpr_spill_count: 0
    .wavefront_size: 64
  - .agpr_count:     0
    .args:
      - .offset:         0
        .size:           56
        .value_kind:     by_value
    .group_segment_fixed_size: 0
    .kernarg_segment_align: 8
    .kernarg_segment_size: 56
    .language:       OpenCL C
    .language_version:
      - 2
      - 0
    .max_flat_workgroup_size: 1024
    .name:           _ZN7rocprim17ROCPRIM_400000_NS6detail17trampoline_kernelINS0_14default_configENS1_35adjacent_difference_config_selectorILb0EtEEZNS1_24adjacent_difference_implIS3_Lb0ELb0EPKtPtN6thrust23THRUST_200600_302600_NS4plusItEEEE10hipError_tPvRmT2_T3_mT4_P12ihipStream_tbEUlT_E_NS1_11comp_targetILNS1_3genE8ELNS1_11target_archE1030ELNS1_3gpuE2ELNS1_3repE0EEENS1_30default_config_static_selectorELNS0_4arch9wavefront6targetE1EEEvT1_
    .private_segment_fixed_size: 0
    .sgpr_count:     4
    .sgpr_spill_count: 0
    .symbol:         _ZN7rocprim17ROCPRIM_400000_NS6detail17trampoline_kernelINS0_14default_configENS1_35adjacent_difference_config_selectorILb0EtEEZNS1_24adjacent_difference_implIS3_Lb0ELb0EPKtPtN6thrust23THRUST_200600_302600_NS4plusItEEEE10hipError_tPvRmT2_T3_mT4_P12ihipStream_tbEUlT_E_NS1_11comp_targetILNS1_3genE8ELNS1_11target_archE1030ELNS1_3gpuE2ELNS1_3repE0EEENS1_30default_config_static_selectorELNS0_4arch9wavefront6targetE1EEEvT1_.kd
    .uniform_work_group_size: 1
    .uses_dynamic_stack: false
    .vgpr_count:     0
    .vgpr_spill_count: 0
    .wavefront_size: 64
  - .agpr_count:     0
    .args:
      - .offset:         0
        .size:           56
        .value_kind:     by_value
    .group_segment_fixed_size: 0
    .kernarg_segment_align: 8
    .kernarg_segment_size: 56
    .language:       OpenCL C
    .language_version:
      - 2
      - 0
    .max_flat_workgroup_size: 128
    .name:           _ZN7rocprim17ROCPRIM_400000_NS6detail17trampoline_kernelINS0_14default_configENS1_25transform_config_selectorItLb0EEEZNS1_14transform_implILb0ES3_S5_NS0_18transform_iteratorINS0_17counting_iteratorImlEEZNS1_24adjacent_difference_implIS3_Lb1ELb0EPKtPtN6thrust23THRUST_200600_302600_NS4plusItEEEE10hipError_tPvRmT2_T3_mT4_P12ihipStream_tbEUlmE_tEESD_NS0_8identityIvEEEESI_SL_SM_mSN_SP_bEUlT_E_NS1_11comp_targetILNS1_3genE0ELNS1_11target_archE4294967295ELNS1_3gpuE0ELNS1_3repE0EEENS1_30default_config_static_selectorELNS0_4arch9wavefront6targetE1EEEvT1_
    .private_segment_fixed_size: 0
    .sgpr_count:     4
    .sgpr_spill_count: 0
    .symbol:         _ZN7rocprim17ROCPRIM_400000_NS6detail17trampoline_kernelINS0_14default_configENS1_25transform_config_selectorItLb0EEEZNS1_14transform_implILb0ES3_S5_NS0_18transform_iteratorINS0_17counting_iteratorImlEEZNS1_24adjacent_difference_implIS3_Lb1ELb0EPKtPtN6thrust23THRUST_200600_302600_NS4plusItEEEE10hipError_tPvRmT2_T3_mT4_P12ihipStream_tbEUlmE_tEESD_NS0_8identityIvEEEESI_SL_SM_mSN_SP_bEUlT_E_NS1_11comp_targetILNS1_3genE0ELNS1_11target_archE4294967295ELNS1_3gpuE0ELNS1_3repE0EEENS1_30default_config_static_selectorELNS0_4arch9wavefront6targetE1EEEvT1_.kd
    .uniform_work_group_size: 1
    .uses_dynamic_stack: false
    .vgpr_count:     0
    .vgpr_spill_count: 0
    .wavefront_size: 64
  - .agpr_count:     0
    .args:
      - .offset:         0
        .size:           56
        .value_kind:     by_value
    .group_segment_fixed_size: 0
    .kernarg_segment_align: 8
    .kernarg_segment_size: 56
    .language:       OpenCL C
    .language_version:
      - 2
      - 0
    .max_flat_workgroup_size: 256
    .name:           _ZN7rocprim17ROCPRIM_400000_NS6detail17trampoline_kernelINS0_14default_configENS1_25transform_config_selectorItLb0EEEZNS1_14transform_implILb0ES3_S5_NS0_18transform_iteratorINS0_17counting_iteratorImlEEZNS1_24adjacent_difference_implIS3_Lb1ELb0EPKtPtN6thrust23THRUST_200600_302600_NS4plusItEEEE10hipError_tPvRmT2_T3_mT4_P12ihipStream_tbEUlmE_tEESD_NS0_8identityIvEEEESI_SL_SM_mSN_SP_bEUlT_E_NS1_11comp_targetILNS1_3genE5ELNS1_11target_archE942ELNS1_3gpuE9ELNS1_3repE0EEENS1_30default_config_static_selectorELNS0_4arch9wavefront6targetE1EEEvT1_
    .private_segment_fixed_size: 0
    .sgpr_count:     4
    .sgpr_spill_count: 0
    .symbol:         _ZN7rocprim17ROCPRIM_400000_NS6detail17trampoline_kernelINS0_14default_configENS1_25transform_config_selectorItLb0EEEZNS1_14transform_implILb0ES3_S5_NS0_18transform_iteratorINS0_17counting_iteratorImlEEZNS1_24adjacent_difference_implIS3_Lb1ELb0EPKtPtN6thrust23THRUST_200600_302600_NS4plusItEEEE10hipError_tPvRmT2_T3_mT4_P12ihipStream_tbEUlmE_tEESD_NS0_8identityIvEEEESI_SL_SM_mSN_SP_bEUlT_E_NS1_11comp_targetILNS1_3genE5ELNS1_11target_archE942ELNS1_3gpuE9ELNS1_3repE0EEENS1_30default_config_static_selectorELNS0_4arch9wavefront6targetE1EEEvT1_.kd
    .uniform_work_group_size: 1
    .uses_dynamic_stack: false
    .vgpr_count:     0
    .vgpr_spill_count: 0
    .wavefront_size: 64
  - .agpr_count:     0
    .args:
      - .offset:         0
        .size:           56
        .value_kind:     by_value
      - .offset:         56
        .size:           4
        .value_kind:     hidden_block_count_x
      - .offset:         60
        .size:           4
        .value_kind:     hidden_block_count_y
      - .offset:         64
        .size:           4
        .value_kind:     hidden_block_count_z
      - .offset:         68
        .size:           2
        .value_kind:     hidden_group_size_x
      - .offset:         70
        .size:           2
        .value_kind:     hidden_group_size_y
      - .offset:         72
        .size:           2
        .value_kind:     hidden_group_size_z
      - .offset:         74
        .size:           2
        .value_kind:     hidden_remainder_x
      - .offset:         76
        .size:           2
        .value_kind:     hidden_remainder_y
      - .offset:         78
        .size:           2
        .value_kind:     hidden_remainder_z
      - .offset:         96
        .size:           8
        .value_kind:     hidden_global_offset_x
      - .offset:         104
        .size:           8
        .value_kind:     hidden_global_offset_y
      - .offset:         112
        .size:           8
        .value_kind:     hidden_global_offset_z
      - .offset:         120
        .size:           2
        .value_kind:     hidden_grid_dims
    .group_segment_fixed_size: 0
    .kernarg_segment_align: 8
    .kernarg_segment_size: 312
    .language:       OpenCL C
    .language_version:
      - 2
      - 0
    .max_flat_workgroup_size: 64
    .name:           _ZN7rocprim17ROCPRIM_400000_NS6detail17trampoline_kernelINS0_14default_configENS1_25transform_config_selectorItLb0EEEZNS1_14transform_implILb0ES3_S5_NS0_18transform_iteratorINS0_17counting_iteratorImlEEZNS1_24adjacent_difference_implIS3_Lb1ELb0EPKtPtN6thrust23THRUST_200600_302600_NS4plusItEEEE10hipError_tPvRmT2_T3_mT4_P12ihipStream_tbEUlmE_tEESD_NS0_8identityIvEEEESI_SL_SM_mSN_SP_bEUlT_E_NS1_11comp_targetILNS1_3genE4ELNS1_11target_archE910ELNS1_3gpuE8ELNS1_3repE0EEENS1_30default_config_static_selectorELNS0_4arch9wavefront6targetE1EEEvT1_
    .private_segment_fixed_size: 0
    .sgpr_count:     34
    .sgpr_spill_count: 0
    .symbol:         _ZN7rocprim17ROCPRIM_400000_NS6detail17trampoline_kernelINS0_14default_configENS1_25transform_config_selectorItLb0EEEZNS1_14transform_implILb0ES3_S5_NS0_18transform_iteratorINS0_17counting_iteratorImlEEZNS1_24adjacent_difference_implIS3_Lb1ELb0EPKtPtN6thrust23THRUST_200600_302600_NS4plusItEEEE10hipError_tPvRmT2_T3_mT4_P12ihipStream_tbEUlmE_tEESD_NS0_8identityIvEEEESI_SL_SM_mSN_SP_bEUlT_E_NS1_11comp_targetILNS1_3genE4ELNS1_11target_archE910ELNS1_3gpuE8ELNS1_3repE0EEENS1_30default_config_static_selectorELNS0_4arch9wavefront6targetE1EEEvT1_.kd
    .uniform_work_group_size: 1
    .uses_dynamic_stack: false
    .vgpr_count:     18
    .vgpr_spill_count: 0
    .wavefront_size: 64
  - .agpr_count:     0
    .args:
      - .offset:         0
        .size:           56
        .value_kind:     by_value
    .group_segment_fixed_size: 0
    .kernarg_segment_align: 8
    .kernarg_segment_size: 56
    .language:       OpenCL C
    .language_version:
      - 2
      - 0
    .max_flat_workgroup_size: 128
    .name:           _ZN7rocprim17ROCPRIM_400000_NS6detail17trampoline_kernelINS0_14default_configENS1_25transform_config_selectorItLb0EEEZNS1_14transform_implILb0ES3_S5_NS0_18transform_iteratorINS0_17counting_iteratorImlEEZNS1_24adjacent_difference_implIS3_Lb1ELb0EPKtPtN6thrust23THRUST_200600_302600_NS4plusItEEEE10hipError_tPvRmT2_T3_mT4_P12ihipStream_tbEUlmE_tEESD_NS0_8identityIvEEEESI_SL_SM_mSN_SP_bEUlT_E_NS1_11comp_targetILNS1_3genE3ELNS1_11target_archE908ELNS1_3gpuE7ELNS1_3repE0EEENS1_30default_config_static_selectorELNS0_4arch9wavefront6targetE1EEEvT1_
    .private_segment_fixed_size: 0
    .sgpr_count:     4
    .sgpr_spill_count: 0
    .symbol:         _ZN7rocprim17ROCPRIM_400000_NS6detail17trampoline_kernelINS0_14default_configENS1_25transform_config_selectorItLb0EEEZNS1_14transform_implILb0ES3_S5_NS0_18transform_iteratorINS0_17counting_iteratorImlEEZNS1_24adjacent_difference_implIS3_Lb1ELb0EPKtPtN6thrust23THRUST_200600_302600_NS4plusItEEEE10hipError_tPvRmT2_T3_mT4_P12ihipStream_tbEUlmE_tEESD_NS0_8identityIvEEEESI_SL_SM_mSN_SP_bEUlT_E_NS1_11comp_targetILNS1_3genE3ELNS1_11target_archE908ELNS1_3gpuE7ELNS1_3repE0EEENS1_30default_config_static_selectorELNS0_4arch9wavefront6targetE1EEEvT1_.kd
    .uniform_work_group_size: 1
    .uses_dynamic_stack: false
    .vgpr_count:     0
    .vgpr_spill_count: 0
    .wavefront_size: 64
  - .agpr_count:     0
    .args:
      - .offset:         0
        .size:           56
        .value_kind:     by_value
    .group_segment_fixed_size: 0
    .kernarg_segment_align: 8
    .kernarg_segment_size: 56
    .language:       OpenCL C
    .language_version:
      - 2
      - 0
    .max_flat_workgroup_size: 512
    .name:           _ZN7rocprim17ROCPRIM_400000_NS6detail17trampoline_kernelINS0_14default_configENS1_25transform_config_selectorItLb0EEEZNS1_14transform_implILb0ES3_S5_NS0_18transform_iteratorINS0_17counting_iteratorImlEEZNS1_24adjacent_difference_implIS3_Lb1ELb0EPKtPtN6thrust23THRUST_200600_302600_NS4plusItEEEE10hipError_tPvRmT2_T3_mT4_P12ihipStream_tbEUlmE_tEESD_NS0_8identityIvEEEESI_SL_SM_mSN_SP_bEUlT_E_NS1_11comp_targetILNS1_3genE2ELNS1_11target_archE906ELNS1_3gpuE6ELNS1_3repE0EEENS1_30default_config_static_selectorELNS0_4arch9wavefront6targetE1EEEvT1_
    .private_segment_fixed_size: 0
    .sgpr_count:     4
    .sgpr_spill_count: 0
    .symbol:         _ZN7rocprim17ROCPRIM_400000_NS6detail17trampoline_kernelINS0_14default_configENS1_25transform_config_selectorItLb0EEEZNS1_14transform_implILb0ES3_S5_NS0_18transform_iteratorINS0_17counting_iteratorImlEEZNS1_24adjacent_difference_implIS3_Lb1ELb0EPKtPtN6thrust23THRUST_200600_302600_NS4plusItEEEE10hipError_tPvRmT2_T3_mT4_P12ihipStream_tbEUlmE_tEESD_NS0_8identityIvEEEESI_SL_SM_mSN_SP_bEUlT_E_NS1_11comp_targetILNS1_3genE2ELNS1_11target_archE906ELNS1_3gpuE6ELNS1_3repE0EEENS1_30default_config_static_selectorELNS0_4arch9wavefront6targetE1EEEvT1_.kd
    .uniform_work_group_size: 1
    .uses_dynamic_stack: false
    .vgpr_count:     0
    .vgpr_spill_count: 0
    .wavefront_size: 64
  - .agpr_count:     0
    .args:
      - .offset:         0
        .size:           56
        .value_kind:     by_value
    .group_segment_fixed_size: 0
    .kernarg_segment_align: 8
    .kernarg_segment_size: 56
    .language:       OpenCL C
    .language_version:
      - 2
      - 0
    .max_flat_workgroup_size: 1024
    .name:           _ZN7rocprim17ROCPRIM_400000_NS6detail17trampoline_kernelINS0_14default_configENS1_25transform_config_selectorItLb0EEEZNS1_14transform_implILb0ES3_S5_NS0_18transform_iteratorINS0_17counting_iteratorImlEEZNS1_24adjacent_difference_implIS3_Lb1ELb0EPKtPtN6thrust23THRUST_200600_302600_NS4plusItEEEE10hipError_tPvRmT2_T3_mT4_P12ihipStream_tbEUlmE_tEESD_NS0_8identityIvEEEESI_SL_SM_mSN_SP_bEUlT_E_NS1_11comp_targetILNS1_3genE10ELNS1_11target_archE1201ELNS1_3gpuE5ELNS1_3repE0EEENS1_30default_config_static_selectorELNS0_4arch9wavefront6targetE1EEEvT1_
    .private_segment_fixed_size: 0
    .sgpr_count:     4
    .sgpr_spill_count: 0
    .symbol:         _ZN7rocprim17ROCPRIM_400000_NS6detail17trampoline_kernelINS0_14default_configENS1_25transform_config_selectorItLb0EEEZNS1_14transform_implILb0ES3_S5_NS0_18transform_iteratorINS0_17counting_iteratorImlEEZNS1_24adjacent_difference_implIS3_Lb1ELb0EPKtPtN6thrust23THRUST_200600_302600_NS4plusItEEEE10hipError_tPvRmT2_T3_mT4_P12ihipStream_tbEUlmE_tEESD_NS0_8identityIvEEEESI_SL_SM_mSN_SP_bEUlT_E_NS1_11comp_targetILNS1_3genE10ELNS1_11target_archE1201ELNS1_3gpuE5ELNS1_3repE0EEENS1_30default_config_static_selectorELNS0_4arch9wavefront6targetE1EEEvT1_.kd
    .uniform_work_group_size: 1
    .uses_dynamic_stack: false
    .vgpr_count:     0
    .vgpr_spill_count: 0
    .wavefront_size: 64
  - .agpr_count:     0
    .args:
      - .offset:         0
        .size:           56
        .value_kind:     by_value
    .group_segment_fixed_size: 0
    .kernarg_segment_align: 8
    .kernarg_segment_size: 56
    .language:       OpenCL C
    .language_version:
      - 2
      - 0
    .max_flat_workgroup_size: 512
    .name:           _ZN7rocprim17ROCPRIM_400000_NS6detail17trampoline_kernelINS0_14default_configENS1_25transform_config_selectorItLb0EEEZNS1_14transform_implILb0ES3_S5_NS0_18transform_iteratorINS0_17counting_iteratorImlEEZNS1_24adjacent_difference_implIS3_Lb1ELb0EPKtPtN6thrust23THRUST_200600_302600_NS4plusItEEEE10hipError_tPvRmT2_T3_mT4_P12ihipStream_tbEUlmE_tEESD_NS0_8identityIvEEEESI_SL_SM_mSN_SP_bEUlT_E_NS1_11comp_targetILNS1_3genE10ELNS1_11target_archE1200ELNS1_3gpuE4ELNS1_3repE0EEENS1_30default_config_static_selectorELNS0_4arch9wavefront6targetE1EEEvT1_
    .private_segment_fixed_size: 0
    .sgpr_count:     4
    .sgpr_spill_count: 0
    .symbol:         _ZN7rocprim17ROCPRIM_400000_NS6detail17trampoline_kernelINS0_14default_configENS1_25transform_config_selectorItLb0EEEZNS1_14transform_implILb0ES3_S5_NS0_18transform_iteratorINS0_17counting_iteratorImlEEZNS1_24adjacent_difference_implIS3_Lb1ELb0EPKtPtN6thrust23THRUST_200600_302600_NS4plusItEEEE10hipError_tPvRmT2_T3_mT4_P12ihipStream_tbEUlmE_tEESD_NS0_8identityIvEEEESI_SL_SM_mSN_SP_bEUlT_E_NS1_11comp_targetILNS1_3genE10ELNS1_11target_archE1200ELNS1_3gpuE4ELNS1_3repE0EEENS1_30default_config_static_selectorELNS0_4arch9wavefront6targetE1EEEvT1_.kd
    .uniform_work_group_size: 1
    .uses_dynamic_stack: false
    .vgpr_count:     0
    .vgpr_spill_count: 0
    .wavefront_size: 64
  - .agpr_count:     0
    .args:
      - .offset:         0
        .size:           56
        .value_kind:     by_value
    .group_segment_fixed_size: 0
    .kernarg_segment_align: 8
    .kernarg_segment_size: 56
    .language:       OpenCL C
    .language_version:
      - 2
      - 0
    .max_flat_workgroup_size: 1024
    .name:           _ZN7rocprim17ROCPRIM_400000_NS6detail17trampoline_kernelINS0_14default_configENS1_25transform_config_selectorItLb0EEEZNS1_14transform_implILb0ES3_S5_NS0_18transform_iteratorINS0_17counting_iteratorImlEEZNS1_24adjacent_difference_implIS3_Lb1ELb0EPKtPtN6thrust23THRUST_200600_302600_NS4plusItEEEE10hipError_tPvRmT2_T3_mT4_P12ihipStream_tbEUlmE_tEESD_NS0_8identityIvEEEESI_SL_SM_mSN_SP_bEUlT_E_NS1_11comp_targetILNS1_3genE9ELNS1_11target_archE1100ELNS1_3gpuE3ELNS1_3repE0EEENS1_30default_config_static_selectorELNS0_4arch9wavefront6targetE1EEEvT1_
    .private_segment_fixed_size: 0
    .sgpr_count:     4
    .sgpr_spill_count: 0
    .symbol:         _ZN7rocprim17ROCPRIM_400000_NS6detail17trampoline_kernelINS0_14default_configENS1_25transform_config_selectorItLb0EEEZNS1_14transform_implILb0ES3_S5_NS0_18transform_iteratorINS0_17counting_iteratorImlEEZNS1_24adjacent_difference_implIS3_Lb1ELb0EPKtPtN6thrust23THRUST_200600_302600_NS4plusItEEEE10hipError_tPvRmT2_T3_mT4_P12ihipStream_tbEUlmE_tEESD_NS0_8identityIvEEEESI_SL_SM_mSN_SP_bEUlT_E_NS1_11comp_targetILNS1_3genE9ELNS1_11target_archE1100ELNS1_3gpuE3ELNS1_3repE0EEENS1_30default_config_static_selectorELNS0_4arch9wavefront6targetE1EEEvT1_.kd
    .uniform_work_group_size: 1
    .uses_dynamic_stack: false
    .vgpr_count:     0
    .vgpr_spill_count: 0
    .wavefront_size: 64
  - .agpr_count:     0
    .args:
      - .offset:         0
        .size:           56
        .value_kind:     by_value
    .group_segment_fixed_size: 0
    .kernarg_segment_align: 8
    .kernarg_segment_size: 56
    .language:       OpenCL C
    .language_version:
      - 2
      - 0
    .max_flat_workgroup_size: 1024
    .name:           _ZN7rocprim17ROCPRIM_400000_NS6detail17trampoline_kernelINS0_14default_configENS1_25transform_config_selectorItLb0EEEZNS1_14transform_implILb0ES3_S5_NS0_18transform_iteratorINS0_17counting_iteratorImlEEZNS1_24adjacent_difference_implIS3_Lb1ELb0EPKtPtN6thrust23THRUST_200600_302600_NS4plusItEEEE10hipError_tPvRmT2_T3_mT4_P12ihipStream_tbEUlmE_tEESD_NS0_8identityIvEEEESI_SL_SM_mSN_SP_bEUlT_E_NS1_11comp_targetILNS1_3genE8ELNS1_11target_archE1030ELNS1_3gpuE2ELNS1_3repE0EEENS1_30default_config_static_selectorELNS0_4arch9wavefront6targetE1EEEvT1_
    .private_segment_fixed_size: 0
    .sgpr_count:     4
    .sgpr_spill_count: 0
    .symbol:         _ZN7rocprim17ROCPRIM_400000_NS6detail17trampoline_kernelINS0_14default_configENS1_25transform_config_selectorItLb0EEEZNS1_14transform_implILb0ES3_S5_NS0_18transform_iteratorINS0_17counting_iteratorImlEEZNS1_24adjacent_difference_implIS3_Lb1ELb0EPKtPtN6thrust23THRUST_200600_302600_NS4plusItEEEE10hipError_tPvRmT2_T3_mT4_P12ihipStream_tbEUlmE_tEESD_NS0_8identityIvEEEESI_SL_SM_mSN_SP_bEUlT_E_NS1_11comp_targetILNS1_3genE8ELNS1_11target_archE1030ELNS1_3gpuE2ELNS1_3repE0EEENS1_30default_config_static_selectorELNS0_4arch9wavefront6targetE1EEEvT1_.kd
    .uniform_work_group_size: 1
    .uses_dynamic_stack: false
    .vgpr_count:     0
    .vgpr_spill_count: 0
    .wavefront_size: 64
  - .agpr_count:     0
    .args:
      - .offset:         0
        .size:           56
        .value_kind:     by_value
    .group_segment_fixed_size: 0
    .kernarg_segment_align: 8
    .kernarg_segment_size: 56
    .language:       OpenCL C
    .language_version:
      - 2
      - 0
    .max_flat_workgroup_size: 32
    .name:           _ZN7rocprim17ROCPRIM_400000_NS6detail17trampoline_kernelINS0_14default_configENS1_35adjacent_difference_config_selectorILb1EtEEZNS1_24adjacent_difference_implIS3_Lb1ELb0EPKtPtN6thrust23THRUST_200600_302600_NS4plusItEEEE10hipError_tPvRmT2_T3_mT4_P12ihipStream_tbEUlT_E_NS1_11comp_targetILNS1_3genE0ELNS1_11target_archE4294967295ELNS1_3gpuE0ELNS1_3repE0EEENS1_30default_config_static_selectorELNS0_4arch9wavefront6targetE1EEEvT1_
    .private_segment_fixed_size: 0
    .sgpr_count:     4
    .sgpr_spill_count: 0
    .symbol:         _ZN7rocprim17ROCPRIM_400000_NS6detail17trampoline_kernelINS0_14default_configENS1_35adjacent_difference_config_selectorILb1EtEEZNS1_24adjacent_difference_implIS3_Lb1ELb0EPKtPtN6thrust23THRUST_200600_302600_NS4plusItEEEE10hipError_tPvRmT2_T3_mT4_P12ihipStream_tbEUlT_E_NS1_11comp_targetILNS1_3genE0ELNS1_11target_archE4294967295ELNS1_3gpuE0ELNS1_3repE0EEENS1_30default_config_static_selectorELNS0_4arch9wavefront6targetE1EEEvT1_.kd
    .uniform_work_group_size: 1
    .uses_dynamic_stack: false
    .vgpr_count:     0
    .vgpr_spill_count: 0
    .wavefront_size: 64
  - .agpr_count:     0
    .args:
      - .offset:         0
        .size:           56
        .value_kind:     by_value
    .group_segment_fixed_size: 0
    .kernarg_segment_align: 8
    .kernarg_segment_size: 56
    .language:       OpenCL C
    .language_version:
      - 2
      - 0
    .max_flat_workgroup_size: 512
    .name:           _ZN7rocprim17ROCPRIM_400000_NS6detail17trampoline_kernelINS0_14default_configENS1_35adjacent_difference_config_selectorILb1EtEEZNS1_24adjacent_difference_implIS3_Lb1ELb0EPKtPtN6thrust23THRUST_200600_302600_NS4plusItEEEE10hipError_tPvRmT2_T3_mT4_P12ihipStream_tbEUlT_E_NS1_11comp_targetILNS1_3genE10ELNS1_11target_archE1201ELNS1_3gpuE5ELNS1_3repE0EEENS1_30default_config_static_selectorELNS0_4arch9wavefront6targetE1EEEvT1_
    .private_segment_fixed_size: 0
    .sgpr_count:     4
    .sgpr_spill_count: 0
    .symbol:         _ZN7rocprim17ROCPRIM_400000_NS6detail17trampoline_kernelINS0_14default_configENS1_35adjacent_difference_config_selectorILb1EtEEZNS1_24adjacent_difference_implIS3_Lb1ELb0EPKtPtN6thrust23THRUST_200600_302600_NS4plusItEEEE10hipError_tPvRmT2_T3_mT4_P12ihipStream_tbEUlT_E_NS1_11comp_targetILNS1_3genE10ELNS1_11target_archE1201ELNS1_3gpuE5ELNS1_3repE0EEENS1_30default_config_static_selectorELNS0_4arch9wavefront6targetE1EEEvT1_.kd
    .uniform_work_group_size: 1
    .uses_dynamic_stack: false
    .vgpr_count:     0
    .vgpr_spill_count: 0
    .wavefront_size: 64
  - .agpr_count:     0
    .args:
      - .offset:         0
        .size:           56
        .value_kind:     by_value
    .group_segment_fixed_size: 0
    .kernarg_segment_align: 8
    .kernarg_segment_size: 56
    .language:       OpenCL C
    .language_version:
      - 2
      - 0
    .max_flat_workgroup_size: 64
    .name:           _ZN7rocprim17ROCPRIM_400000_NS6detail17trampoline_kernelINS0_14default_configENS1_35adjacent_difference_config_selectorILb1EtEEZNS1_24adjacent_difference_implIS3_Lb1ELb0EPKtPtN6thrust23THRUST_200600_302600_NS4plusItEEEE10hipError_tPvRmT2_T3_mT4_P12ihipStream_tbEUlT_E_NS1_11comp_targetILNS1_3genE5ELNS1_11target_archE942ELNS1_3gpuE9ELNS1_3repE0EEENS1_30default_config_static_selectorELNS0_4arch9wavefront6targetE1EEEvT1_
    .private_segment_fixed_size: 0
    .sgpr_count:     4
    .sgpr_spill_count: 0
    .symbol:         _ZN7rocprim17ROCPRIM_400000_NS6detail17trampoline_kernelINS0_14default_configENS1_35adjacent_difference_config_selectorILb1EtEEZNS1_24adjacent_difference_implIS3_Lb1ELb0EPKtPtN6thrust23THRUST_200600_302600_NS4plusItEEEE10hipError_tPvRmT2_T3_mT4_P12ihipStream_tbEUlT_E_NS1_11comp_targetILNS1_3genE5ELNS1_11target_archE942ELNS1_3gpuE9ELNS1_3repE0EEENS1_30default_config_static_selectorELNS0_4arch9wavefront6targetE1EEEvT1_.kd
    .uniform_work_group_size: 1
    .uses_dynamic_stack: false
    .vgpr_count:     0
    .vgpr_spill_count: 0
    .wavefront_size: 64
  - .agpr_count:     0
    .args:
      - .offset:         0
        .size:           56
        .value_kind:     by_value
    .group_segment_fixed_size: 2176
    .kernarg_segment_align: 8
    .kernarg_segment_size: 56
    .language:       OpenCL C
    .language_version:
      - 2
      - 0
    .max_flat_workgroup_size: 64
    .name:           _ZN7rocprim17ROCPRIM_400000_NS6detail17trampoline_kernelINS0_14default_configENS1_35adjacent_difference_config_selectorILb1EtEEZNS1_24adjacent_difference_implIS3_Lb1ELb0EPKtPtN6thrust23THRUST_200600_302600_NS4plusItEEEE10hipError_tPvRmT2_T3_mT4_P12ihipStream_tbEUlT_E_NS1_11comp_targetILNS1_3genE4ELNS1_11target_archE910ELNS1_3gpuE8ELNS1_3repE0EEENS1_30default_config_static_selectorELNS0_4arch9wavefront6targetE1EEEvT1_
    .private_segment_fixed_size: 0
    .sgpr_count:     33
    .sgpr_spill_count: 0
    .symbol:         _ZN7rocprim17ROCPRIM_400000_NS6detail17trampoline_kernelINS0_14default_configENS1_35adjacent_difference_config_selectorILb1EtEEZNS1_24adjacent_difference_implIS3_Lb1ELb0EPKtPtN6thrust23THRUST_200600_302600_NS4plusItEEEE10hipError_tPvRmT2_T3_mT4_P12ihipStream_tbEUlT_E_NS1_11comp_targetILNS1_3genE4ELNS1_11target_archE910ELNS1_3gpuE8ELNS1_3repE0EEENS1_30default_config_static_selectorELNS0_4arch9wavefront6targetE1EEEvT1_.kd
    .uniform_work_group_size: 1
    .uses_dynamic_stack: false
    .vgpr_count:     32
    .vgpr_spill_count: 0
    .wavefront_size: 64
  - .agpr_count:     0
    .args:
      - .offset:         0
        .size:           56
        .value_kind:     by_value
    .group_segment_fixed_size: 0
    .kernarg_segment_align: 8
    .kernarg_segment_size: 56
    .language:       OpenCL C
    .language_version:
      - 2
      - 0
    .max_flat_workgroup_size: 32
    .name:           _ZN7rocprim17ROCPRIM_400000_NS6detail17trampoline_kernelINS0_14default_configENS1_35adjacent_difference_config_selectorILb1EtEEZNS1_24adjacent_difference_implIS3_Lb1ELb0EPKtPtN6thrust23THRUST_200600_302600_NS4plusItEEEE10hipError_tPvRmT2_T3_mT4_P12ihipStream_tbEUlT_E_NS1_11comp_targetILNS1_3genE3ELNS1_11target_archE908ELNS1_3gpuE7ELNS1_3repE0EEENS1_30default_config_static_selectorELNS0_4arch9wavefront6targetE1EEEvT1_
    .private_segment_fixed_size: 0
    .sgpr_count:     4
    .sgpr_spill_count: 0
    .symbol:         _ZN7rocprim17ROCPRIM_400000_NS6detail17trampoline_kernelINS0_14default_configENS1_35adjacent_difference_config_selectorILb1EtEEZNS1_24adjacent_difference_implIS3_Lb1ELb0EPKtPtN6thrust23THRUST_200600_302600_NS4plusItEEEE10hipError_tPvRmT2_T3_mT4_P12ihipStream_tbEUlT_E_NS1_11comp_targetILNS1_3genE3ELNS1_11target_archE908ELNS1_3gpuE7ELNS1_3repE0EEENS1_30default_config_static_selectorELNS0_4arch9wavefront6targetE1EEEvT1_.kd
    .uniform_work_group_size: 1
    .uses_dynamic_stack: false
    .vgpr_count:     0
    .vgpr_spill_count: 0
    .wavefront_size: 64
  - .agpr_count:     0
    .args:
      - .offset:         0
        .size:           56
        .value_kind:     by_value
    .group_segment_fixed_size: 0
    .kernarg_segment_align: 8
    .kernarg_segment_size: 56
    .language:       OpenCL C
    .language_version:
      - 2
      - 0
    .max_flat_workgroup_size: 64
    .name:           _ZN7rocprim17ROCPRIM_400000_NS6detail17trampoline_kernelINS0_14default_configENS1_35adjacent_difference_config_selectorILb1EtEEZNS1_24adjacent_difference_implIS3_Lb1ELb0EPKtPtN6thrust23THRUST_200600_302600_NS4plusItEEEE10hipError_tPvRmT2_T3_mT4_P12ihipStream_tbEUlT_E_NS1_11comp_targetILNS1_3genE2ELNS1_11target_archE906ELNS1_3gpuE6ELNS1_3repE0EEENS1_30default_config_static_selectorELNS0_4arch9wavefront6targetE1EEEvT1_
    .private_segment_fixed_size: 0
    .sgpr_count:     4
    .sgpr_spill_count: 0
    .symbol:         _ZN7rocprim17ROCPRIM_400000_NS6detail17trampoline_kernelINS0_14default_configENS1_35adjacent_difference_config_selectorILb1EtEEZNS1_24adjacent_difference_implIS3_Lb1ELb0EPKtPtN6thrust23THRUST_200600_302600_NS4plusItEEEE10hipError_tPvRmT2_T3_mT4_P12ihipStream_tbEUlT_E_NS1_11comp_targetILNS1_3genE2ELNS1_11target_archE906ELNS1_3gpuE6ELNS1_3repE0EEENS1_30default_config_static_selectorELNS0_4arch9wavefront6targetE1EEEvT1_.kd
    .uniform_work_group_size: 1
    .uses_dynamic_stack: false
    .vgpr_count:     0
    .vgpr_spill_count: 0
    .wavefront_size: 64
  - .agpr_count:     0
    .args:
      - .offset:         0
        .size:           56
        .value_kind:     by_value
    .group_segment_fixed_size: 0
    .kernarg_segment_align: 8
    .kernarg_segment_size: 56
    .language:       OpenCL C
    .language_version:
      - 2
      - 0
    .max_flat_workgroup_size: 128
    .name:           _ZN7rocprim17ROCPRIM_400000_NS6detail17trampoline_kernelINS0_14default_configENS1_35adjacent_difference_config_selectorILb1EtEEZNS1_24adjacent_difference_implIS3_Lb1ELb0EPKtPtN6thrust23THRUST_200600_302600_NS4plusItEEEE10hipError_tPvRmT2_T3_mT4_P12ihipStream_tbEUlT_E_NS1_11comp_targetILNS1_3genE9ELNS1_11target_archE1100ELNS1_3gpuE3ELNS1_3repE0EEENS1_30default_config_static_selectorELNS0_4arch9wavefront6targetE1EEEvT1_
    .private_segment_fixed_size: 0
    .sgpr_count:     4
    .sgpr_spill_count: 0
    .symbol:         _ZN7rocprim17ROCPRIM_400000_NS6detail17trampoline_kernelINS0_14default_configENS1_35adjacent_difference_config_selectorILb1EtEEZNS1_24adjacent_difference_implIS3_Lb1ELb0EPKtPtN6thrust23THRUST_200600_302600_NS4plusItEEEE10hipError_tPvRmT2_T3_mT4_P12ihipStream_tbEUlT_E_NS1_11comp_targetILNS1_3genE9ELNS1_11target_archE1100ELNS1_3gpuE3ELNS1_3repE0EEENS1_30default_config_static_selectorELNS0_4arch9wavefront6targetE1EEEvT1_.kd
    .uniform_work_group_size: 1
    .uses_dynamic_stack: false
    .vgpr_count:     0
    .vgpr_spill_count: 0
    .wavefront_size: 64
  - .agpr_count:     0
    .args:
      - .offset:         0
        .size:           56
        .value_kind:     by_value
    .group_segment_fixed_size: 0
    .kernarg_segment_align: 8
    .kernarg_segment_size: 56
    .language:       OpenCL C
    .language_version:
      - 2
      - 0
    .max_flat_workgroup_size: 512
    .name:           _ZN7rocprim17ROCPRIM_400000_NS6detail17trampoline_kernelINS0_14default_configENS1_35adjacent_difference_config_selectorILb1EtEEZNS1_24adjacent_difference_implIS3_Lb1ELb0EPKtPtN6thrust23THRUST_200600_302600_NS4plusItEEEE10hipError_tPvRmT2_T3_mT4_P12ihipStream_tbEUlT_E_NS1_11comp_targetILNS1_3genE8ELNS1_11target_archE1030ELNS1_3gpuE2ELNS1_3repE0EEENS1_30default_config_static_selectorELNS0_4arch9wavefront6targetE1EEEvT1_
    .private_segment_fixed_size: 0
    .sgpr_count:     4
    .sgpr_spill_count: 0
    .symbol:         _ZN7rocprim17ROCPRIM_400000_NS6detail17trampoline_kernelINS0_14default_configENS1_35adjacent_difference_config_selectorILb1EtEEZNS1_24adjacent_difference_implIS3_Lb1ELb0EPKtPtN6thrust23THRUST_200600_302600_NS4plusItEEEE10hipError_tPvRmT2_T3_mT4_P12ihipStream_tbEUlT_E_NS1_11comp_targetILNS1_3genE8ELNS1_11target_archE1030ELNS1_3gpuE2ELNS1_3repE0EEENS1_30default_config_static_selectorELNS0_4arch9wavefront6targetE1EEEvT1_.kd
    .uniform_work_group_size: 1
    .uses_dynamic_stack: false
    .vgpr_count:     0
    .vgpr_spill_count: 0
    .wavefront_size: 64
  - .agpr_count:     0
    .args:
      - .offset:         0
        .size:           56
        .value_kind:     by_value
    .group_segment_fixed_size: 0
    .kernarg_segment_align: 8
    .kernarg_segment_size: 56
    .language:       OpenCL C
    .language_version:
      - 2
      - 0
    .max_flat_workgroup_size: 128
    .name:           _ZN7rocprim17ROCPRIM_400000_NS6detail17trampoline_kernelINS0_14default_configENS1_35adjacent_difference_config_selectorILb0EiEEZNS1_24adjacent_difference_implIS3_Lb0ELb0EPKiPiN6thrust23THRUST_200600_302600_NS4plusIiEEEE10hipError_tPvRmT2_T3_mT4_P12ihipStream_tbEUlT_E_NS1_11comp_targetILNS1_3genE0ELNS1_11target_archE4294967295ELNS1_3gpuE0ELNS1_3repE0EEENS1_30default_config_static_selectorELNS0_4arch9wavefront6targetE1EEEvT1_
    .private_segment_fixed_size: 0
    .sgpr_count:     4
    .sgpr_spill_count: 0
    .symbol:         _ZN7rocprim17ROCPRIM_400000_NS6detail17trampoline_kernelINS0_14default_configENS1_35adjacent_difference_config_selectorILb0EiEEZNS1_24adjacent_difference_implIS3_Lb0ELb0EPKiPiN6thrust23THRUST_200600_302600_NS4plusIiEEEE10hipError_tPvRmT2_T3_mT4_P12ihipStream_tbEUlT_E_NS1_11comp_targetILNS1_3genE0ELNS1_11target_archE4294967295ELNS1_3gpuE0ELNS1_3repE0EEENS1_30default_config_static_selectorELNS0_4arch9wavefront6targetE1EEEvT1_.kd
    .uniform_work_group_size: 1
    .uses_dynamic_stack: false
    .vgpr_count:     0
    .vgpr_spill_count: 0
    .wavefront_size: 64
  - .agpr_count:     0
    .args:
      - .offset:         0
        .size:           56
        .value_kind:     by_value
    .group_segment_fixed_size: 0
    .kernarg_segment_align: 8
    .kernarg_segment_size: 56
    .language:       OpenCL C
    .language_version:
      - 2
      - 0
    .max_flat_workgroup_size: 128
    .name:           _ZN7rocprim17ROCPRIM_400000_NS6detail17trampoline_kernelINS0_14default_configENS1_35adjacent_difference_config_selectorILb0EiEEZNS1_24adjacent_difference_implIS3_Lb0ELb0EPKiPiN6thrust23THRUST_200600_302600_NS4plusIiEEEE10hipError_tPvRmT2_T3_mT4_P12ihipStream_tbEUlT_E_NS1_11comp_targetILNS1_3genE10ELNS1_11target_archE1201ELNS1_3gpuE5ELNS1_3repE0EEENS1_30default_config_static_selectorELNS0_4arch9wavefront6targetE1EEEvT1_
    .private_segment_fixed_size: 0
    .sgpr_count:     4
    .sgpr_spill_count: 0
    .symbol:         _ZN7rocprim17ROCPRIM_400000_NS6detail17trampoline_kernelINS0_14default_configENS1_35adjacent_difference_config_selectorILb0EiEEZNS1_24adjacent_difference_implIS3_Lb0ELb0EPKiPiN6thrust23THRUST_200600_302600_NS4plusIiEEEE10hipError_tPvRmT2_T3_mT4_P12ihipStream_tbEUlT_E_NS1_11comp_targetILNS1_3genE10ELNS1_11target_archE1201ELNS1_3gpuE5ELNS1_3repE0EEENS1_30default_config_static_selectorELNS0_4arch9wavefront6targetE1EEEvT1_.kd
    .uniform_work_group_size: 1
    .uses_dynamic_stack: false
    .vgpr_count:     0
    .vgpr_spill_count: 0
    .wavefront_size: 64
  - .agpr_count:     0
    .args:
      - .offset:         0
        .size:           56
        .value_kind:     by_value
    .group_segment_fixed_size: 0
    .kernarg_segment_align: 8
    .kernarg_segment_size: 56
    .language:       OpenCL C
    .language_version:
      - 2
      - 0
    .max_flat_workgroup_size: 64
    .name:           _ZN7rocprim17ROCPRIM_400000_NS6detail17trampoline_kernelINS0_14default_configENS1_35adjacent_difference_config_selectorILb0EiEEZNS1_24adjacent_difference_implIS3_Lb0ELb0EPKiPiN6thrust23THRUST_200600_302600_NS4plusIiEEEE10hipError_tPvRmT2_T3_mT4_P12ihipStream_tbEUlT_E_NS1_11comp_targetILNS1_3genE5ELNS1_11target_archE942ELNS1_3gpuE9ELNS1_3repE0EEENS1_30default_config_static_selectorELNS0_4arch9wavefront6targetE1EEEvT1_
    .private_segment_fixed_size: 0
    .sgpr_count:     4
    .sgpr_spill_count: 0
    .symbol:         _ZN7rocprim17ROCPRIM_400000_NS6detail17trampoline_kernelINS0_14default_configENS1_35adjacent_difference_config_selectorILb0EiEEZNS1_24adjacent_difference_implIS3_Lb0ELb0EPKiPiN6thrust23THRUST_200600_302600_NS4plusIiEEEE10hipError_tPvRmT2_T3_mT4_P12ihipStream_tbEUlT_E_NS1_11comp_targetILNS1_3genE5ELNS1_11target_archE942ELNS1_3gpuE9ELNS1_3repE0EEENS1_30default_config_static_selectorELNS0_4arch9wavefront6targetE1EEEvT1_.kd
    .uniform_work_group_size: 1
    .uses_dynamic_stack: false
    .vgpr_count:     0
    .vgpr_spill_count: 0
    .wavefront_size: 64
  - .agpr_count:     0
    .args:
      - .offset:         0
        .size:           56
        .value_kind:     by_value
    .group_segment_fixed_size: 10240
    .kernarg_segment_align: 8
    .kernarg_segment_size: 56
    .language:       OpenCL C
    .language_version:
      - 2
      - 0
    .max_flat_workgroup_size: 512
    .name:           _ZN7rocprim17ROCPRIM_400000_NS6detail17trampoline_kernelINS0_14default_configENS1_35adjacent_difference_config_selectorILb0EiEEZNS1_24adjacent_difference_implIS3_Lb0ELb0EPKiPiN6thrust23THRUST_200600_302600_NS4plusIiEEEE10hipError_tPvRmT2_T3_mT4_P12ihipStream_tbEUlT_E_NS1_11comp_targetILNS1_3genE4ELNS1_11target_archE910ELNS1_3gpuE8ELNS1_3repE0EEENS1_30default_config_static_selectorELNS0_4arch9wavefront6targetE1EEEvT1_
    .private_segment_fixed_size: 0
    .sgpr_count:     27
    .sgpr_spill_count: 0
    .symbol:         _ZN7rocprim17ROCPRIM_400000_NS6detail17trampoline_kernelINS0_14default_configENS1_35adjacent_difference_config_selectorILb0EiEEZNS1_24adjacent_difference_implIS3_Lb0ELb0EPKiPiN6thrust23THRUST_200600_302600_NS4plusIiEEEE10hipError_tPvRmT2_T3_mT4_P12ihipStream_tbEUlT_E_NS1_11comp_targetILNS1_3genE4ELNS1_11target_archE910ELNS1_3gpuE8ELNS1_3repE0EEENS1_30default_config_static_selectorELNS0_4arch9wavefront6targetE1EEEvT1_.kd
    .uniform_work_group_size: 1
    .uses_dynamic_stack: false
    .vgpr_count:     24
    .vgpr_spill_count: 0
    .wavefront_size: 64
  - .agpr_count:     0
    .args:
      - .offset:         0
        .size:           56
        .value_kind:     by_value
    .group_segment_fixed_size: 0
    .kernarg_segment_align: 8
    .kernarg_segment_size: 56
    .language:       OpenCL C
    .language_version:
      - 2
      - 0
    .max_flat_workgroup_size: 128
    .name:           _ZN7rocprim17ROCPRIM_400000_NS6detail17trampoline_kernelINS0_14default_configENS1_35adjacent_difference_config_selectorILb0EiEEZNS1_24adjacent_difference_implIS3_Lb0ELb0EPKiPiN6thrust23THRUST_200600_302600_NS4plusIiEEEE10hipError_tPvRmT2_T3_mT4_P12ihipStream_tbEUlT_E_NS1_11comp_targetILNS1_3genE3ELNS1_11target_archE908ELNS1_3gpuE7ELNS1_3repE0EEENS1_30default_config_static_selectorELNS0_4arch9wavefront6targetE1EEEvT1_
    .private_segment_fixed_size: 0
    .sgpr_count:     4
    .sgpr_spill_count: 0
    .symbol:         _ZN7rocprim17ROCPRIM_400000_NS6detail17trampoline_kernelINS0_14default_configENS1_35adjacent_difference_config_selectorILb0EiEEZNS1_24adjacent_difference_implIS3_Lb0ELb0EPKiPiN6thrust23THRUST_200600_302600_NS4plusIiEEEE10hipError_tPvRmT2_T3_mT4_P12ihipStream_tbEUlT_E_NS1_11comp_targetILNS1_3genE3ELNS1_11target_archE908ELNS1_3gpuE7ELNS1_3repE0EEENS1_30default_config_static_selectorELNS0_4arch9wavefront6targetE1EEEvT1_.kd
    .uniform_work_group_size: 1
    .uses_dynamic_stack: false
    .vgpr_count:     0
    .vgpr_spill_count: 0
    .wavefront_size: 64
  - .agpr_count:     0
    .args:
      - .offset:         0
        .size:           56
        .value_kind:     by_value
    .group_segment_fixed_size: 0
    .kernarg_segment_align: 8
    .kernarg_segment_size: 56
    .language:       OpenCL C
    .language_version:
      - 2
      - 0
    .max_flat_workgroup_size: 1024
    .name:           _ZN7rocprim17ROCPRIM_400000_NS6detail17trampoline_kernelINS0_14default_configENS1_35adjacent_difference_config_selectorILb0EiEEZNS1_24adjacent_difference_implIS3_Lb0ELb0EPKiPiN6thrust23THRUST_200600_302600_NS4plusIiEEEE10hipError_tPvRmT2_T3_mT4_P12ihipStream_tbEUlT_E_NS1_11comp_targetILNS1_3genE2ELNS1_11target_archE906ELNS1_3gpuE6ELNS1_3repE0EEENS1_30default_config_static_selectorELNS0_4arch9wavefront6targetE1EEEvT1_
    .private_segment_fixed_size: 0
    .sgpr_count:     4
    .sgpr_spill_count: 0
    .symbol:         _ZN7rocprim17ROCPRIM_400000_NS6detail17trampoline_kernelINS0_14default_configENS1_35adjacent_difference_config_selectorILb0EiEEZNS1_24adjacent_difference_implIS3_Lb0ELb0EPKiPiN6thrust23THRUST_200600_302600_NS4plusIiEEEE10hipError_tPvRmT2_T3_mT4_P12ihipStream_tbEUlT_E_NS1_11comp_targetILNS1_3genE2ELNS1_11target_archE906ELNS1_3gpuE6ELNS1_3repE0EEENS1_30default_config_static_selectorELNS0_4arch9wavefront6targetE1EEEvT1_.kd
    .uniform_work_group_size: 1
    .uses_dynamic_stack: false
    .vgpr_count:     0
    .vgpr_spill_count: 0
    .wavefront_size: 64
  - .agpr_count:     0
    .args:
      - .offset:         0
        .size:           56
        .value_kind:     by_value
    .group_segment_fixed_size: 0
    .kernarg_segment_align: 8
    .kernarg_segment_size: 56
    .language:       OpenCL C
    .language_version:
      - 2
      - 0
    .max_flat_workgroup_size: 1024
    .name:           _ZN7rocprim17ROCPRIM_400000_NS6detail17trampoline_kernelINS0_14default_configENS1_35adjacent_difference_config_selectorILb0EiEEZNS1_24adjacent_difference_implIS3_Lb0ELb0EPKiPiN6thrust23THRUST_200600_302600_NS4plusIiEEEE10hipError_tPvRmT2_T3_mT4_P12ihipStream_tbEUlT_E_NS1_11comp_targetILNS1_3genE9ELNS1_11target_archE1100ELNS1_3gpuE3ELNS1_3repE0EEENS1_30default_config_static_selectorELNS0_4arch9wavefront6targetE1EEEvT1_
    .private_segment_fixed_size: 0
    .sgpr_count:     4
    .sgpr_spill_count: 0
    .symbol:         _ZN7rocprim17ROCPRIM_400000_NS6detail17trampoline_kernelINS0_14default_configENS1_35adjacent_difference_config_selectorILb0EiEEZNS1_24adjacent_difference_implIS3_Lb0ELb0EPKiPiN6thrust23THRUST_200600_302600_NS4plusIiEEEE10hipError_tPvRmT2_T3_mT4_P12ihipStream_tbEUlT_E_NS1_11comp_targetILNS1_3genE9ELNS1_11target_archE1100ELNS1_3gpuE3ELNS1_3repE0EEENS1_30default_config_static_selectorELNS0_4arch9wavefront6targetE1EEEvT1_.kd
    .uniform_work_group_size: 1
    .uses_dynamic_stack: false
    .vgpr_count:     0
    .vgpr_spill_count: 0
    .wavefront_size: 64
  - .agpr_count:     0
    .args:
      - .offset:         0
        .size:           56
        .value_kind:     by_value
    .group_segment_fixed_size: 0
    .kernarg_segment_align: 8
    .kernarg_segment_size: 56
    .language:       OpenCL C
    .language_version:
      - 2
      - 0
    .max_flat_workgroup_size: 1024
    .name:           _ZN7rocprim17ROCPRIM_400000_NS6detail17trampoline_kernelINS0_14default_configENS1_35adjacent_difference_config_selectorILb0EiEEZNS1_24adjacent_difference_implIS3_Lb0ELb0EPKiPiN6thrust23THRUST_200600_302600_NS4plusIiEEEE10hipError_tPvRmT2_T3_mT4_P12ihipStream_tbEUlT_E_NS1_11comp_targetILNS1_3genE8ELNS1_11target_archE1030ELNS1_3gpuE2ELNS1_3repE0EEENS1_30default_config_static_selectorELNS0_4arch9wavefront6targetE1EEEvT1_
    .private_segment_fixed_size: 0
    .sgpr_count:     4
    .sgpr_spill_count: 0
    .symbol:         _ZN7rocprim17ROCPRIM_400000_NS6detail17trampoline_kernelINS0_14default_configENS1_35adjacent_difference_config_selectorILb0EiEEZNS1_24adjacent_difference_implIS3_Lb0ELb0EPKiPiN6thrust23THRUST_200600_302600_NS4plusIiEEEE10hipError_tPvRmT2_T3_mT4_P12ihipStream_tbEUlT_E_NS1_11comp_targetILNS1_3genE8ELNS1_11target_archE1030ELNS1_3gpuE2ELNS1_3repE0EEENS1_30default_config_static_selectorELNS0_4arch9wavefront6targetE1EEEvT1_.kd
    .uniform_work_group_size: 1
    .uses_dynamic_stack: false
    .vgpr_count:     0
    .vgpr_spill_count: 0
    .wavefront_size: 64
  - .agpr_count:     0
    .args:
      - .offset:         0
        .size:           56
        .value_kind:     by_value
    .group_segment_fixed_size: 0
    .kernarg_segment_align: 8
    .kernarg_segment_size: 56
    .language:       OpenCL C
    .language_version:
      - 2
      - 0
    .max_flat_workgroup_size: 128
    .name:           _ZN7rocprim17ROCPRIM_400000_NS6detail17trampoline_kernelINS0_14default_configENS1_25transform_config_selectorIiLb0EEEZNS1_14transform_implILb0ES3_S5_NS0_18transform_iteratorINS0_17counting_iteratorImlEEZNS1_24adjacent_difference_implIS3_Lb1ELb0EPKiPiN6thrust23THRUST_200600_302600_NS4plusIiEEEE10hipError_tPvRmT2_T3_mT4_P12ihipStream_tbEUlmE_iEESD_NS0_8identityIvEEEESI_SL_SM_mSN_SP_bEUlT_E_NS1_11comp_targetILNS1_3genE0ELNS1_11target_archE4294967295ELNS1_3gpuE0ELNS1_3repE0EEENS1_30default_config_static_selectorELNS0_4arch9wavefront6targetE1EEEvT1_
    .private_segment_fixed_size: 0
    .sgpr_count:     4
    .sgpr_spill_count: 0
    .symbol:         _ZN7rocprim17ROCPRIM_400000_NS6detail17trampoline_kernelINS0_14default_configENS1_25transform_config_selectorIiLb0EEEZNS1_14transform_implILb0ES3_S5_NS0_18transform_iteratorINS0_17counting_iteratorImlEEZNS1_24adjacent_difference_implIS3_Lb1ELb0EPKiPiN6thrust23THRUST_200600_302600_NS4plusIiEEEE10hipError_tPvRmT2_T3_mT4_P12ihipStream_tbEUlmE_iEESD_NS0_8identityIvEEEESI_SL_SM_mSN_SP_bEUlT_E_NS1_11comp_targetILNS1_3genE0ELNS1_11target_archE4294967295ELNS1_3gpuE0ELNS1_3repE0EEENS1_30default_config_static_selectorELNS0_4arch9wavefront6targetE1EEEvT1_.kd
    .uniform_work_group_size: 1
    .uses_dynamic_stack: false
    .vgpr_count:     0
    .vgpr_spill_count: 0
    .wavefront_size: 64
  - .agpr_count:     0
    .args:
      - .offset:         0
        .size:           56
        .value_kind:     by_value
    .group_segment_fixed_size: 0
    .kernarg_segment_align: 8
    .kernarg_segment_size: 56
    .language:       OpenCL C
    .language_version:
      - 2
      - 0
    .max_flat_workgroup_size: 512
    .name:           _ZN7rocprim17ROCPRIM_400000_NS6detail17trampoline_kernelINS0_14default_configENS1_25transform_config_selectorIiLb0EEEZNS1_14transform_implILb0ES3_S5_NS0_18transform_iteratorINS0_17counting_iteratorImlEEZNS1_24adjacent_difference_implIS3_Lb1ELb0EPKiPiN6thrust23THRUST_200600_302600_NS4plusIiEEEE10hipError_tPvRmT2_T3_mT4_P12ihipStream_tbEUlmE_iEESD_NS0_8identityIvEEEESI_SL_SM_mSN_SP_bEUlT_E_NS1_11comp_targetILNS1_3genE5ELNS1_11target_archE942ELNS1_3gpuE9ELNS1_3repE0EEENS1_30default_config_static_selectorELNS0_4arch9wavefront6targetE1EEEvT1_
    .private_segment_fixed_size: 0
    .sgpr_count:     4
    .sgpr_spill_count: 0
    .symbol:         _ZN7rocprim17ROCPRIM_400000_NS6detail17trampoline_kernelINS0_14default_configENS1_25transform_config_selectorIiLb0EEEZNS1_14transform_implILb0ES3_S5_NS0_18transform_iteratorINS0_17counting_iteratorImlEEZNS1_24adjacent_difference_implIS3_Lb1ELb0EPKiPiN6thrust23THRUST_200600_302600_NS4plusIiEEEE10hipError_tPvRmT2_T3_mT4_P12ihipStream_tbEUlmE_iEESD_NS0_8identityIvEEEESI_SL_SM_mSN_SP_bEUlT_E_NS1_11comp_targetILNS1_3genE5ELNS1_11target_archE942ELNS1_3gpuE9ELNS1_3repE0EEENS1_30default_config_static_selectorELNS0_4arch9wavefront6targetE1EEEvT1_.kd
    .uniform_work_group_size: 1
    .uses_dynamic_stack: false
    .vgpr_count:     0
    .vgpr_spill_count: 0
    .wavefront_size: 64
  - .agpr_count:     0
    .args:
      - .offset:         0
        .size:           56
        .value_kind:     by_value
      - .offset:         56
        .size:           4
        .value_kind:     hidden_block_count_x
      - .offset:         60
        .size:           4
        .value_kind:     hidden_block_count_y
      - .offset:         64
        .size:           4
        .value_kind:     hidden_block_count_z
      - .offset:         68
        .size:           2
        .value_kind:     hidden_group_size_x
      - .offset:         70
        .size:           2
        .value_kind:     hidden_group_size_y
      - .offset:         72
        .size:           2
        .value_kind:     hidden_group_size_z
      - .offset:         74
        .size:           2
        .value_kind:     hidden_remainder_x
      - .offset:         76
        .size:           2
        .value_kind:     hidden_remainder_y
      - .offset:         78
        .size:           2
        .value_kind:     hidden_remainder_z
      - .offset:         96
        .size:           8
        .value_kind:     hidden_global_offset_x
      - .offset:         104
        .size:           8
        .value_kind:     hidden_global_offset_y
      - .offset:         112
        .size:           8
        .value_kind:     hidden_global_offset_z
      - .offset:         120
        .size:           2
        .value_kind:     hidden_grid_dims
    .group_segment_fixed_size: 0
    .kernarg_segment_align: 8
    .kernarg_segment_size: 312
    .language:       OpenCL C
    .language_version:
      - 2
      - 0
    .max_flat_workgroup_size: 1024
    .name:           _ZN7rocprim17ROCPRIM_400000_NS6detail17trampoline_kernelINS0_14default_configENS1_25transform_config_selectorIiLb0EEEZNS1_14transform_implILb0ES3_S5_NS0_18transform_iteratorINS0_17counting_iteratorImlEEZNS1_24adjacent_difference_implIS3_Lb1ELb0EPKiPiN6thrust23THRUST_200600_302600_NS4plusIiEEEE10hipError_tPvRmT2_T3_mT4_P12ihipStream_tbEUlmE_iEESD_NS0_8identityIvEEEESI_SL_SM_mSN_SP_bEUlT_E_NS1_11comp_targetILNS1_3genE4ELNS1_11target_archE910ELNS1_3gpuE8ELNS1_3repE0EEENS1_30default_config_static_selectorELNS0_4arch9wavefront6targetE1EEEvT1_
    .private_segment_fixed_size: 0
    .sgpr_count:     22
    .sgpr_spill_count: 0
    .symbol:         _ZN7rocprim17ROCPRIM_400000_NS6detail17trampoline_kernelINS0_14default_configENS1_25transform_config_selectorIiLb0EEEZNS1_14transform_implILb0ES3_S5_NS0_18transform_iteratorINS0_17counting_iteratorImlEEZNS1_24adjacent_difference_implIS3_Lb1ELb0EPKiPiN6thrust23THRUST_200600_302600_NS4plusIiEEEE10hipError_tPvRmT2_T3_mT4_P12ihipStream_tbEUlmE_iEESD_NS0_8identityIvEEEESI_SL_SM_mSN_SP_bEUlT_E_NS1_11comp_targetILNS1_3genE4ELNS1_11target_archE910ELNS1_3gpuE8ELNS1_3repE0EEENS1_30default_config_static_selectorELNS0_4arch9wavefront6targetE1EEEvT1_.kd
    .uniform_work_group_size: 1
    .uses_dynamic_stack: false
    .vgpr_count:     8
    .vgpr_spill_count: 0
    .wavefront_size: 64
  - .agpr_count:     0
    .args:
      - .offset:         0
        .size:           56
        .value_kind:     by_value
    .group_segment_fixed_size: 0
    .kernarg_segment_align: 8
    .kernarg_segment_size: 56
    .language:       OpenCL C
    .language_version:
      - 2
      - 0
    .max_flat_workgroup_size: 128
    .name:           _ZN7rocprim17ROCPRIM_400000_NS6detail17trampoline_kernelINS0_14default_configENS1_25transform_config_selectorIiLb0EEEZNS1_14transform_implILb0ES3_S5_NS0_18transform_iteratorINS0_17counting_iteratorImlEEZNS1_24adjacent_difference_implIS3_Lb1ELb0EPKiPiN6thrust23THRUST_200600_302600_NS4plusIiEEEE10hipError_tPvRmT2_T3_mT4_P12ihipStream_tbEUlmE_iEESD_NS0_8identityIvEEEESI_SL_SM_mSN_SP_bEUlT_E_NS1_11comp_targetILNS1_3genE3ELNS1_11target_archE908ELNS1_3gpuE7ELNS1_3repE0EEENS1_30default_config_static_selectorELNS0_4arch9wavefront6targetE1EEEvT1_
    .private_segment_fixed_size: 0
    .sgpr_count:     4
    .sgpr_spill_count: 0
    .symbol:         _ZN7rocprim17ROCPRIM_400000_NS6detail17trampoline_kernelINS0_14default_configENS1_25transform_config_selectorIiLb0EEEZNS1_14transform_implILb0ES3_S5_NS0_18transform_iteratorINS0_17counting_iteratorImlEEZNS1_24adjacent_difference_implIS3_Lb1ELb0EPKiPiN6thrust23THRUST_200600_302600_NS4plusIiEEEE10hipError_tPvRmT2_T3_mT4_P12ihipStream_tbEUlmE_iEESD_NS0_8identityIvEEEESI_SL_SM_mSN_SP_bEUlT_E_NS1_11comp_targetILNS1_3genE3ELNS1_11target_archE908ELNS1_3gpuE7ELNS1_3repE0EEENS1_30default_config_static_selectorELNS0_4arch9wavefront6targetE1EEEvT1_.kd
    .uniform_work_group_size: 1
    .uses_dynamic_stack: false
    .vgpr_count:     0
    .vgpr_spill_count: 0
    .wavefront_size: 64
  - .agpr_count:     0
    .args:
      - .offset:         0
        .size:           56
        .value_kind:     by_value
    .group_segment_fixed_size: 0
    .kernarg_segment_align: 8
    .kernarg_segment_size: 56
    .language:       OpenCL C
    .language_version:
      - 2
      - 0
    .max_flat_workgroup_size: 1024
    .name:           _ZN7rocprim17ROCPRIM_400000_NS6detail17trampoline_kernelINS0_14default_configENS1_25transform_config_selectorIiLb0EEEZNS1_14transform_implILb0ES3_S5_NS0_18transform_iteratorINS0_17counting_iteratorImlEEZNS1_24adjacent_difference_implIS3_Lb1ELb0EPKiPiN6thrust23THRUST_200600_302600_NS4plusIiEEEE10hipError_tPvRmT2_T3_mT4_P12ihipStream_tbEUlmE_iEESD_NS0_8identityIvEEEESI_SL_SM_mSN_SP_bEUlT_E_NS1_11comp_targetILNS1_3genE2ELNS1_11target_archE906ELNS1_3gpuE6ELNS1_3repE0EEENS1_30default_config_static_selectorELNS0_4arch9wavefront6targetE1EEEvT1_
    .private_segment_fixed_size: 0
    .sgpr_count:     4
    .sgpr_spill_count: 0
    .symbol:         _ZN7rocprim17ROCPRIM_400000_NS6detail17trampoline_kernelINS0_14default_configENS1_25transform_config_selectorIiLb0EEEZNS1_14transform_implILb0ES3_S5_NS0_18transform_iteratorINS0_17counting_iteratorImlEEZNS1_24adjacent_difference_implIS3_Lb1ELb0EPKiPiN6thrust23THRUST_200600_302600_NS4plusIiEEEE10hipError_tPvRmT2_T3_mT4_P12ihipStream_tbEUlmE_iEESD_NS0_8identityIvEEEESI_SL_SM_mSN_SP_bEUlT_E_NS1_11comp_targetILNS1_3genE2ELNS1_11target_archE906ELNS1_3gpuE6ELNS1_3repE0EEENS1_30default_config_static_selectorELNS0_4arch9wavefront6targetE1EEEvT1_.kd
    .uniform_work_group_size: 1
    .uses_dynamic_stack: false
    .vgpr_count:     0
    .vgpr_spill_count: 0
    .wavefront_size: 64
  - .agpr_count:     0
    .args:
      - .offset:         0
        .size:           56
        .value_kind:     by_value
    .group_segment_fixed_size: 0
    .kernarg_segment_align: 8
    .kernarg_segment_size: 56
    .language:       OpenCL C
    .language_version:
      - 2
      - 0
    .max_flat_workgroup_size: 1024
    .name:           _ZN7rocprim17ROCPRIM_400000_NS6detail17trampoline_kernelINS0_14default_configENS1_25transform_config_selectorIiLb0EEEZNS1_14transform_implILb0ES3_S5_NS0_18transform_iteratorINS0_17counting_iteratorImlEEZNS1_24adjacent_difference_implIS3_Lb1ELb0EPKiPiN6thrust23THRUST_200600_302600_NS4plusIiEEEE10hipError_tPvRmT2_T3_mT4_P12ihipStream_tbEUlmE_iEESD_NS0_8identityIvEEEESI_SL_SM_mSN_SP_bEUlT_E_NS1_11comp_targetILNS1_3genE10ELNS1_11target_archE1201ELNS1_3gpuE5ELNS1_3repE0EEENS1_30default_config_static_selectorELNS0_4arch9wavefront6targetE1EEEvT1_
    .private_segment_fixed_size: 0
    .sgpr_count:     4
    .sgpr_spill_count: 0
    .symbol:         _ZN7rocprim17ROCPRIM_400000_NS6detail17trampoline_kernelINS0_14default_configENS1_25transform_config_selectorIiLb0EEEZNS1_14transform_implILb0ES3_S5_NS0_18transform_iteratorINS0_17counting_iteratorImlEEZNS1_24adjacent_difference_implIS3_Lb1ELb0EPKiPiN6thrust23THRUST_200600_302600_NS4plusIiEEEE10hipError_tPvRmT2_T3_mT4_P12ihipStream_tbEUlmE_iEESD_NS0_8identityIvEEEESI_SL_SM_mSN_SP_bEUlT_E_NS1_11comp_targetILNS1_3genE10ELNS1_11target_archE1201ELNS1_3gpuE5ELNS1_3repE0EEENS1_30default_config_static_selectorELNS0_4arch9wavefront6targetE1EEEvT1_.kd
    .uniform_work_group_size: 1
    .uses_dynamic_stack: false
    .vgpr_count:     0
    .vgpr_spill_count: 0
    .wavefront_size: 64
  - .agpr_count:     0
    .args:
      - .offset:         0
        .size:           56
        .value_kind:     by_value
    .group_segment_fixed_size: 0
    .kernarg_segment_align: 8
    .kernarg_segment_size: 56
    .language:       OpenCL C
    .language_version:
      - 2
      - 0
    .max_flat_workgroup_size: 512
    .name:           _ZN7rocprim17ROCPRIM_400000_NS6detail17trampoline_kernelINS0_14default_configENS1_25transform_config_selectorIiLb0EEEZNS1_14transform_implILb0ES3_S5_NS0_18transform_iteratorINS0_17counting_iteratorImlEEZNS1_24adjacent_difference_implIS3_Lb1ELb0EPKiPiN6thrust23THRUST_200600_302600_NS4plusIiEEEE10hipError_tPvRmT2_T3_mT4_P12ihipStream_tbEUlmE_iEESD_NS0_8identityIvEEEESI_SL_SM_mSN_SP_bEUlT_E_NS1_11comp_targetILNS1_3genE10ELNS1_11target_archE1200ELNS1_3gpuE4ELNS1_3repE0EEENS1_30default_config_static_selectorELNS0_4arch9wavefront6targetE1EEEvT1_
    .private_segment_fixed_size: 0
    .sgpr_count:     4
    .sgpr_spill_count: 0
    .symbol:         _ZN7rocprim17ROCPRIM_400000_NS6detail17trampoline_kernelINS0_14default_configENS1_25transform_config_selectorIiLb0EEEZNS1_14transform_implILb0ES3_S5_NS0_18transform_iteratorINS0_17counting_iteratorImlEEZNS1_24adjacent_difference_implIS3_Lb1ELb0EPKiPiN6thrust23THRUST_200600_302600_NS4plusIiEEEE10hipError_tPvRmT2_T3_mT4_P12ihipStream_tbEUlmE_iEESD_NS0_8identityIvEEEESI_SL_SM_mSN_SP_bEUlT_E_NS1_11comp_targetILNS1_3genE10ELNS1_11target_archE1200ELNS1_3gpuE4ELNS1_3repE0EEENS1_30default_config_static_selectorELNS0_4arch9wavefront6targetE1EEEvT1_.kd
    .uniform_work_group_size: 1
    .uses_dynamic_stack: false
    .vgpr_count:     0
    .vgpr_spill_count: 0
    .wavefront_size: 64
  - .agpr_count:     0
    .args:
      - .offset:         0
        .size:           56
        .value_kind:     by_value
    .group_segment_fixed_size: 0
    .kernarg_segment_align: 8
    .kernarg_segment_size: 56
    .language:       OpenCL C
    .language_version:
      - 2
      - 0
    .max_flat_workgroup_size: 64
    .name:           _ZN7rocprim17ROCPRIM_400000_NS6detail17trampoline_kernelINS0_14default_configENS1_25transform_config_selectorIiLb0EEEZNS1_14transform_implILb0ES3_S5_NS0_18transform_iteratorINS0_17counting_iteratorImlEEZNS1_24adjacent_difference_implIS3_Lb1ELb0EPKiPiN6thrust23THRUST_200600_302600_NS4plusIiEEEE10hipError_tPvRmT2_T3_mT4_P12ihipStream_tbEUlmE_iEESD_NS0_8identityIvEEEESI_SL_SM_mSN_SP_bEUlT_E_NS1_11comp_targetILNS1_3genE9ELNS1_11target_archE1100ELNS1_3gpuE3ELNS1_3repE0EEENS1_30default_config_static_selectorELNS0_4arch9wavefront6targetE1EEEvT1_
    .private_segment_fixed_size: 0
    .sgpr_count:     4
    .sgpr_spill_count: 0
    .symbol:         _ZN7rocprim17ROCPRIM_400000_NS6detail17trampoline_kernelINS0_14default_configENS1_25transform_config_selectorIiLb0EEEZNS1_14transform_implILb0ES3_S5_NS0_18transform_iteratorINS0_17counting_iteratorImlEEZNS1_24adjacent_difference_implIS3_Lb1ELb0EPKiPiN6thrust23THRUST_200600_302600_NS4plusIiEEEE10hipError_tPvRmT2_T3_mT4_P12ihipStream_tbEUlmE_iEESD_NS0_8identityIvEEEESI_SL_SM_mSN_SP_bEUlT_E_NS1_11comp_targetILNS1_3genE9ELNS1_11target_archE1100ELNS1_3gpuE3ELNS1_3repE0EEENS1_30default_config_static_selectorELNS0_4arch9wavefront6targetE1EEEvT1_.kd
    .uniform_work_group_size: 1
    .uses_dynamic_stack: false
    .vgpr_count:     0
    .vgpr_spill_count: 0
    .wavefront_size: 64
  - .agpr_count:     0
    .args:
      - .offset:         0
        .size:           56
        .value_kind:     by_value
    .group_segment_fixed_size: 0
    .kernarg_segment_align: 8
    .kernarg_segment_size: 56
    .language:       OpenCL C
    .language_version:
      - 2
      - 0
    .max_flat_workgroup_size: 256
    .name:           _ZN7rocprim17ROCPRIM_400000_NS6detail17trampoline_kernelINS0_14default_configENS1_25transform_config_selectorIiLb0EEEZNS1_14transform_implILb0ES3_S5_NS0_18transform_iteratorINS0_17counting_iteratorImlEEZNS1_24adjacent_difference_implIS3_Lb1ELb0EPKiPiN6thrust23THRUST_200600_302600_NS4plusIiEEEE10hipError_tPvRmT2_T3_mT4_P12ihipStream_tbEUlmE_iEESD_NS0_8identityIvEEEESI_SL_SM_mSN_SP_bEUlT_E_NS1_11comp_targetILNS1_3genE8ELNS1_11target_archE1030ELNS1_3gpuE2ELNS1_3repE0EEENS1_30default_config_static_selectorELNS0_4arch9wavefront6targetE1EEEvT1_
    .private_segment_fixed_size: 0
    .sgpr_count:     4
    .sgpr_spill_count: 0
    .symbol:         _ZN7rocprim17ROCPRIM_400000_NS6detail17trampoline_kernelINS0_14default_configENS1_25transform_config_selectorIiLb0EEEZNS1_14transform_implILb0ES3_S5_NS0_18transform_iteratorINS0_17counting_iteratorImlEEZNS1_24adjacent_difference_implIS3_Lb1ELb0EPKiPiN6thrust23THRUST_200600_302600_NS4plusIiEEEE10hipError_tPvRmT2_T3_mT4_P12ihipStream_tbEUlmE_iEESD_NS0_8identityIvEEEESI_SL_SM_mSN_SP_bEUlT_E_NS1_11comp_targetILNS1_3genE8ELNS1_11target_archE1030ELNS1_3gpuE2ELNS1_3repE0EEENS1_30default_config_static_selectorELNS0_4arch9wavefront6targetE1EEEvT1_.kd
    .uniform_work_group_size: 1
    .uses_dynamic_stack: false
    .vgpr_count:     0
    .vgpr_spill_count: 0
    .wavefront_size: 64
  - .agpr_count:     0
    .args:
      - .offset:         0
        .size:           56
        .value_kind:     by_value
    .group_segment_fixed_size: 0
    .kernarg_segment_align: 8
    .kernarg_segment_size: 56
    .language:       OpenCL C
    .language_version:
      - 2
      - 0
    .max_flat_workgroup_size: 1024
    .name:           _ZN7rocprim17ROCPRIM_400000_NS6detail17trampoline_kernelINS0_14default_configENS1_35adjacent_difference_config_selectorILb1EiEEZNS1_24adjacent_difference_implIS3_Lb1ELb0EPKiPiN6thrust23THRUST_200600_302600_NS4plusIiEEEE10hipError_tPvRmT2_T3_mT4_P12ihipStream_tbEUlT_E_NS1_11comp_targetILNS1_3genE0ELNS1_11target_archE4294967295ELNS1_3gpuE0ELNS1_3repE0EEENS1_30default_config_static_selectorELNS0_4arch9wavefront6targetE1EEEvT1_
    .private_segment_fixed_size: 0
    .sgpr_count:     4
    .sgpr_spill_count: 0
    .symbol:         _ZN7rocprim17ROCPRIM_400000_NS6detail17trampoline_kernelINS0_14default_configENS1_35adjacent_difference_config_selectorILb1EiEEZNS1_24adjacent_difference_implIS3_Lb1ELb0EPKiPiN6thrust23THRUST_200600_302600_NS4plusIiEEEE10hipError_tPvRmT2_T3_mT4_P12ihipStream_tbEUlT_E_NS1_11comp_targetILNS1_3genE0ELNS1_11target_archE4294967295ELNS1_3gpuE0ELNS1_3repE0EEENS1_30default_config_static_selectorELNS0_4arch9wavefront6targetE1EEEvT1_.kd
    .uniform_work_group_size: 1
    .uses_dynamic_stack: false
    .vgpr_count:     0
    .vgpr_spill_count: 0
    .wavefront_size: 64
  - .agpr_count:     0
    .args:
      - .offset:         0
        .size:           56
        .value_kind:     by_value
    .group_segment_fixed_size: 0
    .kernarg_segment_align: 8
    .kernarg_segment_size: 56
    .language:       OpenCL C
    .language_version:
      - 2
      - 0
    .max_flat_workgroup_size: 32
    .name:           _ZN7rocprim17ROCPRIM_400000_NS6detail17trampoline_kernelINS0_14default_configENS1_35adjacent_difference_config_selectorILb1EiEEZNS1_24adjacent_difference_implIS3_Lb1ELb0EPKiPiN6thrust23THRUST_200600_302600_NS4plusIiEEEE10hipError_tPvRmT2_T3_mT4_P12ihipStream_tbEUlT_E_NS1_11comp_targetILNS1_3genE10ELNS1_11target_archE1201ELNS1_3gpuE5ELNS1_3repE0EEENS1_30default_config_static_selectorELNS0_4arch9wavefront6targetE1EEEvT1_
    .private_segment_fixed_size: 0
    .sgpr_count:     4
    .sgpr_spill_count: 0
    .symbol:         _ZN7rocprim17ROCPRIM_400000_NS6detail17trampoline_kernelINS0_14default_configENS1_35adjacent_difference_config_selectorILb1EiEEZNS1_24adjacent_difference_implIS3_Lb1ELb0EPKiPiN6thrust23THRUST_200600_302600_NS4plusIiEEEE10hipError_tPvRmT2_T3_mT4_P12ihipStream_tbEUlT_E_NS1_11comp_targetILNS1_3genE10ELNS1_11target_archE1201ELNS1_3gpuE5ELNS1_3repE0EEENS1_30default_config_static_selectorELNS0_4arch9wavefront6targetE1EEEvT1_.kd
    .uniform_work_group_size: 1
    .uses_dynamic_stack: false
    .vgpr_count:     0
    .vgpr_spill_count: 0
    .wavefront_size: 64
  - .agpr_count:     0
    .args:
      - .offset:         0
        .size:           56
        .value_kind:     by_value
    .group_segment_fixed_size: 0
    .kernarg_segment_align: 8
    .kernarg_segment_size: 56
    .language:       OpenCL C
    .language_version:
      - 2
      - 0
    .max_flat_workgroup_size: 512
    .name:           _ZN7rocprim17ROCPRIM_400000_NS6detail17trampoline_kernelINS0_14default_configENS1_35adjacent_difference_config_selectorILb1EiEEZNS1_24adjacent_difference_implIS3_Lb1ELb0EPKiPiN6thrust23THRUST_200600_302600_NS4plusIiEEEE10hipError_tPvRmT2_T3_mT4_P12ihipStream_tbEUlT_E_NS1_11comp_targetILNS1_3genE5ELNS1_11target_archE942ELNS1_3gpuE9ELNS1_3repE0EEENS1_30default_config_static_selectorELNS0_4arch9wavefront6targetE1EEEvT1_
    .private_segment_fixed_size: 0
    .sgpr_count:     4
    .sgpr_spill_count: 0
    .symbol:         _ZN7rocprim17ROCPRIM_400000_NS6detail17trampoline_kernelINS0_14default_configENS1_35adjacent_difference_config_selectorILb1EiEEZNS1_24adjacent_difference_implIS3_Lb1ELb0EPKiPiN6thrust23THRUST_200600_302600_NS4plusIiEEEE10hipError_tPvRmT2_T3_mT4_P12ihipStream_tbEUlT_E_NS1_11comp_targetILNS1_3genE5ELNS1_11target_archE942ELNS1_3gpuE9ELNS1_3repE0EEENS1_30default_config_static_selectorELNS0_4arch9wavefront6targetE1EEEvT1_.kd
    .uniform_work_group_size: 1
    .uses_dynamic_stack: false
    .vgpr_count:     0
    .vgpr_spill_count: 0
    .wavefront_size: 64
  - .agpr_count:     0
    .args:
      - .offset:         0
        .size:           56
        .value_kind:     by_value
    .group_segment_fixed_size: 10240
    .kernarg_segment_align: 8
    .kernarg_segment_size: 56
    .language:       OpenCL C
    .language_version:
      - 2
      - 0
    .max_flat_workgroup_size: 512
    .name:           _ZN7rocprim17ROCPRIM_400000_NS6detail17trampoline_kernelINS0_14default_configENS1_35adjacent_difference_config_selectorILb1EiEEZNS1_24adjacent_difference_implIS3_Lb1ELb0EPKiPiN6thrust23THRUST_200600_302600_NS4plusIiEEEE10hipError_tPvRmT2_T3_mT4_P12ihipStream_tbEUlT_E_NS1_11comp_targetILNS1_3genE4ELNS1_11target_archE910ELNS1_3gpuE8ELNS1_3repE0EEENS1_30default_config_static_selectorELNS0_4arch9wavefront6targetE1EEEvT1_
    .private_segment_fixed_size: 0
    .sgpr_count:     33
    .sgpr_spill_count: 0
    .symbol:         _ZN7rocprim17ROCPRIM_400000_NS6detail17trampoline_kernelINS0_14default_configENS1_35adjacent_difference_config_selectorILb1EiEEZNS1_24adjacent_difference_implIS3_Lb1ELb0EPKiPiN6thrust23THRUST_200600_302600_NS4plusIiEEEE10hipError_tPvRmT2_T3_mT4_P12ihipStream_tbEUlT_E_NS1_11comp_targetILNS1_3genE4ELNS1_11target_archE910ELNS1_3gpuE8ELNS1_3repE0EEENS1_30default_config_static_selectorELNS0_4arch9wavefront6targetE1EEEvT1_.kd
    .uniform_work_group_size: 1
    .uses_dynamic_stack: false
    .vgpr_count:     24
    .vgpr_spill_count: 0
    .wavefront_size: 64
  - .agpr_count:     0
    .args:
      - .offset:         0
        .size:           56
        .value_kind:     by_value
    .group_segment_fixed_size: 0
    .kernarg_segment_align: 8
    .kernarg_segment_size: 56
    .language:       OpenCL C
    .language_version:
      - 2
      - 0
    .max_flat_workgroup_size: 1024
    .name:           _ZN7rocprim17ROCPRIM_400000_NS6detail17trampoline_kernelINS0_14default_configENS1_35adjacent_difference_config_selectorILb1EiEEZNS1_24adjacent_difference_implIS3_Lb1ELb0EPKiPiN6thrust23THRUST_200600_302600_NS4plusIiEEEE10hipError_tPvRmT2_T3_mT4_P12ihipStream_tbEUlT_E_NS1_11comp_targetILNS1_3genE3ELNS1_11target_archE908ELNS1_3gpuE7ELNS1_3repE0EEENS1_30default_config_static_selectorELNS0_4arch9wavefront6targetE1EEEvT1_
    .private_segment_fixed_size: 0
    .sgpr_count:     4
    .sgpr_spill_count: 0
    .symbol:         _ZN7rocprim17ROCPRIM_400000_NS6detail17trampoline_kernelINS0_14default_configENS1_35adjacent_difference_config_selectorILb1EiEEZNS1_24adjacent_difference_implIS3_Lb1ELb0EPKiPiN6thrust23THRUST_200600_302600_NS4plusIiEEEE10hipError_tPvRmT2_T3_mT4_P12ihipStream_tbEUlT_E_NS1_11comp_targetILNS1_3genE3ELNS1_11target_archE908ELNS1_3gpuE7ELNS1_3repE0EEENS1_30default_config_static_selectorELNS0_4arch9wavefront6targetE1EEEvT1_.kd
    .uniform_work_group_size: 1
    .uses_dynamic_stack: false
    .vgpr_count:     0
    .vgpr_spill_count: 0
    .wavefront_size: 64
  - .agpr_count:     0
    .args:
      - .offset:         0
        .size:           56
        .value_kind:     by_value
    .group_segment_fixed_size: 0
    .kernarg_segment_align: 8
    .kernarg_segment_size: 56
    .language:       OpenCL C
    .language_version:
      - 2
      - 0
    .max_flat_workgroup_size: 256
    .name:           _ZN7rocprim17ROCPRIM_400000_NS6detail17trampoline_kernelINS0_14default_configENS1_35adjacent_difference_config_selectorILb1EiEEZNS1_24adjacent_difference_implIS3_Lb1ELb0EPKiPiN6thrust23THRUST_200600_302600_NS4plusIiEEEE10hipError_tPvRmT2_T3_mT4_P12ihipStream_tbEUlT_E_NS1_11comp_targetILNS1_3genE2ELNS1_11target_archE906ELNS1_3gpuE6ELNS1_3repE0EEENS1_30default_config_static_selectorELNS0_4arch9wavefront6targetE1EEEvT1_
    .private_segment_fixed_size: 0
    .sgpr_count:     4
    .sgpr_spill_count: 0
    .symbol:         _ZN7rocprim17ROCPRIM_400000_NS6detail17trampoline_kernelINS0_14default_configENS1_35adjacent_difference_config_selectorILb1EiEEZNS1_24adjacent_difference_implIS3_Lb1ELb0EPKiPiN6thrust23THRUST_200600_302600_NS4plusIiEEEE10hipError_tPvRmT2_T3_mT4_P12ihipStream_tbEUlT_E_NS1_11comp_targetILNS1_3genE2ELNS1_11target_archE906ELNS1_3gpuE6ELNS1_3repE0EEENS1_30default_config_static_selectorELNS0_4arch9wavefront6targetE1EEEvT1_.kd
    .uniform_work_group_size: 1
    .uses_dynamic_stack: false
    .vgpr_count:     0
    .vgpr_spill_count: 0
    .wavefront_size: 64
  - .agpr_count:     0
    .args:
      - .offset:         0
        .size:           56
        .value_kind:     by_value
    .group_segment_fixed_size: 0
    .kernarg_segment_align: 8
    .kernarg_segment_size: 56
    .language:       OpenCL C
    .language_version:
      - 2
      - 0
    .max_flat_workgroup_size: 128
    .name:           _ZN7rocprim17ROCPRIM_400000_NS6detail17trampoline_kernelINS0_14default_configENS1_35adjacent_difference_config_selectorILb1EiEEZNS1_24adjacent_difference_implIS3_Lb1ELb0EPKiPiN6thrust23THRUST_200600_302600_NS4plusIiEEEE10hipError_tPvRmT2_T3_mT4_P12ihipStream_tbEUlT_E_NS1_11comp_targetILNS1_3genE9ELNS1_11target_archE1100ELNS1_3gpuE3ELNS1_3repE0EEENS1_30default_config_static_selectorELNS0_4arch9wavefront6targetE1EEEvT1_
    .private_segment_fixed_size: 0
    .sgpr_count:     4
    .sgpr_spill_count: 0
    .symbol:         _ZN7rocprim17ROCPRIM_400000_NS6detail17trampoline_kernelINS0_14default_configENS1_35adjacent_difference_config_selectorILb1EiEEZNS1_24adjacent_difference_implIS3_Lb1ELb0EPKiPiN6thrust23THRUST_200600_302600_NS4plusIiEEEE10hipError_tPvRmT2_T3_mT4_P12ihipStream_tbEUlT_E_NS1_11comp_targetILNS1_3genE9ELNS1_11target_archE1100ELNS1_3gpuE3ELNS1_3repE0EEENS1_30default_config_static_selectorELNS0_4arch9wavefront6targetE1EEEvT1_.kd
    .uniform_work_group_size: 1
    .uses_dynamic_stack: false
    .vgpr_count:     0
    .vgpr_spill_count: 0
    .wavefront_size: 64
  - .agpr_count:     0
    .args:
      - .offset:         0
        .size:           56
        .value_kind:     by_value
    .group_segment_fixed_size: 0
    .kernarg_segment_align: 8
    .kernarg_segment_size: 56
    .language:       OpenCL C
    .language_version:
      - 2
      - 0
    .max_flat_workgroup_size: 32
    .name:           _ZN7rocprim17ROCPRIM_400000_NS6detail17trampoline_kernelINS0_14default_configENS1_35adjacent_difference_config_selectorILb1EiEEZNS1_24adjacent_difference_implIS3_Lb1ELb0EPKiPiN6thrust23THRUST_200600_302600_NS4plusIiEEEE10hipError_tPvRmT2_T3_mT4_P12ihipStream_tbEUlT_E_NS1_11comp_targetILNS1_3genE8ELNS1_11target_archE1030ELNS1_3gpuE2ELNS1_3repE0EEENS1_30default_config_static_selectorELNS0_4arch9wavefront6targetE1EEEvT1_
    .private_segment_fixed_size: 0
    .sgpr_count:     4
    .sgpr_spill_count: 0
    .symbol:         _ZN7rocprim17ROCPRIM_400000_NS6detail17trampoline_kernelINS0_14default_configENS1_35adjacent_difference_config_selectorILb1EiEEZNS1_24adjacent_difference_implIS3_Lb1ELb0EPKiPiN6thrust23THRUST_200600_302600_NS4plusIiEEEE10hipError_tPvRmT2_T3_mT4_P12ihipStream_tbEUlT_E_NS1_11comp_targetILNS1_3genE8ELNS1_11target_archE1030ELNS1_3gpuE2ELNS1_3repE0EEENS1_30default_config_static_selectorELNS0_4arch9wavefront6targetE1EEEvT1_.kd
    .uniform_work_group_size: 1
    .uses_dynamic_stack: false
    .vgpr_count:     0
    .vgpr_spill_count: 0
    .wavefront_size: 64
  - .agpr_count:     0
    .args:
      - .offset:         0
        .size:           56
        .value_kind:     by_value
    .group_segment_fixed_size: 0
    .kernarg_segment_align: 8
    .kernarg_segment_size: 56
    .language:       OpenCL C
    .language_version:
      - 2
      - 0
    .max_flat_workgroup_size: 128
    .name:           _ZN7rocprim17ROCPRIM_400000_NS6detail17trampoline_kernelINS0_14default_configENS1_35adjacent_difference_config_selectorILb0EjEEZNS1_24adjacent_difference_implIS3_Lb0ELb0EPKjPjN6thrust23THRUST_200600_302600_NS4plusIjEEEE10hipError_tPvRmT2_T3_mT4_P12ihipStream_tbEUlT_E_NS1_11comp_targetILNS1_3genE0ELNS1_11target_archE4294967295ELNS1_3gpuE0ELNS1_3repE0EEENS1_30default_config_static_selectorELNS0_4arch9wavefront6targetE1EEEvT1_
    .private_segment_fixed_size: 0
    .sgpr_count:     4
    .sgpr_spill_count: 0
    .symbol:         _ZN7rocprim17ROCPRIM_400000_NS6detail17trampoline_kernelINS0_14default_configENS1_35adjacent_difference_config_selectorILb0EjEEZNS1_24adjacent_difference_implIS3_Lb0ELb0EPKjPjN6thrust23THRUST_200600_302600_NS4plusIjEEEE10hipError_tPvRmT2_T3_mT4_P12ihipStream_tbEUlT_E_NS1_11comp_targetILNS1_3genE0ELNS1_11target_archE4294967295ELNS1_3gpuE0ELNS1_3repE0EEENS1_30default_config_static_selectorELNS0_4arch9wavefront6targetE1EEEvT1_.kd
    .uniform_work_group_size: 1
    .uses_dynamic_stack: false
    .vgpr_count:     0
    .vgpr_spill_count: 0
    .wavefront_size: 64
  - .agpr_count:     0
    .args:
      - .offset:         0
        .size:           56
        .value_kind:     by_value
    .group_segment_fixed_size: 0
    .kernarg_segment_align: 8
    .kernarg_segment_size: 56
    .language:       OpenCL C
    .language_version:
      - 2
      - 0
    .max_flat_workgroup_size: 128
    .name:           _ZN7rocprim17ROCPRIM_400000_NS6detail17trampoline_kernelINS0_14default_configENS1_35adjacent_difference_config_selectorILb0EjEEZNS1_24adjacent_difference_implIS3_Lb0ELb0EPKjPjN6thrust23THRUST_200600_302600_NS4plusIjEEEE10hipError_tPvRmT2_T3_mT4_P12ihipStream_tbEUlT_E_NS1_11comp_targetILNS1_3genE10ELNS1_11target_archE1201ELNS1_3gpuE5ELNS1_3repE0EEENS1_30default_config_static_selectorELNS0_4arch9wavefront6targetE1EEEvT1_
    .private_segment_fixed_size: 0
    .sgpr_count:     4
    .sgpr_spill_count: 0
    .symbol:         _ZN7rocprim17ROCPRIM_400000_NS6detail17trampoline_kernelINS0_14default_configENS1_35adjacent_difference_config_selectorILb0EjEEZNS1_24adjacent_difference_implIS3_Lb0ELb0EPKjPjN6thrust23THRUST_200600_302600_NS4plusIjEEEE10hipError_tPvRmT2_T3_mT4_P12ihipStream_tbEUlT_E_NS1_11comp_targetILNS1_3genE10ELNS1_11target_archE1201ELNS1_3gpuE5ELNS1_3repE0EEENS1_30default_config_static_selectorELNS0_4arch9wavefront6targetE1EEEvT1_.kd
    .uniform_work_group_size: 1
    .uses_dynamic_stack: false
    .vgpr_count:     0
    .vgpr_spill_count: 0
    .wavefront_size: 64
  - .agpr_count:     0
    .args:
      - .offset:         0
        .size:           56
        .value_kind:     by_value
    .group_segment_fixed_size: 0
    .kernarg_segment_align: 8
    .kernarg_segment_size: 56
    .language:       OpenCL C
    .language_version:
      - 2
      - 0
    .max_flat_workgroup_size: 64
    .name:           _ZN7rocprim17ROCPRIM_400000_NS6detail17trampoline_kernelINS0_14default_configENS1_35adjacent_difference_config_selectorILb0EjEEZNS1_24adjacent_difference_implIS3_Lb0ELb0EPKjPjN6thrust23THRUST_200600_302600_NS4plusIjEEEE10hipError_tPvRmT2_T3_mT4_P12ihipStream_tbEUlT_E_NS1_11comp_targetILNS1_3genE5ELNS1_11target_archE942ELNS1_3gpuE9ELNS1_3repE0EEENS1_30default_config_static_selectorELNS0_4arch9wavefront6targetE1EEEvT1_
    .private_segment_fixed_size: 0
    .sgpr_count:     4
    .sgpr_spill_count: 0
    .symbol:         _ZN7rocprim17ROCPRIM_400000_NS6detail17trampoline_kernelINS0_14default_configENS1_35adjacent_difference_config_selectorILb0EjEEZNS1_24adjacent_difference_implIS3_Lb0ELb0EPKjPjN6thrust23THRUST_200600_302600_NS4plusIjEEEE10hipError_tPvRmT2_T3_mT4_P12ihipStream_tbEUlT_E_NS1_11comp_targetILNS1_3genE5ELNS1_11target_archE942ELNS1_3gpuE9ELNS1_3repE0EEENS1_30default_config_static_selectorELNS0_4arch9wavefront6targetE1EEEvT1_.kd
    .uniform_work_group_size: 1
    .uses_dynamic_stack: false
    .vgpr_count:     0
    .vgpr_spill_count: 0
    .wavefront_size: 64
  - .agpr_count:     0
    .args:
      - .offset:         0
        .size:           56
        .value_kind:     by_value
    .group_segment_fixed_size: 10240
    .kernarg_segment_align: 8
    .kernarg_segment_size: 56
    .language:       OpenCL C
    .language_version:
      - 2
      - 0
    .max_flat_workgroup_size: 512
    .name:           _ZN7rocprim17ROCPRIM_400000_NS6detail17trampoline_kernelINS0_14default_configENS1_35adjacent_difference_config_selectorILb0EjEEZNS1_24adjacent_difference_implIS3_Lb0ELb0EPKjPjN6thrust23THRUST_200600_302600_NS4plusIjEEEE10hipError_tPvRmT2_T3_mT4_P12ihipStream_tbEUlT_E_NS1_11comp_targetILNS1_3genE4ELNS1_11target_archE910ELNS1_3gpuE8ELNS1_3repE0EEENS1_30default_config_static_selectorELNS0_4arch9wavefront6targetE1EEEvT1_
    .private_segment_fixed_size: 0
    .sgpr_count:     27
    .sgpr_spill_count: 0
    .symbol:         _ZN7rocprim17ROCPRIM_400000_NS6detail17trampoline_kernelINS0_14default_configENS1_35adjacent_difference_config_selectorILb0EjEEZNS1_24adjacent_difference_implIS3_Lb0ELb0EPKjPjN6thrust23THRUST_200600_302600_NS4plusIjEEEE10hipError_tPvRmT2_T3_mT4_P12ihipStream_tbEUlT_E_NS1_11comp_targetILNS1_3genE4ELNS1_11target_archE910ELNS1_3gpuE8ELNS1_3repE0EEENS1_30default_config_static_selectorELNS0_4arch9wavefront6targetE1EEEvT1_.kd
    .uniform_work_group_size: 1
    .uses_dynamic_stack: false
    .vgpr_count:     24
    .vgpr_spill_count: 0
    .wavefront_size: 64
  - .agpr_count:     0
    .args:
      - .offset:         0
        .size:           56
        .value_kind:     by_value
    .group_segment_fixed_size: 0
    .kernarg_segment_align: 8
    .kernarg_segment_size: 56
    .language:       OpenCL C
    .language_version:
      - 2
      - 0
    .max_flat_workgroup_size: 128
    .name:           _ZN7rocprim17ROCPRIM_400000_NS6detail17trampoline_kernelINS0_14default_configENS1_35adjacent_difference_config_selectorILb0EjEEZNS1_24adjacent_difference_implIS3_Lb0ELb0EPKjPjN6thrust23THRUST_200600_302600_NS4plusIjEEEE10hipError_tPvRmT2_T3_mT4_P12ihipStream_tbEUlT_E_NS1_11comp_targetILNS1_3genE3ELNS1_11target_archE908ELNS1_3gpuE7ELNS1_3repE0EEENS1_30default_config_static_selectorELNS0_4arch9wavefront6targetE1EEEvT1_
    .private_segment_fixed_size: 0
    .sgpr_count:     4
    .sgpr_spill_count: 0
    .symbol:         _ZN7rocprim17ROCPRIM_400000_NS6detail17trampoline_kernelINS0_14default_configENS1_35adjacent_difference_config_selectorILb0EjEEZNS1_24adjacent_difference_implIS3_Lb0ELb0EPKjPjN6thrust23THRUST_200600_302600_NS4plusIjEEEE10hipError_tPvRmT2_T3_mT4_P12ihipStream_tbEUlT_E_NS1_11comp_targetILNS1_3genE3ELNS1_11target_archE908ELNS1_3gpuE7ELNS1_3repE0EEENS1_30default_config_static_selectorELNS0_4arch9wavefront6targetE1EEEvT1_.kd
    .uniform_work_group_size: 1
    .uses_dynamic_stack: false
    .vgpr_count:     0
    .vgpr_spill_count: 0
    .wavefront_size: 64
  - .agpr_count:     0
    .args:
      - .offset:         0
        .size:           56
        .value_kind:     by_value
    .group_segment_fixed_size: 0
    .kernarg_segment_align: 8
    .kernarg_segment_size: 56
    .language:       OpenCL C
    .language_version:
      - 2
      - 0
    .max_flat_workgroup_size: 1024
    .name:           _ZN7rocprim17ROCPRIM_400000_NS6detail17trampoline_kernelINS0_14default_configENS1_35adjacent_difference_config_selectorILb0EjEEZNS1_24adjacent_difference_implIS3_Lb0ELb0EPKjPjN6thrust23THRUST_200600_302600_NS4plusIjEEEE10hipError_tPvRmT2_T3_mT4_P12ihipStream_tbEUlT_E_NS1_11comp_targetILNS1_3genE2ELNS1_11target_archE906ELNS1_3gpuE6ELNS1_3repE0EEENS1_30default_config_static_selectorELNS0_4arch9wavefront6targetE1EEEvT1_
    .private_segment_fixed_size: 0
    .sgpr_count:     4
    .sgpr_spill_count: 0
    .symbol:         _ZN7rocprim17ROCPRIM_400000_NS6detail17trampoline_kernelINS0_14default_configENS1_35adjacent_difference_config_selectorILb0EjEEZNS1_24adjacent_difference_implIS3_Lb0ELb0EPKjPjN6thrust23THRUST_200600_302600_NS4plusIjEEEE10hipError_tPvRmT2_T3_mT4_P12ihipStream_tbEUlT_E_NS1_11comp_targetILNS1_3genE2ELNS1_11target_archE906ELNS1_3gpuE6ELNS1_3repE0EEENS1_30default_config_static_selectorELNS0_4arch9wavefront6targetE1EEEvT1_.kd
    .uniform_work_group_size: 1
    .uses_dynamic_stack: false
    .vgpr_count:     0
    .vgpr_spill_count: 0
    .wavefront_size: 64
  - .agpr_count:     0
    .args:
      - .offset:         0
        .size:           56
        .value_kind:     by_value
    .group_segment_fixed_size: 0
    .kernarg_segment_align: 8
    .kernarg_segment_size: 56
    .language:       OpenCL C
    .language_version:
      - 2
      - 0
    .max_flat_workgroup_size: 1024
    .name:           _ZN7rocprim17ROCPRIM_400000_NS6detail17trampoline_kernelINS0_14default_configENS1_35adjacent_difference_config_selectorILb0EjEEZNS1_24adjacent_difference_implIS3_Lb0ELb0EPKjPjN6thrust23THRUST_200600_302600_NS4plusIjEEEE10hipError_tPvRmT2_T3_mT4_P12ihipStream_tbEUlT_E_NS1_11comp_targetILNS1_3genE9ELNS1_11target_archE1100ELNS1_3gpuE3ELNS1_3repE0EEENS1_30default_config_static_selectorELNS0_4arch9wavefront6targetE1EEEvT1_
    .private_segment_fixed_size: 0
    .sgpr_count:     4
    .sgpr_spill_count: 0
    .symbol:         _ZN7rocprim17ROCPRIM_400000_NS6detail17trampoline_kernelINS0_14default_configENS1_35adjacent_difference_config_selectorILb0EjEEZNS1_24adjacent_difference_implIS3_Lb0ELb0EPKjPjN6thrust23THRUST_200600_302600_NS4plusIjEEEE10hipError_tPvRmT2_T3_mT4_P12ihipStream_tbEUlT_E_NS1_11comp_targetILNS1_3genE9ELNS1_11target_archE1100ELNS1_3gpuE3ELNS1_3repE0EEENS1_30default_config_static_selectorELNS0_4arch9wavefront6targetE1EEEvT1_.kd
    .uniform_work_group_size: 1
    .uses_dynamic_stack: false
    .vgpr_count:     0
    .vgpr_spill_count: 0
    .wavefront_size: 64
  - .agpr_count:     0
    .args:
      - .offset:         0
        .size:           56
        .value_kind:     by_value
    .group_segment_fixed_size: 0
    .kernarg_segment_align: 8
    .kernarg_segment_size: 56
    .language:       OpenCL C
    .language_version:
      - 2
      - 0
    .max_flat_workgroup_size: 1024
    .name:           _ZN7rocprim17ROCPRIM_400000_NS6detail17trampoline_kernelINS0_14default_configENS1_35adjacent_difference_config_selectorILb0EjEEZNS1_24adjacent_difference_implIS3_Lb0ELb0EPKjPjN6thrust23THRUST_200600_302600_NS4plusIjEEEE10hipError_tPvRmT2_T3_mT4_P12ihipStream_tbEUlT_E_NS1_11comp_targetILNS1_3genE8ELNS1_11target_archE1030ELNS1_3gpuE2ELNS1_3repE0EEENS1_30default_config_static_selectorELNS0_4arch9wavefront6targetE1EEEvT1_
    .private_segment_fixed_size: 0
    .sgpr_count:     4
    .sgpr_spill_count: 0
    .symbol:         _ZN7rocprim17ROCPRIM_400000_NS6detail17trampoline_kernelINS0_14default_configENS1_35adjacent_difference_config_selectorILb0EjEEZNS1_24adjacent_difference_implIS3_Lb0ELb0EPKjPjN6thrust23THRUST_200600_302600_NS4plusIjEEEE10hipError_tPvRmT2_T3_mT4_P12ihipStream_tbEUlT_E_NS1_11comp_targetILNS1_3genE8ELNS1_11target_archE1030ELNS1_3gpuE2ELNS1_3repE0EEENS1_30default_config_static_selectorELNS0_4arch9wavefront6targetE1EEEvT1_.kd
    .uniform_work_group_size: 1
    .uses_dynamic_stack: false
    .vgpr_count:     0
    .vgpr_spill_count: 0
    .wavefront_size: 64
  - .agpr_count:     0
    .args:
      - .offset:         0
        .size:           56
        .value_kind:     by_value
    .group_segment_fixed_size: 0
    .kernarg_segment_align: 8
    .kernarg_segment_size: 56
    .language:       OpenCL C
    .language_version:
      - 2
      - 0
    .max_flat_workgroup_size: 128
    .name:           _ZN7rocprim17ROCPRIM_400000_NS6detail17trampoline_kernelINS0_14default_configENS1_25transform_config_selectorIjLb0EEEZNS1_14transform_implILb0ES3_S5_NS0_18transform_iteratorINS0_17counting_iteratorImlEEZNS1_24adjacent_difference_implIS3_Lb1ELb0EPKjPjN6thrust23THRUST_200600_302600_NS4plusIjEEEE10hipError_tPvRmT2_T3_mT4_P12ihipStream_tbEUlmE_jEESD_NS0_8identityIvEEEESI_SL_SM_mSN_SP_bEUlT_E_NS1_11comp_targetILNS1_3genE0ELNS1_11target_archE4294967295ELNS1_3gpuE0ELNS1_3repE0EEENS1_30default_config_static_selectorELNS0_4arch9wavefront6targetE1EEEvT1_
    .private_segment_fixed_size: 0
    .sgpr_count:     4
    .sgpr_spill_count: 0
    .symbol:         _ZN7rocprim17ROCPRIM_400000_NS6detail17trampoline_kernelINS0_14default_configENS1_25transform_config_selectorIjLb0EEEZNS1_14transform_implILb0ES3_S5_NS0_18transform_iteratorINS0_17counting_iteratorImlEEZNS1_24adjacent_difference_implIS3_Lb1ELb0EPKjPjN6thrust23THRUST_200600_302600_NS4plusIjEEEE10hipError_tPvRmT2_T3_mT4_P12ihipStream_tbEUlmE_jEESD_NS0_8identityIvEEEESI_SL_SM_mSN_SP_bEUlT_E_NS1_11comp_targetILNS1_3genE0ELNS1_11target_archE4294967295ELNS1_3gpuE0ELNS1_3repE0EEENS1_30default_config_static_selectorELNS0_4arch9wavefront6targetE1EEEvT1_.kd
    .uniform_work_group_size: 1
    .uses_dynamic_stack: false
    .vgpr_count:     0
    .vgpr_spill_count: 0
    .wavefront_size: 64
  - .agpr_count:     0
    .args:
      - .offset:         0
        .size:           56
        .value_kind:     by_value
    .group_segment_fixed_size: 0
    .kernarg_segment_align: 8
    .kernarg_segment_size: 56
    .language:       OpenCL C
    .language_version:
      - 2
      - 0
    .max_flat_workgroup_size: 512
    .name:           _ZN7rocprim17ROCPRIM_400000_NS6detail17trampoline_kernelINS0_14default_configENS1_25transform_config_selectorIjLb0EEEZNS1_14transform_implILb0ES3_S5_NS0_18transform_iteratorINS0_17counting_iteratorImlEEZNS1_24adjacent_difference_implIS3_Lb1ELb0EPKjPjN6thrust23THRUST_200600_302600_NS4plusIjEEEE10hipError_tPvRmT2_T3_mT4_P12ihipStream_tbEUlmE_jEESD_NS0_8identityIvEEEESI_SL_SM_mSN_SP_bEUlT_E_NS1_11comp_targetILNS1_3genE5ELNS1_11target_archE942ELNS1_3gpuE9ELNS1_3repE0EEENS1_30default_config_static_selectorELNS0_4arch9wavefront6targetE1EEEvT1_
    .private_segment_fixed_size: 0
    .sgpr_count:     4
    .sgpr_spill_count: 0
    .symbol:         _ZN7rocprim17ROCPRIM_400000_NS6detail17trampoline_kernelINS0_14default_configENS1_25transform_config_selectorIjLb0EEEZNS1_14transform_implILb0ES3_S5_NS0_18transform_iteratorINS0_17counting_iteratorImlEEZNS1_24adjacent_difference_implIS3_Lb1ELb0EPKjPjN6thrust23THRUST_200600_302600_NS4plusIjEEEE10hipError_tPvRmT2_T3_mT4_P12ihipStream_tbEUlmE_jEESD_NS0_8identityIvEEEESI_SL_SM_mSN_SP_bEUlT_E_NS1_11comp_targetILNS1_3genE5ELNS1_11target_archE942ELNS1_3gpuE9ELNS1_3repE0EEENS1_30default_config_static_selectorELNS0_4arch9wavefront6targetE1EEEvT1_.kd
    .uniform_work_group_size: 1
    .uses_dynamic_stack: false
    .vgpr_count:     0
    .vgpr_spill_count: 0
    .wavefront_size: 64
  - .agpr_count:     0
    .args:
      - .offset:         0
        .size:           56
        .value_kind:     by_value
      - .offset:         56
        .size:           4
        .value_kind:     hidden_block_count_x
      - .offset:         60
        .size:           4
        .value_kind:     hidden_block_count_y
      - .offset:         64
        .size:           4
        .value_kind:     hidden_block_count_z
      - .offset:         68
        .size:           2
        .value_kind:     hidden_group_size_x
      - .offset:         70
        .size:           2
        .value_kind:     hidden_group_size_y
      - .offset:         72
        .size:           2
        .value_kind:     hidden_group_size_z
      - .offset:         74
        .size:           2
        .value_kind:     hidden_remainder_x
      - .offset:         76
        .size:           2
        .value_kind:     hidden_remainder_y
      - .offset:         78
        .size:           2
        .value_kind:     hidden_remainder_z
      - .offset:         96
        .size:           8
        .value_kind:     hidden_global_offset_x
      - .offset:         104
        .size:           8
        .value_kind:     hidden_global_offset_y
      - .offset:         112
        .size:           8
        .value_kind:     hidden_global_offset_z
      - .offset:         120
        .size:           2
        .value_kind:     hidden_grid_dims
    .group_segment_fixed_size: 0
    .kernarg_segment_align: 8
    .kernarg_segment_size: 312
    .language:       OpenCL C
    .language_version:
      - 2
      - 0
    .max_flat_workgroup_size: 1024
    .name:           _ZN7rocprim17ROCPRIM_400000_NS6detail17trampoline_kernelINS0_14default_configENS1_25transform_config_selectorIjLb0EEEZNS1_14transform_implILb0ES3_S5_NS0_18transform_iteratorINS0_17counting_iteratorImlEEZNS1_24adjacent_difference_implIS3_Lb1ELb0EPKjPjN6thrust23THRUST_200600_302600_NS4plusIjEEEE10hipError_tPvRmT2_T3_mT4_P12ihipStream_tbEUlmE_jEESD_NS0_8identityIvEEEESI_SL_SM_mSN_SP_bEUlT_E_NS1_11comp_targetILNS1_3genE4ELNS1_11target_archE910ELNS1_3gpuE8ELNS1_3repE0EEENS1_30default_config_static_selectorELNS0_4arch9wavefront6targetE1EEEvT1_
    .private_segment_fixed_size: 0
    .sgpr_count:     22
    .sgpr_spill_count: 0
    .symbol:         _ZN7rocprim17ROCPRIM_400000_NS6detail17trampoline_kernelINS0_14default_configENS1_25transform_config_selectorIjLb0EEEZNS1_14transform_implILb0ES3_S5_NS0_18transform_iteratorINS0_17counting_iteratorImlEEZNS1_24adjacent_difference_implIS3_Lb1ELb0EPKjPjN6thrust23THRUST_200600_302600_NS4plusIjEEEE10hipError_tPvRmT2_T3_mT4_P12ihipStream_tbEUlmE_jEESD_NS0_8identityIvEEEESI_SL_SM_mSN_SP_bEUlT_E_NS1_11comp_targetILNS1_3genE4ELNS1_11target_archE910ELNS1_3gpuE8ELNS1_3repE0EEENS1_30default_config_static_selectorELNS0_4arch9wavefront6targetE1EEEvT1_.kd
    .uniform_work_group_size: 1
    .uses_dynamic_stack: false
    .vgpr_count:     8
    .vgpr_spill_count: 0
    .wavefront_size: 64
  - .agpr_count:     0
    .args:
      - .offset:         0
        .size:           56
        .value_kind:     by_value
    .group_segment_fixed_size: 0
    .kernarg_segment_align: 8
    .kernarg_segment_size: 56
    .language:       OpenCL C
    .language_version:
      - 2
      - 0
    .max_flat_workgroup_size: 128
    .name:           _ZN7rocprim17ROCPRIM_400000_NS6detail17trampoline_kernelINS0_14default_configENS1_25transform_config_selectorIjLb0EEEZNS1_14transform_implILb0ES3_S5_NS0_18transform_iteratorINS0_17counting_iteratorImlEEZNS1_24adjacent_difference_implIS3_Lb1ELb0EPKjPjN6thrust23THRUST_200600_302600_NS4plusIjEEEE10hipError_tPvRmT2_T3_mT4_P12ihipStream_tbEUlmE_jEESD_NS0_8identityIvEEEESI_SL_SM_mSN_SP_bEUlT_E_NS1_11comp_targetILNS1_3genE3ELNS1_11target_archE908ELNS1_3gpuE7ELNS1_3repE0EEENS1_30default_config_static_selectorELNS0_4arch9wavefront6targetE1EEEvT1_
    .private_segment_fixed_size: 0
    .sgpr_count:     4
    .sgpr_spill_count: 0
    .symbol:         _ZN7rocprim17ROCPRIM_400000_NS6detail17trampoline_kernelINS0_14default_configENS1_25transform_config_selectorIjLb0EEEZNS1_14transform_implILb0ES3_S5_NS0_18transform_iteratorINS0_17counting_iteratorImlEEZNS1_24adjacent_difference_implIS3_Lb1ELb0EPKjPjN6thrust23THRUST_200600_302600_NS4plusIjEEEE10hipError_tPvRmT2_T3_mT4_P12ihipStream_tbEUlmE_jEESD_NS0_8identityIvEEEESI_SL_SM_mSN_SP_bEUlT_E_NS1_11comp_targetILNS1_3genE3ELNS1_11target_archE908ELNS1_3gpuE7ELNS1_3repE0EEENS1_30default_config_static_selectorELNS0_4arch9wavefront6targetE1EEEvT1_.kd
    .uniform_work_group_size: 1
    .uses_dynamic_stack: false
    .vgpr_count:     0
    .vgpr_spill_count: 0
    .wavefront_size: 64
  - .agpr_count:     0
    .args:
      - .offset:         0
        .size:           56
        .value_kind:     by_value
    .group_segment_fixed_size: 0
    .kernarg_segment_align: 8
    .kernarg_segment_size: 56
    .language:       OpenCL C
    .language_version:
      - 2
      - 0
    .max_flat_workgroup_size: 1024
    .name:           _ZN7rocprim17ROCPRIM_400000_NS6detail17trampoline_kernelINS0_14default_configENS1_25transform_config_selectorIjLb0EEEZNS1_14transform_implILb0ES3_S5_NS0_18transform_iteratorINS0_17counting_iteratorImlEEZNS1_24adjacent_difference_implIS3_Lb1ELb0EPKjPjN6thrust23THRUST_200600_302600_NS4plusIjEEEE10hipError_tPvRmT2_T3_mT4_P12ihipStream_tbEUlmE_jEESD_NS0_8identityIvEEEESI_SL_SM_mSN_SP_bEUlT_E_NS1_11comp_targetILNS1_3genE2ELNS1_11target_archE906ELNS1_3gpuE6ELNS1_3repE0EEENS1_30default_config_static_selectorELNS0_4arch9wavefront6targetE1EEEvT1_
    .private_segment_fixed_size: 0
    .sgpr_count:     4
    .sgpr_spill_count: 0
    .symbol:         _ZN7rocprim17ROCPRIM_400000_NS6detail17trampoline_kernelINS0_14default_configENS1_25transform_config_selectorIjLb0EEEZNS1_14transform_implILb0ES3_S5_NS0_18transform_iteratorINS0_17counting_iteratorImlEEZNS1_24adjacent_difference_implIS3_Lb1ELb0EPKjPjN6thrust23THRUST_200600_302600_NS4plusIjEEEE10hipError_tPvRmT2_T3_mT4_P12ihipStream_tbEUlmE_jEESD_NS0_8identityIvEEEESI_SL_SM_mSN_SP_bEUlT_E_NS1_11comp_targetILNS1_3genE2ELNS1_11target_archE906ELNS1_3gpuE6ELNS1_3repE0EEENS1_30default_config_static_selectorELNS0_4arch9wavefront6targetE1EEEvT1_.kd
    .uniform_work_group_size: 1
    .uses_dynamic_stack: false
    .vgpr_count:     0
    .vgpr_spill_count: 0
    .wavefront_size: 64
  - .agpr_count:     0
    .args:
      - .offset:         0
        .size:           56
        .value_kind:     by_value
    .group_segment_fixed_size: 0
    .kernarg_segment_align: 8
    .kernarg_segment_size: 56
    .language:       OpenCL C
    .language_version:
      - 2
      - 0
    .max_flat_workgroup_size: 1024
    .name:           _ZN7rocprim17ROCPRIM_400000_NS6detail17trampoline_kernelINS0_14default_configENS1_25transform_config_selectorIjLb0EEEZNS1_14transform_implILb0ES3_S5_NS0_18transform_iteratorINS0_17counting_iteratorImlEEZNS1_24adjacent_difference_implIS3_Lb1ELb0EPKjPjN6thrust23THRUST_200600_302600_NS4plusIjEEEE10hipError_tPvRmT2_T3_mT4_P12ihipStream_tbEUlmE_jEESD_NS0_8identityIvEEEESI_SL_SM_mSN_SP_bEUlT_E_NS1_11comp_targetILNS1_3genE10ELNS1_11target_archE1201ELNS1_3gpuE5ELNS1_3repE0EEENS1_30default_config_static_selectorELNS0_4arch9wavefront6targetE1EEEvT1_
    .private_segment_fixed_size: 0
    .sgpr_count:     4
    .sgpr_spill_count: 0
    .symbol:         _ZN7rocprim17ROCPRIM_400000_NS6detail17trampoline_kernelINS0_14default_configENS1_25transform_config_selectorIjLb0EEEZNS1_14transform_implILb0ES3_S5_NS0_18transform_iteratorINS0_17counting_iteratorImlEEZNS1_24adjacent_difference_implIS3_Lb1ELb0EPKjPjN6thrust23THRUST_200600_302600_NS4plusIjEEEE10hipError_tPvRmT2_T3_mT4_P12ihipStream_tbEUlmE_jEESD_NS0_8identityIvEEEESI_SL_SM_mSN_SP_bEUlT_E_NS1_11comp_targetILNS1_3genE10ELNS1_11target_archE1201ELNS1_3gpuE5ELNS1_3repE0EEENS1_30default_config_static_selectorELNS0_4arch9wavefront6targetE1EEEvT1_.kd
    .uniform_work_group_size: 1
    .uses_dynamic_stack: false
    .vgpr_count:     0
    .vgpr_spill_count: 0
    .wavefront_size: 64
  - .agpr_count:     0
    .args:
      - .offset:         0
        .size:           56
        .value_kind:     by_value
    .group_segment_fixed_size: 0
    .kernarg_segment_align: 8
    .kernarg_segment_size: 56
    .language:       OpenCL C
    .language_version:
      - 2
      - 0
    .max_flat_workgroup_size: 512
    .name:           _ZN7rocprim17ROCPRIM_400000_NS6detail17trampoline_kernelINS0_14default_configENS1_25transform_config_selectorIjLb0EEEZNS1_14transform_implILb0ES3_S5_NS0_18transform_iteratorINS0_17counting_iteratorImlEEZNS1_24adjacent_difference_implIS3_Lb1ELb0EPKjPjN6thrust23THRUST_200600_302600_NS4plusIjEEEE10hipError_tPvRmT2_T3_mT4_P12ihipStream_tbEUlmE_jEESD_NS0_8identityIvEEEESI_SL_SM_mSN_SP_bEUlT_E_NS1_11comp_targetILNS1_3genE10ELNS1_11target_archE1200ELNS1_3gpuE4ELNS1_3repE0EEENS1_30default_config_static_selectorELNS0_4arch9wavefront6targetE1EEEvT1_
    .private_segment_fixed_size: 0
    .sgpr_count:     4
    .sgpr_spill_count: 0
    .symbol:         _ZN7rocprim17ROCPRIM_400000_NS6detail17trampoline_kernelINS0_14default_configENS1_25transform_config_selectorIjLb0EEEZNS1_14transform_implILb0ES3_S5_NS0_18transform_iteratorINS0_17counting_iteratorImlEEZNS1_24adjacent_difference_implIS3_Lb1ELb0EPKjPjN6thrust23THRUST_200600_302600_NS4plusIjEEEE10hipError_tPvRmT2_T3_mT4_P12ihipStream_tbEUlmE_jEESD_NS0_8identityIvEEEESI_SL_SM_mSN_SP_bEUlT_E_NS1_11comp_targetILNS1_3genE10ELNS1_11target_archE1200ELNS1_3gpuE4ELNS1_3repE0EEENS1_30default_config_static_selectorELNS0_4arch9wavefront6targetE1EEEvT1_.kd
    .uniform_work_group_size: 1
    .uses_dynamic_stack: false
    .vgpr_count:     0
    .vgpr_spill_count: 0
    .wavefront_size: 64
  - .agpr_count:     0
    .args:
      - .offset:         0
        .size:           56
        .value_kind:     by_value
    .group_segment_fixed_size: 0
    .kernarg_segment_align: 8
    .kernarg_segment_size: 56
    .language:       OpenCL C
    .language_version:
      - 2
      - 0
    .max_flat_workgroup_size: 64
    .name:           _ZN7rocprim17ROCPRIM_400000_NS6detail17trampoline_kernelINS0_14default_configENS1_25transform_config_selectorIjLb0EEEZNS1_14transform_implILb0ES3_S5_NS0_18transform_iteratorINS0_17counting_iteratorImlEEZNS1_24adjacent_difference_implIS3_Lb1ELb0EPKjPjN6thrust23THRUST_200600_302600_NS4plusIjEEEE10hipError_tPvRmT2_T3_mT4_P12ihipStream_tbEUlmE_jEESD_NS0_8identityIvEEEESI_SL_SM_mSN_SP_bEUlT_E_NS1_11comp_targetILNS1_3genE9ELNS1_11target_archE1100ELNS1_3gpuE3ELNS1_3repE0EEENS1_30default_config_static_selectorELNS0_4arch9wavefront6targetE1EEEvT1_
    .private_segment_fixed_size: 0
    .sgpr_count:     4
    .sgpr_spill_count: 0
    .symbol:         _ZN7rocprim17ROCPRIM_400000_NS6detail17trampoline_kernelINS0_14default_configENS1_25transform_config_selectorIjLb0EEEZNS1_14transform_implILb0ES3_S5_NS0_18transform_iteratorINS0_17counting_iteratorImlEEZNS1_24adjacent_difference_implIS3_Lb1ELb0EPKjPjN6thrust23THRUST_200600_302600_NS4plusIjEEEE10hipError_tPvRmT2_T3_mT4_P12ihipStream_tbEUlmE_jEESD_NS0_8identityIvEEEESI_SL_SM_mSN_SP_bEUlT_E_NS1_11comp_targetILNS1_3genE9ELNS1_11target_archE1100ELNS1_3gpuE3ELNS1_3repE0EEENS1_30default_config_static_selectorELNS0_4arch9wavefront6targetE1EEEvT1_.kd
    .uniform_work_group_size: 1
    .uses_dynamic_stack: false
    .vgpr_count:     0
    .vgpr_spill_count: 0
    .wavefront_size: 64
  - .agpr_count:     0
    .args:
      - .offset:         0
        .size:           56
        .value_kind:     by_value
    .group_segment_fixed_size: 0
    .kernarg_segment_align: 8
    .kernarg_segment_size: 56
    .language:       OpenCL C
    .language_version:
      - 2
      - 0
    .max_flat_workgroup_size: 256
    .name:           _ZN7rocprim17ROCPRIM_400000_NS6detail17trampoline_kernelINS0_14default_configENS1_25transform_config_selectorIjLb0EEEZNS1_14transform_implILb0ES3_S5_NS0_18transform_iteratorINS0_17counting_iteratorImlEEZNS1_24adjacent_difference_implIS3_Lb1ELb0EPKjPjN6thrust23THRUST_200600_302600_NS4plusIjEEEE10hipError_tPvRmT2_T3_mT4_P12ihipStream_tbEUlmE_jEESD_NS0_8identityIvEEEESI_SL_SM_mSN_SP_bEUlT_E_NS1_11comp_targetILNS1_3genE8ELNS1_11target_archE1030ELNS1_3gpuE2ELNS1_3repE0EEENS1_30default_config_static_selectorELNS0_4arch9wavefront6targetE1EEEvT1_
    .private_segment_fixed_size: 0
    .sgpr_count:     4
    .sgpr_spill_count: 0
    .symbol:         _ZN7rocprim17ROCPRIM_400000_NS6detail17trampoline_kernelINS0_14default_configENS1_25transform_config_selectorIjLb0EEEZNS1_14transform_implILb0ES3_S5_NS0_18transform_iteratorINS0_17counting_iteratorImlEEZNS1_24adjacent_difference_implIS3_Lb1ELb0EPKjPjN6thrust23THRUST_200600_302600_NS4plusIjEEEE10hipError_tPvRmT2_T3_mT4_P12ihipStream_tbEUlmE_jEESD_NS0_8identityIvEEEESI_SL_SM_mSN_SP_bEUlT_E_NS1_11comp_targetILNS1_3genE8ELNS1_11target_archE1030ELNS1_3gpuE2ELNS1_3repE0EEENS1_30default_config_static_selectorELNS0_4arch9wavefront6targetE1EEEvT1_.kd
    .uniform_work_group_size: 1
    .uses_dynamic_stack: false
    .vgpr_count:     0
    .vgpr_spill_count: 0
    .wavefront_size: 64
  - .agpr_count:     0
    .args:
      - .offset:         0
        .size:           56
        .value_kind:     by_value
    .group_segment_fixed_size: 0
    .kernarg_segment_align: 8
    .kernarg_segment_size: 56
    .language:       OpenCL C
    .language_version:
      - 2
      - 0
    .max_flat_workgroup_size: 1024
    .name:           _ZN7rocprim17ROCPRIM_400000_NS6detail17trampoline_kernelINS0_14default_configENS1_35adjacent_difference_config_selectorILb1EjEEZNS1_24adjacent_difference_implIS3_Lb1ELb0EPKjPjN6thrust23THRUST_200600_302600_NS4plusIjEEEE10hipError_tPvRmT2_T3_mT4_P12ihipStream_tbEUlT_E_NS1_11comp_targetILNS1_3genE0ELNS1_11target_archE4294967295ELNS1_3gpuE0ELNS1_3repE0EEENS1_30default_config_static_selectorELNS0_4arch9wavefront6targetE1EEEvT1_
    .private_segment_fixed_size: 0
    .sgpr_count:     4
    .sgpr_spill_count: 0
    .symbol:         _ZN7rocprim17ROCPRIM_400000_NS6detail17trampoline_kernelINS0_14default_configENS1_35adjacent_difference_config_selectorILb1EjEEZNS1_24adjacent_difference_implIS3_Lb1ELb0EPKjPjN6thrust23THRUST_200600_302600_NS4plusIjEEEE10hipError_tPvRmT2_T3_mT4_P12ihipStream_tbEUlT_E_NS1_11comp_targetILNS1_3genE0ELNS1_11target_archE4294967295ELNS1_3gpuE0ELNS1_3repE0EEENS1_30default_config_static_selectorELNS0_4arch9wavefront6targetE1EEEvT1_.kd
    .uniform_work_group_size: 1
    .uses_dynamic_stack: false
    .vgpr_count:     0
    .vgpr_spill_count: 0
    .wavefront_size: 64
  - .agpr_count:     0
    .args:
      - .offset:         0
        .size:           56
        .value_kind:     by_value
    .group_segment_fixed_size: 0
    .kernarg_segment_align: 8
    .kernarg_segment_size: 56
    .language:       OpenCL C
    .language_version:
      - 2
      - 0
    .max_flat_workgroup_size: 32
    .name:           _ZN7rocprim17ROCPRIM_400000_NS6detail17trampoline_kernelINS0_14default_configENS1_35adjacent_difference_config_selectorILb1EjEEZNS1_24adjacent_difference_implIS3_Lb1ELb0EPKjPjN6thrust23THRUST_200600_302600_NS4plusIjEEEE10hipError_tPvRmT2_T3_mT4_P12ihipStream_tbEUlT_E_NS1_11comp_targetILNS1_3genE10ELNS1_11target_archE1201ELNS1_3gpuE5ELNS1_3repE0EEENS1_30default_config_static_selectorELNS0_4arch9wavefront6targetE1EEEvT1_
    .private_segment_fixed_size: 0
    .sgpr_count:     4
    .sgpr_spill_count: 0
    .symbol:         _ZN7rocprim17ROCPRIM_400000_NS6detail17trampoline_kernelINS0_14default_configENS1_35adjacent_difference_config_selectorILb1EjEEZNS1_24adjacent_difference_implIS3_Lb1ELb0EPKjPjN6thrust23THRUST_200600_302600_NS4plusIjEEEE10hipError_tPvRmT2_T3_mT4_P12ihipStream_tbEUlT_E_NS1_11comp_targetILNS1_3genE10ELNS1_11target_archE1201ELNS1_3gpuE5ELNS1_3repE0EEENS1_30default_config_static_selectorELNS0_4arch9wavefront6targetE1EEEvT1_.kd
    .uniform_work_group_size: 1
    .uses_dynamic_stack: false
    .vgpr_count:     0
    .vgpr_spill_count: 0
    .wavefront_size: 64
  - .agpr_count:     0
    .args:
      - .offset:         0
        .size:           56
        .value_kind:     by_value
    .group_segment_fixed_size: 0
    .kernarg_segment_align: 8
    .kernarg_segment_size: 56
    .language:       OpenCL C
    .language_version:
      - 2
      - 0
    .max_flat_workgroup_size: 512
    .name:           _ZN7rocprim17ROCPRIM_400000_NS6detail17trampoline_kernelINS0_14default_configENS1_35adjacent_difference_config_selectorILb1EjEEZNS1_24adjacent_difference_implIS3_Lb1ELb0EPKjPjN6thrust23THRUST_200600_302600_NS4plusIjEEEE10hipError_tPvRmT2_T3_mT4_P12ihipStream_tbEUlT_E_NS1_11comp_targetILNS1_3genE5ELNS1_11target_archE942ELNS1_3gpuE9ELNS1_3repE0EEENS1_30default_config_static_selectorELNS0_4arch9wavefront6targetE1EEEvT1_
    .private_segment_fixed_size: 0
    .sgpr_count:     4
    .sgpr_spill_count: 0
    .symbol:         _ZN7rocprim17ROCPRIM_400000_NS6detail17trampoline_kernelINS0_14default_configENS1_35adjacent_difference_config_selectorILb1EjEEZNS1_24adjacent_difference_implIS3_Lb1ELb0EPKjPjN6thrust23THRUST_200600_302600_NS4plusIjEEEE10hipError_tPvRmT2_T3_mT4_P12ihipStream_tbEUlT_E_NS1_11comp_targetILNS1_3genE5ELNS1_11target_archE942ELNS1_3gpuE9ELNS1_3repE0EEENS1_30default_config_static_selectorELNS0_4arch9wavefront6targetE1EEEvT1_.kd
    .uniform_work_group_size: 1
    .uses_dynamic_stack: false
    .vgpr_count:     0
    .vgpr_spill_count: 0
    .wavefront_size: 64
  - .agpr_count:     0
    .args:
      - .offset:         0
        .size:           56
        .value_kind:     by_value
    .group_segment_fixed_size: 10240
    .kernarg_segment_align: 8
    .kernarg_segment_size: 56
    .language:       OpenCL C
    .language_version:
      - 2
      - 0
    .max_flat_workgroup_size: 512
    .name:           _ZN7rocprim17ROCPRIM_400000_NS6detail17trampoline_kernelINS0_14default_configENS1_35adjacent_difference_config_selectorILb1EjEEZNS1_24adjacent_difference_implIS3_Lb1ELb0EPKjPjN6thrust23THRUST_200600_302600_NS4plusIjEEEE10hipError_tPvRmT2_T3_mT4_P12ihipStream_tbEUlT_E_NS1_11comp_targetILNS1_3genE4ELNS1_11target_archE910ELNS1_3gpuE8ELNS1_3repE0EEENS1_30default_config_static_selectorELNS0_4arch9wavefront6targetE1EEEvT1_
    .private_segment_fixed_size: 0
    .sgpr_count:     33
    .sgpr_spill_count: 0
    .symbol:         _ZN7rocprim17ROCPRIM_400000_NS6detail17trampoline_kernelINS0_14default_configENS1_35adjacent_difference_config_selectorILb1EjEEZNS1_24adjacent_difference_implIS3_Lb1ELb0EPKjPjN6thrust23THRUST_200600_302600_NS4plusIjEEEE10hipError_tPvRmT2_T3_mT4_P12ihipStream_tbEUlT_E_NS1_11comp_targetILNS1_3genE4ELNS1_11target_archE910ELNS1_3gpuE8ELNS1_3repE0EEENS1_30default_config_static_selectorELNS0_4arch9wavefront6targetE1EEEvT1_.kd
    .uniform_work_group_size: 1
    .uses_dynamic_stack: false
    .vgpr_count:     24
    .vgpr_spill_count: 0
    .wavefront_size: 64
  - .agpr_count:     0
    .args:
      - .offset:         0
        .size:           56
        .value_kind:     by_value
    .group_segment_fixed_size: 0
    .kernarg_segment_align: 8
    .kernarg_segment_size: 56
    .language:       OpenCL C
    .language_version:
      - 2
      - 0
    .max_flat_workgroup_size: 1024
    .name:           _ZN7rocprim17ROCPRIM_400000_NS6detail17trampoline_kernelINS0_14default_configENS1_35adjacent_difference_config_selectorILb1EjEEZNS1_24adjacent_difference_implIS3_Lb1ELb0EPKjPjN6thrust23THRUST_200600_302600_NS4plusIjEEEE10hipError_tPvRmT2_T3_mT4_P12ihipStream_tbEUlT_E_NS1_11comp_targetILNS1_3genE3ELNS1_11target_archE908ELNS1_3gpuE7ELNS1_3repE0EEENS1_30default_config_static_selectorELNS0_4arch9wavefront6targetE1EEEvT1_
    .private_segment_fixed_size: 0
    .sgpr_count:     4
    .sgpr_spill_count: 0
    .symbol:         _ZN7rocprim17ROCPRIM_400000_NS6detail17trampoline_kernelINS0_14default_configENS1_35adjacent_difference_config_selectorILb1EjEEZNS1_24adjacent_difference_implIS3_Lb1ELb0EPKjPjN6thrust23THRUST_200600_302600_NS4plusIjEEEE10hipError_tPvRmT2_T3_mT4_P12ihipStream_tbEUlT_E_NS1_11comp_targetILNS1_3genE3ELNS1_11target_archE908ELNS1_3gpuE7ELNS1_3repE0EEENS1_30default_config_static_selectorELNS0_4arch9wavefront6targetE1EEEvT1_.kd
    .uniform_work_group_size: 1
    .uses_dynamic_stack: false
    .vgpr_count:     0
    .vgpr_spill_count: 0
    .wavefront_size: 64
  - .agpr_count:     0
    .args:
      - .offset:         0
        .size:           56
        .value_kind:     by_value
    .group_segment_fixed_size: 0
    .kernarg_segment_align: 8
    .kernarg_segment_size: 56
    .language:       OpenCL C
    .language_version:
      - 2
      - 0
    .max_flat_workgroup_size: 256
    .name:           _ZN7rocprim17ROCPRIM_400000_NS6detail17trampoline_kernelINS0_14default_configENS1_35adjacent_difference_config_selectorILb1EjEEZNS1_24adjacent_difference_implIS3_Lb1ELb0EPKjPjN6thrust23THRUST_200600_302600_NS4plusIjEEEE10hipError_tPvRmT2_T3_mT4_P12ihipStream_tbEUlT_E_NS1_11comp_targetILNS1_3genE2ELNS1_11target_archE906ELNS1_3gpuE6ELNS1_3repE0EEENS1_30default_config_static_selectorELNS0_4arch9wavefront6targetE1EEEvT1_
    .private_segment_fixed_size: 0
    .sgpr_count:     4
    .sgpr_spill_count: 0
    .symbol:         _ZN7rocprim17ROCPRIM_400000_NS6detail17trampoline_kernelINS0_14default_configENS1_35adjacent_difference_config_selectorILb1EjEEZNS1_24adjacent_difference_implIS3_Lb1ELb0EPKjPjN6thrust23THRUST_200600_302600_NS4plusIjEEEE10hipError_tPvRmT2_T3_mT4_P12ihipStream_tbEUlT_E_NS1_11comp_targetILNS1_3genE2ELNS1_11target_archE906ELNS1_3gpuE6ELNS1_3repE0EEENS1_30default_config_static_selectorELNS0_4arch9wavefront6targetE1EEEvT1_.kd
    .uniform_work_group_size: 1
    .uses_dynamic_stack: false
    .vgpr_count:     0
    .vgpr_spill_count: 0
    .wavefront_size: 64
  - .agpr_count:     0
    .args:
      - .offset:         0
        .size:           56
        .value_kind:     by_value
    .group_segment_fixed_size: 0
    .kernarg_segment_align: 8
    .kernarg_segment_size: 56
    .language:       OpenCL C
    .language_version:
      - 2
      - 0
    .max_flat_workgroup_size: 128
    .name:           _ZN7rocprim17ROCPRIM_400000_NS6detail17trampoline_kernelINS0_14default_configENS1_35adjacent_difference_config_selectorILb1EjEEZNS1_24adjacent_difference_implIS3_Lb1ELb0EPKjPjN6thrust23THRUST_200600_302600_NS4plusIjEEEE10hipError_tPvRmT2_T3_mT4_P12ihipStream_tbEUlT_E_NS1_11comp_targetILNS1_3genE9ELNS1_11target_archE1100ELNS1_3gpuE3ELNS1_3repE0EEENS1_30default_config_static_selectorELNS0_4arch9wavefront6targetE1EEEvT1_
    .private_segment_fixed_size: 0
    .sgpr_count:     4
    .sgpr_spill_count: 0
    .symbol:         _ZN7rocprim17ROCPRIM_400000_NS6detail17trampoline_kernelINS0_14default_configENS1_35adjacent_difference_config_selectorILb1EjEEZNS1_24adjacent_difference_implIS3_Lb1ELb0EPKjPjN6thrust23THRUST_200600_302600_NS4plusIjEEEE10hipError_tPvRmT2_T3_mT4_P12ihipStream_tbEUlT_E_NS1_11comp_targetILNS1_3genE9ELNS1_11target_archE1100ELNS1_3gpuE3ELNS1_3repE0EEENS1_30default_config_static_selectorELNS0_4arch9wavefront6targetE1EEEvT1_.kd
    .uniform_work_group_size: 1
    .uses_dynamic_stack: false
    .vgpr_count:     0
    .vgpr_spill_count: 0
    .wavefront_size: 64
  - .agpr_count:     0
    .args:
      - .offset:         0
        .size:           56
        .value_kind:     by_value
    .group_segment_fixed_size: 0
    .kernarg_segment_align: 8
    .kernarg_segment_size: 56
    .language:       OpenCL C
    .language_version:
      - 2
      - 0
    .max_flat_workgroup_size: 32
    .name:           _ZN7rocprim17ROCPRIM_400000_NS6detail17trampoline_kernelINS0_14default_configENS1_35adjacent_difference_config_selectorILb1EjEEZNS1_24adjacent_difference_implIS3_Lb1ELb0EPKjPjN6thrust23THRUST_200600_302600_NS4plusIjEEEE10hipError_tPvRmT2_T3_mT4_P12ihipStream_tbEUlT_E_NS1_11comp_targetILNS1_3genE8ELNS1_11target_archE1030ELNS1_3gpuE2ELNS1_3repE0EEENS1_30default_config_static_selectorELNS0_4arch9wavefront6targetE1EEEvT1_
    .private_segment_fixed_size: 0
    .sgpr_count:     4
    .sgpr_spill_count: 0
    .symbol:         _ZN7rocprim17ROCPRIM_400000_NS6detail17trampoline_kernelINS0_14default_configENS1_35adjacent_difference_config_selectorILb1EjEEZNS1_24adjacent_difference_implIS3_Lb1ELb0EPKjPjN6thrust23THRUST_200600_302600_NS4plusIjEEEE10hipError_tPvRmT2_T3_mT4_P12ihipStream_tbEUlT_E_NS1_11comp_targetILNS1_3genE8ELNS1_11target_archE1030ELNS1_3gpuE2ELNS1_3repE0EEENS1_30default_config_static_selectorELNS0_4arch9wavefront6targetE1EEEvT1_.kd
    .uniform_work_group_size: 1
    .uses_dynamic_stack: false
    .vgpr_count:     0
    .vgpr_spill_count: 0
    .wavefront_size: 64
  - .agpr_count:     0
    .args:
      - .offset:         0
        .size:           56
        .value_kind:     by_value
    .group_segment_fixed_size: 0
    .kernarg_segment_align: 8
    .kernarg_segment_size: 56
    .language:       OpenCL C
    .language_version:
      - 2
      - 0
    .max_flat_workgroup_size: 128
    .name:           _ZN7rocprim17ROCPRIM_400000_NS6detail17trampoline_kernelINS0_14default_configENS1_35adjacent_difference_config_selectorILb0EfEEZNS1_24adjacent_difference_implIS3_Lb0ELb0EPKfPfN6thrust23THRUST_200600_302600_NS4plusIfEEEE10hipError_tPvRmT2_T3_mT4_P12ihipStream_tbEUlT_E_NS1_11comp_targetILNS1_3genE0ELNS1_11target_archE4294967295ELNS1_3gpuE0ELNS1_3repE0EEENS1_30default_config_static_selectorELNS0_4arch9wavefront6targetE1EEEvT1_
    .private_segment_fixed_size: 0
    .sgpr_count:     4
    .sgpr_spill_count: 0
    .symbol:         _ZN7rocprim17ROCPRIM_400000_NS6detail17trampoline_kernelINS0_14default_configENS1_35adjacent_difference_config_selectorILb0EfEEZNS1_24adjacent_difference_implIS3_Lb0ELb0EPKfPfN6thrust23THRUST_200600_302600_NS4plusIfEEEE10hipError_tPvRmT2_T3_mT4_P12ihipStream_tbEUlT_E_NS1_11comp_targetILNS1_3genE0ELNS1_11target_archE4294967295ELNS1_3gpuE0ELNS1_3repE0EEENS1_30default_config_static_selectorELNS0_4arch9wavefront6targetE1EEEvT1_.kd
    .uniform_work_group_size: 1
    .uses_dynamic_stack: false
    .vgpr_count:     0
    .vgpr_spill_count: 0
    .wavefront_size: 64
  - .agpr_count:     0
    .args:
      - .offset:         0
        .size:           56
        .value_kind:     by_value
    .group_segment_fixed_size: 0
    .kernarg_segment_align: 8
    .kernarg_segment_size: 56
    .language:       OpenCL C
    .language_version:
      - 2
      - 0
    .max_flat_workgroup_size: 1024
    .name:           _ZN7rocprim17ROCPRIM_400000_NS6detail17trampoline_kernelINS0_14default_configENS1_35adjacent_difference_config_selectorILb0EfEEZNS1_24adjacent_difference_implIS3_Lb0ELb0EPKfPfN6thrust23THRUST_200600_302600_NS4plusIfEEEE10hipError_tPvRmT2_T3_mT4_P12ihipStream_tbEUlT_E_NS1_11comp_targetILNS1_3genE10ELNS1_11target_archE1201ELNS1_3gpuE5ELNS1_3repE0EEENS1_30default_config_static_selectorELNS0_4arch9wavefront6targetE1EEEvT1_
    .private_segment_fixed_size: 0
    .sgpr_count:     4
    .sgpr_spill_count: 0
    .symbol:         _ZN7rocprim17ROCPRIM_400000_NS6detail17trampoline_kernelINS0_14default_configENS1_35adjacent_difference_config_selectorILb0EfEEZNS1_24adjacent_difference_implIS3_Lb0ELb0EPKfPfN6thrust23THRUST_200600_302600_NS4plusIfEEEE10hipError_tPvRmT2_T3_mT4_P12ihipStream_tbEUlT_E_NS1_11comp_targetILNS1_3genE10ELNS1_11target_archE1201ELNS1_3gpuE5ELNS1_3repE0EEENS1_30default_config_static_selectorELNS0_4arch9wavefront6targetE1EEEvT1_.kd
    .uniform_work_group_size: 1
    .uses_dynamic_stack: false
    .vgpr_count:     0
    .vgpr_spill_count: 0
    .wavefront_size: 64
  - .agpr_count:     0
    .args:
      - .offset:         0
        .size:           56
        .value_kind:     by_value
    .group_segment_fixed_size: 0
    .kernarg_segment_align: 8
    .kernarg_segment_size: 56
    .language:       OpenCL C
    .language_version:
      - 2
      - 0
    .max_flat_workgroup_size: 64
    .name:           _ZN7rocprim17ROCPRIM_400000_NS6detail17trampoline_kernelINS0_14default_configENS1_35adjacent_difference_config_selectorILb0EfEEZNS1_24adjacent_difference_implIS3_Lb0ELb0EPKfPfN6thrust23THRUST_200600_302600_NS4plusIfEEEE10hipError_tPvRmT2_T3_mT4_P12ihipStream_tbEUlT_E_NS1_11comp_targetILNS1_3genE5ELNS1_11target_archE942ELNS1_3gpuE9ELNS1_3repE0EEENS1_30default_config_static_selectorELNS0_4arch9wavefront6targetE1EEEvT1_
    .private_segment_fixed_size: 0
    .sgpr_count:     4
    .sgpr_spill_count: 0
    .symbol:         _ZN7rocprim17ROCPRIM_400000_NS6detail17trampoline_kernelINS0_14default_configENS1_35adjacent_difference_config_selectorILb0EfEEZNS1_24adjacent_difference_implIS3_Lb0ELb0EPKfPfN6thrust23THRUST_200600_302600_NS4plusIfEEEE10hipError_tPvRmT2_T3_mT4_P12ihipStream_tbEUlT_E_NS1_11comp_targetILNS1_3genE5ELNS1_11target_archE942ELNS1_3gpuE9ELNS1_3repE0EEENS1_30default_config_static_selectorELNS0_4arch9wavefront6targetE1EEEvT1_.kd
    .uniform_work_group_size: 1
    .uses_dynamic_stack: false
    .vgpr_count:     0
    .vgpr_spill_count: 0
    .wavefront_size: 64
  - .agpr_count:     0
    .args:
      - .offset:         0
        .size:           56
        .value_kind:     by_value
    .group_segment_fixed_size: 10240
    .kernarg_segment_align: 8
    .kernarg_segment_size: 56
    .language:       OpenCL C
    .language_version:
      - 2
      - 0
    .max_flat_workgroup_size: 512
    .name:           _ZN7rocprim17ROCPRIM_400000_NS6detail17trampoline_kernelINS0_14default_configENS1_35adjacent_difference_config_selectorILb0EfEEZNS1_24adjacent_difference_implIS3_Lb0ELb0EPKfPfN6thrust23THRUST_200600_302600_NS4plusIfEEEE10hipError_tPvRmT2_T3_mT4_P12ihipStream_tbEUlT_E_NS1_11comp_targetILNS1_3genE4ELNS1_11target_archE910ELNS1_3gpuE8ELNS1_3repE0EEENS1_30default_config_static_selectorELNS0_4arch9wavefront6targetE1EEEvT1_
    .private_segment_fixed_size: 0
    .sgpr_count:     27
    .sgpr_spill_count: 0
    .symbol:         _ZN7rocprim17ROCPRIM_400000_NS6detail17trampoline_kernelINS0_14default_configENS1_35adjacent_difference_config_selectorILb0EfEEZNS1_24adjacent_difference_implIS3_Lb0ELb0EPKfPfN6thrust23THRUST_200600_302600_NS4plusIfEEEE10hipError_tPvRmT2_T3_mT4_P12ihipStream_tbEUlT_E_NS1_11comp_targetILNS1_3genE4ELNS1_11target_archE910ELNS1_3gpuE8ELNS1_3repE0EEENS1_30default_config_static_selectorELNS0_4arch9wavefront6targetE1EEEvT1_.kd
    .uniform_work_group_size: 1
    .uses_dynamic_stack: false
    .vgpr_count:     18
    .vgpr_spill_count: 0
    .wavefront_size: 64
  - .agpr_count:     0
    .args:
      - .offset:         0
        .size:           56
        .value_kind:     by_value
    .group_segment_fixed_size: 0
    .kernarg_segment_align: 8
    .kernarg_segment_size: 56
    .language:       OpenCL C
    .language_version:
      - 2
      - 0
    .max_flat_workgroup_size: 128
    .name:           _ZN7rocprim17ROCPRIM_400000_NS6detail17trampoline_kernelINS0_14default_configENS1_35adjacent_difference_config_selectorILb0EfEEZNS1_24adjacent_difference_implIS3_Lb0ELb0EPKfPfN6thrust23THRUST_200600_302600_NS4plusIfEEEE10hipError_tPvRmT2_T3_mT4_P12ihipStream_tbEUlT_E_NS1_11comp_targetILNS1_3genE3ELNS1_11target_archE908ELNS1_3gpuE7ELNS1_3repE0EEENS1_30default_config_static_selectorELNS0_4arch9wavefront6targetE1EEEvT1_
    .private_segment_fixed_size: 0
    .sgpr_count:     4
    .sgpr_spill_count: 0
    .symbol:         _ZN7rocprim17ROCPRIM_400000_NS6detail17trampoline_kernelINS0_14default_configENS1_35adjacent_difference_config_selectorILb0EfEEZNS1_24adjacent_difference_implIS3_Lb0ELb0EPKfPfN6thrust23THRUST_200600_302600_NS4plusIfEEEE10hipError_tPvRmT2_T3_mT4_P12ihipStream_tbEUlT_E_NS1_11comp_targetILNS1_3genE3ELNS1_11target_archE908ELNS1_3gpuE7ELNS1_3repE0EEENS1_30default_config_static_selectorELNS0_4arch9wavefront6targetE1EEEvT1_.kd
    .uniform_work_group_size: 1
    .uses_dynamic_stack: false
    .vgpr_count:     0
    .vgpr_spill_count: 0
    .wavefront_size: 64
  - .agpr_count:     0
    .args:
      - .offset:         0
        .size:           56
        .value_kind:     by_value
    .group_segment_fixed_size: 0
    .kernarg_segment_align: 8
    .kernarg_segment_size: 56
    .language:       OpenCL C
    .language_version:
      - 2
      - 0
    .max_flat_workgroup_size: 1024
    .name:           _ZN7rocprim17ROCPRIM_400000_NS6detail17trampoline_kernelINS0_14default_configENS1_35adjacent_difference_config_selectorILb0EfEEZNS1_24adjacent_difference_implIS3_Lb0ELb0EPKfPfN6thrust23THRUST_200600_302600_NS4plusIfEEEE10hipError_tPvRmT2_T3_mT4_P12ihipStream_tbEUlT_E_NS1_11comp_targetILNS1_3genE2ELNS1_11target_archE906ELNS1_3gpuE6ELNS1_3repE0EEENS1_30default_config_static_selectorELNS0_4arch9wavefront6targetE1EEEvT1_
    .private_segment_fixed_size: 0
    .sgpr_count:     4
    .sgpr_spill_count: 0
    .symbol:         _ZN7rocprim17ROCPRIM_400000_NS6detail17trampoline_kernelINS0_14default_configENS1_35adjacent_difference_config_selectorILb0EfEEZNS1_24adjacent_difference_implIS3_Lb0ELb0EPKfPfN6thrust23THRUST_200600_302600_NS4plusIfEEEE10hipError_tPvRmT2_T3_mT4_P12ihipStream_tbEUlT_E_NS1_11comp_targetILNS1_3genE2ELNS1_11target_archE906ELNS1_3gpuE6ELNS1_3repE0EEENS1_30default_config_static_selectorELNS0_4arch9wavefront6targetE1EEEvT1_.kd
    .uniform_work_group_size: 1
    .uses_dynamic_stack: false
    .vgpr_count:     0
    .vgpr_spill_count: 0
    .wavefront_size: 64
  - .agpr_count:     0
    .args:
      - .offset:         0
        .size:           56
        .value_kind:     by_value
    .group_segment_fixed_size: 0
    .kernarg_segment_align: 8
    .kernarg_segment_size: 56
    .language:       OpenCL C
    .language_version:
      - 2
      - 0
    .max_flat_workgroup_size: 1024
    .name:           _ZN7rocprim17ROCPRIM_400000_NS6detail17trampoline_kernelINS0_14default_configENS1_35adjacent_difference_config_selectorILb0EfEEZNS1_24adjacent_difference_implIS3_Lb0ELb0EPKfPfN6thrust23THRUST_200600_302600_NS4plusIfEEEE10hipError_tPvRmT2_T3_mT4_P12ihipStream_tbEUlT_E_NS1_11comp_targetILNS1_3genE9ELNS1_11target_archE1100ELNS1_3gpuE3ELNS1_3repE0EEENS1_30default_config_static_selectorELNS0_4arch9wavefront6targetE1EEEvT1_
    .private_segment_fixed_size: 0
    .sgpr_count:     4
    .sgpr_spill_count: 0
    .symbol:         _ZN7rocprim17ROCPRIM_400000_NS6detail17trampoline_kernelINS0_14default_configENS1_35adjacent_difference_config_selectorILb0EfEEZNS1_24adjacent_difference_implIS3_Lb0ELb0EPKfPfN6thrust23THRUST_200600_302600_NS4plusIfEEEE10hipError_tPvRmT2_T3_mT4_P12ihipStream_tbEUlT_E_NS1_11comp_targetILNS1_3genE9ELNS1_11target_archE1100ELNS1_3gpuE3ELNS1_3repE0EEENS1_30default_config_static_selectorELNS0_4arch9wavefront6targetE1EEEvT1_.kd
    .uniform_work_group_size: 1
    .uses_dynamic_stack: false
    .vgpr_count:     0
    .vgpr_spill_count: 0
    .wavefront_size: 64
  - .agpr_count:     0
    .args:
      - .offset:         0
        .size:           56
        .value_kind:     by_value
    .group_segment_fixed_size: 0
    .kernarg_segment_align: 8
    .kernarg_segment_size: 56
    .language:       OpenCL C
    .language_version:
      - 2
      - 0
    .max_flat_workgroup_size: 1024
    .name:           _ZN7rocprim17ROCPRIM_400000_NS6detail17trampoline_kernelINS0_14default_configENS1_35adjacent_difference_config_selectorILb0EfEEZNS1_24adjacent_difference_implIS3_Lb0ELb0EPKfPfN6thrust23THRUST_200600_302600_NS4plusIfEEEE10hipError_tPvRmT2_T3_mT4_P12ihipStream_tbEUlT_E_NS1_11comp_targetILNS1_3genE8ELNS1_11target_archE1030ELNS1_3gpuE2ELNS1_3repE0EEENS1_30default_config_static_selectorELNS0_4arch9wavefront6targetE1EEEvT1_
    .private_segment_fixed_size: 0
    .sgpr_count:     4
    .sgpr_spill_count: 0
    .symbol:         _ZN7rocprim17ROCPRIM_400000_NS6detail17trampoline_kernelINS0_14default_configENS1_35adjacent_difference_config_selectorILb0EfEEZNS1_24adjacent_difference_implIS3_Lb0ELb0EPKfPfN6thrust23THRUST_200600_302600_NS4plusIfEEEE10hipError_tPvRmT2_T3_mT4_P12ihipStream_tbEUlT_E_NS1_11comp_targetILNS1_3genE8ELNS1_11target_archE1030ELNS1_3gpuE2ELNS1_3repE0EEENS1_30default_config_static_selectorELNS0_4arch9wavefront6targetE1EEEvT1_.kd
    .uniform_work_group_size: 1
    .uses_dynamic_stack: false
    .vgpr_count:     0
    .vgpr_spill_count: 0
    .wavefront_size: 64
  - .agpr_count:     0
    .args:
      - .offset:         0
        .size:           56
        .value_kind:     by_value
    .group_segment_fixed_size: 0
    .kernarg_segment_align: 8
    .kernarg_segment_size: 56
    .language:       OpenCL C
    .language_version:
      - 2
      - 0
    .max_flat_workgroup_size: 128
    .name:           _ZN7rocprim17ROCPRIM_400000_NS6detail17trampoline_kernelINS0_14default_configENS1_25transform_config_selectorIfLb0EEEZNS1_14transform_implILb0ES3_S5_NS0_18transform_iteratorINS0_17counting_iteratorImlEEZNS1_24adjacent_difference_implIS3_Lb1ELb0EPKfPfN6thrust23THRUST_200600_302600_NS4plusIfEEEE10hipError_tPvRmT2_T3_mT4_P12ihipStream_tbEUlmE_fEESD_NS0_8identityIvEEEESI_SL_SM_mSN_SP_bEUlT_E_NS1_11comp_targetILNS1_3genE0ELNS1_11target_archE4294967295ELNS1_3gpuE0ELNS1_3repE0EEENS1_30default_config_static_selectorELNS0_4arch9wavefront6targetE1EEEvT1_
    .private_segment_fixed_size: 0
    .sgpr_count:     4
    .sgpr_spill_count: 0
    .symbol:         _ZN7rocprim17ROCPRIM_400000_NS6detail17trampoline_kernelINS0_14default_configENS1_25transform_config_selectorIfLb0EEEZNS1_14transform_implILb0ES3_S5_NS0_18transform_iteratorINS0_17counting_iteratorImlEEZNS1_24adjacent_difference_implIS3_Lb1ELb0EPKfPfN6thrust23THRUST_200600_302600_NS4plusIfEEEE10hipError_tPvRmT2_T3_mT4_P12ihipStream_tbEUlmE_fEESD_NS0_8identityIvEEEESI_SL_SM_mSN_SP_bEUlT_E_NS1_11comp_targetILNS1_3genE0ELNS1_11target_archE4294967295ELNS1_3gpuE0ELNS1_3repE0EEENS1_30default_config_static_selectorELNS0_4arch9wavefront6targetE1EEEvT1_.kd
    .uniform_work_group_size: 1
    .uses_dynamic_stack: false
    .vgpr_count:     0
    .vgpr_spill_count: 0
    .wavefront_size: 64
  - .agpr_count:     0
    .args:
      - .offset:         0
        .size:           56
        .value_kind:     by_value
    .group_segment_fixed_size: 0
    .kernarg_segment_align: 8
    .kernarg_segment_size: 56
    .language:       OpenCL C
    .language_version:
      - 2
      - 0
    .max_flat_workgroup_size: 256
    .name:           _ZN7rocprim17ROCPRIM_400000_NS6detail17trampoline_kernelINS0_14default_configENS1_25transform_config_selectorIfLb0EEEZNS1_14transform_implILb0ES3_S5_NS0_18transform_iteratorINS0_17counting_iteratorImlEEZNS1_24adjacent_difference_implIS3_Lb1ELb0EPKfPfN6thrust23THRUST_200600_302600_NS4plusIfEEEE10hipError_tPvRmT2_T3_mT4_P12ihipStream_tbEUlmE_fEESD_NS0_8identityIvEEEESI_SL_SM_mSN_SP_bEUlT_E_NS1_11comp_targetILNS1_3genE5ELNS1_11target_archE942ELNS1_3gpuE9ELNS1_3repE0EEENS1_30default_config_static_selectorELNS0_4arch9wavefront6targetE1EEEvT1_
    .private_segment_fixed_size: 0
    .sgpr_count:     4
    .sgpr_spill_count: 0
    .symbol:         _ZN7rocprim17ROCPRIM_400000_NS6detail17trampoline_kernelINS0_14default_configENS1_25transform_config_selectorIfLb0EEEZNS1_14transform_implILb0ES3_S5_NS0_18transform_iteratorINS0_17counting_iteratorImlEEZNS1_24adjacent_difference_implIS3_Lb1ELb0EPKfPfN6thrust23THRUST_200600_302600_NS4plusIfEEEE10hipError_tPvRmT2_T3_mT4_P12ihipStream_tbEUlmE_fEESD_NS0_8identityIvEEEESI_SL_SM_mSN_SP_bEUlT_E_NS1_11comp_targetILNS1_3genE5ELNS1_11target_archE942ELNS1_3gpuE9ELNS1_3repE0EEENS1_30default_config_static_selectorELNS0_4arch9wavefront6targetE1EEEvT1_.kd
    .uniform_work_group_size: 1
    .uses_dynamic_stack: false
    .vgpr_count:     0
    .vgpr_spill_count: 0
    .wavefront_size: 64
  - .agpr_count:     0
    .args:
      - .offset:         0
        .size:           56
        .value_kind:     by_value
      - .offset:         56
        .size:           4
        .value_kind:     hidden_block_count_x
      - .offset:         60
        .size:           4
        .value_kind:     hidden_block_count_y
      - .offset:         64
        .size:           4
        .value_kind:     hidden_block_count_z
      - .offset:         68
        .size:           2
        .value_kind:     hidden_group_size_x
      - .offset:         70
        .size:           2
        .value_kind:     hidden_group_size_y
      - .offset:         72
        .size:           2
        .value_kind:     hidden_group_size_z
      - .offset:         74
        .size:           2
        .value_kind:     hidden_remainder_x
      - .offset:         76
        .size:           2
        .value_kind:     hidden_remainder_y
      - .offset:         78
        .size:           2
        .value_kind:     hidden_remainder_z
      - .offset:         96
        .size:           8
        .value_kind:     hidden_global_offset_x
      - .offset:         104
        .size:           8
        .value_kind:     hidden_global_offset_y
      - .offset:         112
        .size:           8
        .value_kind:     hidden_global_offset_z
      - .offset:         120
        .size:           2
        .value_kind:     hidden_grid_dims
    .group_segment_fixed_size: 0
    .kernarg_segment_align: 8
    .kernarg_segment_size: 312
    .language:       OpenCL C
    .language_version:
      - 2
      - 0
    .max_flat_workgroup_size: 1024
    .name:           _ZN7rocprim17ROCPRIM_400000_NS6detail17trampoline_kernelINS0_14default_configENS1_25transform_config_selectorIfLb0EEEZNS1_14transform_implILb0ES3_S5_NS0_18transform_iteratorINS0_17counting_iteratorImlEEZNS1_24adjacent_difference_implIS3_Lb1ELb0EPKfPfN6thrust23THRUST_200600_302600_NS4plusIfEEEE10hipError_tPvRmT2_T3_mT4_P12ihipStream_tbEUlmE_fEESD_NS0_8identityIvEEEESI_SL_SM_mSN_SP_bEUlT_E_NS1_11comp_targetILNS1_3genE4ELNS1_11target_archE910ELNS1_3gpuE8ELNS1_3repE0EEENS1_30default_config_static_selectorELNS0_4arch9wavefront6targetE1EEEvT1_
    .private_segment_fixed_size: 0
    .sgpr_count:     22
    .sgpr_spill_count: 0
    .symbol:         _ZN7rocprim17ROCPRIM_400000_NS6detail17trampoline_kernelINS0_14default_configENS1_25transform_config_selectorIfLb0EEEZNS1_14transform_implILb0ES3_S5_NS0_18transform_iteratorINS0_17counting_iteratorImlEEZNS1_24adjacent_difference_implIS3_Lb1ELb0EPKfPfN6thrust23THRUST_200600_302600_NS4plusIfEEEE10hipError_tPvRmT2_T3_mT4_P12ihipStream_tbEUlmE_fEESD_NS0_8identityIvEEEESI_SL_SM_mSN_SP_bEUlT_E_NS1_11comp_targetILNS1_3genE4ELNS1_11target_archE910ELNS1_3gpuE8ELNS1_3repE0EEENS1_30default_config_static_selectorELNS0_4arch9wavefront6targetE1EEEvT1_.kd
    .uniform_work_group_size: 1
    .uses_dynamic_stack: false
    .vgpr_count:     8
    .vgpr_spill_count: 0
    .wavefront_size: 64
  - .agpr_count:     0
    .args:
      - .offset:         0
        .size:           56
        .value_kind:     by_value
    .group_segment_fixed_size: 0
    .kernarg_segment_align: 8
    .kernarg_segment_size: 56
    .language:       OpenCL C
    .language_version:
      - 2
      - 0
    .max_flat_workgroup_size: 128
    .name:           _ZN7rocprim17ROCPRIM_400000_NS6detail17trampoline_kernelINS0_14default_configENS1_25transform_config_selectorIfLb0EEEZNS1_14transform_implILb0ES3_S5_NS0_18transform_iteratorINS0_17counting_iteratorImlEEZNS1_24adjacent_difference_implIS3_Lb1ELb0EPKfPfN6thrust23THRUST_200600_302600_NS4plusIfEEEE10hipError_tPvRmT2_T3_mT4_P12ihipStream_tbEUlmE_fEESD_NS0_8identityIvEEEESI_SL_SM_mSN_SP_bEUlT_E_NS1_11comp_targetILNS1_3genE3ELNS1_11target_archE908ELNS1_3gpuE7ELNS1_3repE0EEENS1_30default_config_static_selectorELNS0_4arch9wavefront6targetE1EEEvT1_
    .private_segment_fixed_size: 0
    .sgpr_count:     4
    .sgpr_spill_count: 0
    .symbol:         _ZN7rocprim17ROCPRIM_400000_NS6detail17trampoline_kernelINS0_14default_configENS1_25transform_config_selectorIfLb0EEEZNS1_14transform_implILb0ES3_S5_NS0_18transform_iteratorINS0_17counting_iteratorImlEEZNS1_24adjacent_difference_implIS3_Lb1ELb0EPKfPfN6thrust23THRUST_200600_302600_NS4plusIfEEEE10hipError_tPvRmT2_T3_mT4_P12ihipStream_tbEUlmE_fEESD_NS0_8identityIvEEEESI_SL_SM_mSN_SP_bEUlT_E_NS1_11comp_targetILNS1_3genE3ELNS1_11target_archE908ELNS1_3gpuE7ELNS1_3repE0EEENS1_30default_config_static_selectorELNS0_4arch9wavefront6targetE1EEEvT1_.kd
    .uniform_work_group_size: 1
    .uses_dynamic_stack: false
    .vgpr_count:     0
    .vgpr_spill_count: 0
    .wavefront_size: 64
  - .agpr_count:     0
    .args:
      - .offset:         0
        .size:           56
        .value_kind:     by_value
    .group_segment_fixed_size: 0
    .kernarg_segment_align: 8
    .kernarg_segment_size: 56
    .language:       OpenCL C
    .language_version:
      - 2
      - 0
    .max_flat_workgroup_size: 1024
    .name:           _ZN7rocprim17ROCPRIM_400000_NS6detail17trampoline_kernelINS0_14default_configENS1_25transform_config_selectorIfLb0EEEZNS1_14transform_implILb0ES3_S5_NS0_18transform_iteratorINS0_17counting_iteratorImlEEZNS1_24adjacent_difference_implIS3_Lb1ELb0EPKfPfN6thrust23THRUST_200600_302600_NS4plusIfEEEE10hipError_tPvRmT2_T3_mT4_P12ihipStream_tbEUlmE_fEESD_NS0_8identityIvEEEESI_SL_SM_mSN_SP_bEUlT_E_NS1_11comp_targetILNS1_3genE2ELNS1_11target_archE906ELNS1_3gpuE6ELNS1_3repE0EEENS1_30default_config_static_selectorELNS0_4arch9wavefront6targetE1EEEvT1_
    .private_segment_fixed_size: 0
    .sgpr_count:     4
    .sgpr_spill_count: 0
    .symbol:         _ZN7rocprim17ROCPRIM_400000_NS6detail17trampoline_kernelINS0_14default_configENS1_25transform_config_selectorIfLb0EEEZNS1_14transform_implILb0ES3_S5_NS0_18transform_iteratorINS0_17counting_iteratorImlEEZNS1_24adjacent_difference_implIS3_Lb1ELb0EPKfPfN6thrust23THRUST_200600_302600_NS4plusIfEEEE10hipError_tPvRmT2_T3_mT4_P12ihipStream_tbEUlmE_fEESD_NS0_8identityIvEEEESI_SL_SM_mSN_SP_bEUlT_E_NS1_11comp_targetILNS1_3genE2ELNS1_11target_archE906ELNS1_3gpuE6ELNS1_3repE0EEENS1_30default_config_static_selectorELNS0_4arch9wavefront6targetE1EEEvT1_.kd
    .uniform_work_group_size: 1
    .uses_dynamic_stack: false
    .vgpr_count:     0
    .vgpr_spill_count: 0
    .wavefront_size: 64
  - .agpr_count:     0
    .args:
      - .offset:         0
        .size:           56
        .value_kind:     by_value
    .group_segment_fixed_size: 0
    .kernarg_segment_align: 8
    .kernarg_segment_size: 56
    .language:       OpenCL C
    .language_version:
      - 2
      - 0
    .max_flat_workgroup_size: 512
    .name:           _ZN7rocprim17ROCPRIM_400000_NS6detail17trampoline_kernelINS0_14default_configENS1_25transform_config_selectorIfLb0EEEZNS1_14transform_implILb0ES3_S5_NS0_18transform_iteratorINS0_17counting_iteratorImlEEZNS1_24adjacent_difference_implIS3_Lb1ELb0EPKfPfN6thrust23THRUST_200600_302600_NS4plusIfEEEE10hipError_tPvRmT2_T3_mT4_P12ihipStream_tbEUlmE_fEESD_NS0_8identityIvEEEESI_SL_SM_mSN_SP_bEUlT_E_NS1_11comp_targetILNS1_3genE10ELNS1_11target_archE1201ELNS1_3gpuE5ELNS1_3repE0EEENS1_30default_config_static_selectorELNS0_4arch9wavefront6targetE1EEEvT1_
    .private_segment_fixed_size: 0
    .sgpr_count:     4
    .sgpr_spill_count: 0
    .symbol:         _ZN7rocprim17ROCPRIM_400000_NS6detail17trampoline_kernelINS0_14default_configENS1_25transform_config_selectorIfLb0EEEZNS1_14transform_implILb0ES3_S5_NS0_18transform_iteratorINS0_17counting_iteratorImlEEZNS1_24adjacent_difference_implIS3_Lb1ELb0EPKfPfN6thrust23THRUST_200600_302600_NS4plusIfEEEE10hipError_tPvRmT2_T3_mT4_P12ihipStream_tbEUlmE_fEESD_NS0_8identityIvEEEESI_SL_SM_mSN_SP_bEUlT_E_NS1_11comp_targetILNS1_3genE10ELNS1_11target_archE1201ELNS1_3gpuE5ELNS1_3repE0EEENS1_30default_config_static_selectorELNS0_4arch9wavefront6targetE1EEEvT1_.kd
    .uniform_work_group_size: 1
    .uses_dynamic_stack: false
    .vgpr_count:     0
    .vgpr_spill_count: 0
    .wavefront_size: 64
  - .agpr_count:     0
    .args:
      - .offset:         0
        .size:           56
        .value_kind:     by_value
    .group_segment_fixed_size: 0
    .kernarg_segment_align: 8
    .kernarg_segment_size: 56
    .language:       OpenCL C
    .language_version:
      - 2
      - 0
    .max_flat_workgroup_size: 512
    .name:           _ZN7rocprim17ROCPRIM_400000_NS6detail17trampoline_kernelINS0_14default_configENS1_25transform_config_selectorIfLb0EEEZNS1_14transform_implILb0ES3_S5_NS0_18transform_iteratorINS0_17counting_iteratorImlEEZNS1_24adjacent_difference_implIS3_Lb1ELb0EPKfPfN6thrust23THRUST_200600_302600_NS4plusIfEEEE10hipError_tPvRmT2_T3_mT4_P12ihipStream_tbEUlmE_fEESD_NS0_8identityIvEEEESI_SL_SM_mSN_SP_bEUlT_E_NS1_11comp_targetILNS1_3genE10ELNS1_11target_archE1200ELNS1_3gpuE4ELNS1_3repE0EEENS1_30default_config_static_selectorELNS0_4arch9wavefront6targetE1EEEvT1_
    .private_segment_fixed_size: 0
    .sgpr_count:     4
    .sgpr_spill_count: 0
    .symbol:         _ZN7rocprim17ROCPRIM_400000_NS6detail17trampoline_kernelINS0_14default_configENS1_25transform_config_selectorIfLb0EEEZNS1_14transform_implILb0ES3_S5_NS0_18transform_iteratorINS0_17counting_iteratorImlEEZNS1_24adjacent_difference_implIS3_Lb1ELb0EPKfPfN6thrust23THRUST_200600_302600_NS4plusIfEEEE10hipError_tPvRmT2_T3_mT4_P12ihipStream_tbEUlmE_fEESD_NS0_8identityIvEEEESI_SL_SM_mSN_SP_bEUlT_E_NS1_11comp_targetILNS1_3genE10ELNS1_11target_archE1200ELNS1_3gpuE4ELNS1_3repE0EEENS1_30default_config_static_selectorELNS0_4arch9wavefront6targetE1EEEvT1_.kd
    .uniform_work_group_size: 1
    .uses_dynamic_stack: false
    .vgpr_count:     0
    .vgpr_spill_count: 0
    .wavefront_size: 64
  - .agpr_count:     0
    .args:
      - .offset:         0
        .size:           56
        .value_kind:     by_value
    .group_segment_fixed_size: 0
    .kernarg_segment_align: 8
    .kernarg_segment_size: 56
    .language:       OpenCL C
    .language_version:
      - 2
      - 0
    .max_flat_workgroup_size: 1024
    .name:           _ZN7rocprim17ROCPRIM_400000_NS6detail17trampoline_kernelINS0_14default_configENS1_25transform_config_selectorIfLb0EEEZNS1_14transform_implILb0ES3_S5_NS0_18transform_iteratorINS0_17counting_iteratorImlEEZNS1_24adjacent_difference_implIS3_Lb1ELb0EPKfPfN6thrust23THRUST_200600_302600_NS4plusIfEEEE10hipError_tPvRmT2_T3_mT4_P12ihipStream_tbEUlmE_fEESD_NS0_8identityIvEEEESI_SL_SM_mSN_SP_bEUlT_E_NS1_11comp_targetILNS1_3genE9ELNS1_11target_archE1100ELNS1_3gpuE3ELNS1_3repE0EEENS1_30default_config_static_selectorELNS0_4arch9wavefront6targetE1EEEvT1_
    .private_segment_fixed_size: 0
    .sgpr_count:     4
    .sgpr_spill_count: 0
    .symbol:         _ZN7rocprim17ROCPRIM_400000_NS6detail17trampoline_kernelINS0_14default_configENS1_25transform_config_selectorIfLb0EEEZNS1_14transform_implILb0ES3_S5_NS0_18transform_iteratorINS0_17counting_iteratorImlEEZNS1_24adjacent_difference_implIS3_Lb1ELb0EPKfPfN6thrust23THRUST_200600_302600_NS4plusIfEEEE10hipError_tPvRmT2_T3_mT4_P12ihipStream_tbEUlmE_fEESD_NS0_8identityIvEEEESI_SL_SM_mSN_SP_bEUlT_E_NS1_11comp_targetILNS1_3genE9ELNS1_11target_archE1100ELNS1_3gpuE3ELNS1_3repE0EEENS1_30default_config_static_selectorELNS0_4arch9wavefront6targetE1EEEvT1_.kd
    .uniform_work_group_size: 1
    .uses_dynamic_stack: false
    .vgpr_count:     0
    .vgpr_spill_count: 0
    .wavefront_size: 64
  - .agpr_count:     0
    .args:
      - .offset:         0
        .size:           56
        .value_kind:     by_value
    .group_segment_fixed_size: 0
    .kernarg_segment_align: 8
    .kernarg_segment_size: 56
    .language:       OpenCL C
    .language_version:
      - 2
      - 0
    .max_flat_workgroup_size: 256
    .name:           _ZN7rocprim17ROCPRIM_400000_NS6detail17trampoline_kernelINS0_14default_configENS1_25transform_config_selectorIfLb0EEEZNS1_14transform_implILb0ES3_S5_NS0_18transform_iteratorINS0_17counting_iteratorImlEEZNS1_24adjacent_difference_implIS3_Lb1ELb0EPKfPfN6thrust23THRUST_200600_302600_NS4plusIfEEEE10hipError_tPvRmT2_T3_mT4_P12ihipStream_tbEUlmE_fEESD_NS0_8identityIvEEEESI_SL_SM_mSN_SP_bEUlT_E_NS1_11comp_targetILNS1_3genE8ELNS1_11target_archE1030ELNS1_3gpuE2ELNS1_3repE0EEENS1_30default_config_static_selectorELNS0_4arch9wavefront6targetE1EEEvT1_
    .private_segment_fixed_size: 0
    .sgpr_count:     4
    .sgpr_spill_count: 0
    .symbol:         _ZN7rocprim17ROCPRIM_400000_NS6detail17trampoline_kernelINS0_14default_configENS1_25transform_config_selectorIfLb0EEEZNS1_14transform_implILb0ES3_S5_NS0_18transform_iteratorINS0_17counting_iteratorImlEEZNS1_24adjacent_difference_implIS3_Lb1ELb0EPKfPfN6thrust23THRUST_200600_302600_NS4plusIfEEEE10hipError_tPvRmT2_T3_mT4_P12ihipStream_tbEUlmE_fEESD_NS0_8identityIvEEEESI_SL_SM_mSN_SP_bEUlT_E_NS1_11comp_targetILNS1_3genE8ELNS1_11target_archE1030ELNS1_3gpuE2ELNS1_3repE0EEENS1_30default_config_static_selectorELNS0_4arch9wavefront6targetE1EEEvT1_.kd
    .uniform_work_group_size: 1
    .uses_dynamic_stack: false
    .vgpr_count:     0
    .vgpr_spill_count: 0
    .wavefront_size: 64
  - .agpr_count:     0
    .args:
      - .offset:         0
        .size:           56
        .value_kind:     by_value
    .group_segment_fixed_size: 0
    .kernarg_segment_align: 8
    .kernarg_segment_size: 56
    .language:       OpenCL C
    .language_version:
      - 2
      - 0
    .max_flat_workgroup_size: 1024
    .name:           _ZN7rocprim17ROCPRIM_400000_NS6detail17trampoline_kernelINS0_14default_configENS1_35adjacent_difference_config_selectorILb1EfEEZNS1_24adjacent_difference_implIS3_Lb1ELb0EPKfPfN6thrust23THRUST_200600_302600_NS4plusIfEEEE10hipError_tPvRmT2_T3_mT4_P12ihipStream_tbEUlT_E_NS1_11comp_targetILNS1_3genE0ELNS1_11target_archE4294967295ELNS1_3gpuE0ELNS1_3repE0EEENS1_30default_config_static_selectorELNS0_4arch9wavefront6targetE1EEEvT1_
    .private_segment_fixed_size: 0
    .sgpr_count:     4
    .sgpr_spill_count: 0
    .symbol:         _ZN7rocprim17ROCPRIM_400000_NS6detail17trampoline_kernelINS0_14default_configENS1_35adjacent_difference_config_selectorILb1EfEEZNS1_24adjacent_difference_implIS3_Lb1ELb0EPKfPfN6thrust23THRUST_200600_302600_NS4plusIfEEEE10hipError_tPvRmT2_T3_mT4_P12ihipStream_tbEUlT_E_NS1_11comp_targetILNS1_3genE0ELNS1_11target_archE4294967295ELNS1_3gpuE0ELNS1_3repE0EEENS1_30default_config_static_selectorELNS0_4arch9wavefront6targetE1EEEvT1_.kd
    .uniform_work_group_size: 1
    .uses_dynamic_stack: false
    .vgpr_count:     0
    .vgpr_spill_count: 0
    .wavefront_size: 64
  - .agpr_count:     0
    .args:
      - .offset:         0
        .size:           56
        .value_kind:     by_value
    .group_segment_fixed_size: 0
    .kernarg_segment_align: 8
    .kernarg_segment_size: 56
    .language:       OpenCL C
    .language_version:
      - 2
      - 0
    .max_flat_workgroup_size: 128
    .name:           _ZN7rocprim17ROCPRIM_400000_NS6detail17trampoline_kernelINS0_14default_configENS1_35adjacent_difference_config_selectorILb1EfEEZNS1_24adjacent_difference_implIS3_Lb1ELb0EPKfPfN6thrust23THRUST_200600_302600_NS4plusIfEEEE10hipError_tPvRmT2_T3_mT4_P12ihipStream_tbEUlT_E_NS1_11comp_targetILNS1_3genE10ELNS1_11target_archE1201ELNS1_3gpuE5ELNS1_3repE0EEENS1_30default_config_static_selectorELNS0_4arch9wavefront6targetE1EEEvT1_
    .private_segment_fixed_size: 0
    .sgpr_count:     4
    .sgpr_spill_count: 0
    .symbol:         _ZN7rocprim17ROCPRIM_400000_NS6detail17trampoline_kernelINS0_14default_configENS1_35adjacent_difference_config_selectorILb1EfEEZNS1_24adjacent_difference_implIS3_Lb1ELb0EPKfPfN6thrust23THRUST_200600_302600_NS4plusIfEEEE10hipError_tPvRmT2_T3_mT4_P12ihipStream_tbEUlT_E_NS1_11comp_targetILNS1_3genE10ELNS1_11target_archE1201ELNS1_3gpuE5ELNS1_3repE0EEENS1_30default_config_static_selectorELNS0_4arch9wavefront6targetE1EEEvT1_.kd
    .uniform_work_group_size: 1
    .uses_dynamic_stack: false
    .vgpr_count:     0
    .vgpr_spill_count: 0
    .wavefront_size: 64
  - .agpr_count:     0
    .args:
      - .offset:         0
        .size:           56
        .value_kind:     by_value
    .group_segment_fixed_size: 0
    .kernarg_segment_align: 8
    .kernarg_segment_size: 56
    .language:       OpenCL C
    .language_version:
      - 2
      - 0
    .max_flat_workgroup_size: 256
    .name:           _ZN7rocprim17ROCPRIM_400000_NS6detail17trampoline_kernelINS0_14default_configENS1_35adjacent_difference_config_selectorILb1EfEEZNS1_24adjacent_difference_implIS3_Lb1ELb0EPKfPfN6thrust23THRUST_200600_302600_NS4plusIfEEEE10hipError_tPvRmT2_T3_mT4_P12ihipStream_tbEUlT_E_NS1_11comp_targetILNS1_3genE5ELNS1_11target_archE942ELNS1_3gpuE9ELNS1_3repE0EEENS1_30default_config_static_selectorELNS0_4arch9wavefront6targetE1EEEvT1_
    .private_segment_fixed_size: 0
    .sgpr_count:     4
    .sgpr_spill_count: 0
    .symbol:         _ZN7rocprim17ROCPRIM_400000_NS6detail17trampoline_kernelINS0_14default_configENS1_35adjacent_difference_config_selectorILb1EfEEZNS1_24adjacent_difference_implIS3_Lb1ELb0EPKfPfN6thrust23THRUST_200600_302600_NS4plusIfEEEE10hipError_tPvRmT2_T3_mT4_P12ihipStream_tbEUlT_E_NS1_11comp_targetILNS1_3genE5ELNS1_11target_archE942ELNS1_3gpuE9ELNS1_3repE0EEENS1_30default_config_static_selectorELNS0_4arch9wavefront6targetE1EEEvT1_.kd
    .uniform_work_group_size: 1
    .uses_dynamic_stack: false
    .vgpr_count:     0
    .vgpr_spill_count: 0
    .wavefront_size: 64
  - .agpr_count:     0
    .args:
      - .offset:         0
        .size:           56
        .value_kind:     by_value
    .group_segment_fixed_size: 10240
    .kernarg_segment_align: 8
    .kernarg_segment_size: 56
    .language:       OpenCL C
    .language_version:
      - 2
      - 0
    .max_flat_workgroup_size: 512
    .name:           _ZN7rocprim17ROCPRIM_400000_NS6detail17trampoline_kernelINS0_14default_configENS1_35adjacent_difference_config_selectorILb1EfEEZNS1_24adjacent_difference_implIS3_Lb1ELb0EPKfPfN6thrust23THRUST_200600_302600_NS4plusIfEEEE10hipError_tPvRmT2_T3_mT4_P12ihipStream_tbEUlT_E_NS1_11comp_targetILNS1_3genE4ELNS1_11target_archE910ELNS1_3gpuE8ELNS1_3repE0EEENS1_30default_config_static_selectorELNS0_4arch9wavefront6targetE1EEEvT1_
    .private_segment_fixed_size: 0
    .sgpr_count:     33
    .sgpr_spill_count: 0
    .symbol:         _ZN7rocprim17ROCPRIM_400000_NS6detail17trampoline_kernelINS0_14default_configENS1_35adjacent_difference_config_selectorILb1EfEEZNS1_24adjacent_difference_implIS3_Lb1ELb0EPKfPfN6thrust23THRUST_200600_302600_NS4plusIfEEEE10hipError_tPvRmT2_T3_mT4_P12ihipStream_tbEUlT_E_NS1_11comp_targetILNS1_3genE4ELNS1_11target_archE910ELNS1_3gpuE8ELNS1_3repE0EEENS1_30default_config_static_selectorELNS0_4arch9wavefront6targetE1EEEvT1_.kd
    .uniform_work_group_size: 1
    .uses_dynamic_stack: false
    .vgpr_count:     18
    .vgpr_spill_count: 0
    .wavefront_size: 64
  - .agpr_count:     0
    .args:
      - .offset:         0
        .size:           56
        .value_kind:     by_value
    .group_segment_fixed_size: 0
    .kernarg_segment_align: 8
    .kernarg_segment_size: 56
    .language:       OpenCL C
    .language_version:
      - 2
      - 0
    .max_flat_workgroup_size: 1024
    .name:           _ZN7rocprim17ROCPRIM_400000_NS6detail17trampoline_kernelINS0_14default_configENS1_35adjacent_difference_config_selectorILb1EfEEZNS1_24adjacent_difference_implIS3_Lb1ELb0EPKfPfN6thrust23THRUST_200600_302600_NS4plusIfEEEE10hipError_tPvRmT2_T3_mT4_P12ihipStream_tbEUlT_E_NS1_11comp_targetILNS1_3genE3ELNS1_11target_archE908ELNS1_3gpuE7ELNS1_3repE0EEENS1_30default_config_static_selectorELNS0_4arch9wavefront6targetE1EEEvT1_
    .private_segment_fixed_size: 0
    .sgpr_count:     4
    .sgpr_spill_count: 0
    .symbol:         _ZN7rocprim17ROCPRIM_400000_NS6detail17trampoline_kernelINS0_14default_configENS1_35adjacent_difference_config_selectorILb1EfEEZNS1_24adjacent_difference_implIS3_Lb1ELb0EPKfPfN6thrust23THRUST_200600_302600_NS4plusIfEEEE10hipError_tPvRmT2_T3_mT4_P12ihipStream_tbEUlT_E_NS1_11comp_targetILNS1_3genE3ELNS1_11target_archE908ELNS1_3gpuE7ELNS1_3repE0EEENS1_30default_config_static_selectorELNS0_4arch9wavefront6targetE1EEEvT1_.kd
    .uniform_work_group_size: 1
    .uses_dynamic_stack: false
    .vgpr_count:     0
    .vgpr_spill_count: 0
    .wavefront_size: 64
  - .agpr_count:     0
    .args:
      - .offset:         0
        .size:           56
        .value_kind:     by_value
    .group_segment_fixed_size: 0
    .kernarg_segment_align: 8
    .kernarg_segment_size: 56
    .language:       OpenCL C
    .language_version:
      - 2
      - 0
    .max_flat_workgroup_size: 256
    .name:           _ZN7rocprim17ROCPRIM_400000_NS6detail17trampoline_kernelINS0_14default_configENS1_35adjacent_difference_config_selectorILb1EfEEZNS1_24adjacent_difference_implIS3_Lb1ELb0EPKfPfN6thrust23THRUST_200600_302600_NS4plusIfEEEE10hipError_tPvRmT2_T3_mT4_P12ihipStream_tbEUlT_E_NS1_11comp_targetILNS1_3genE2ELNS1_11target_archE906ELNS1_3gpuE6ELNS1_3repE0EEENS1_30default_config_static_selectorELNS0_4arch9wavefront6targetE1EEEvT1_
    .private_segment_fixed_size: 0
    .sgpr_count:     4
    .sgpr_spill_count: 0
    .symbol:         _ZN7rocprim17ROCPRIM_400000_NS6detail17trampoline_kernelINS0_14default_configENS1_35adjacent_difference_config_selectorILb1EfEEZNS1_24adjacent_difference_implIS3_Lb1ELb0EPKfPfN6thrust23THRUST_200600_302600_NS4plusIfEEEE10hipError_tPvRmT2_T3_mT4_P12ihipStream_tbEUlT_E_NS1_11comp_targetILNS1_3genE2ELNS1_11target_archE906ELNS1_3gpuE6ELNS1_3repE0EEENS1_30default_config_static_selectorELNS0_4arch9wavefront6targetE1EEEvT1_.kd
    .uniform_work_group_size: 1
    .uses_dynamic_stack: false
    .vgpr_count:     0
    .vgpr_spill_count: 0
    .wavefront_size: 64
  - .agpr_count:     0
    .args:
      - .offset:         0
        .size:           56
        .value_kind:     by_value
    .group_segment_fixed_size: 0
    .kernarg_segment_align: 8
    .kernarg_segment_size: 56
    .language:       OpenCL C
    .language_version:
      - 2
      - 0
    .max_flat_workgroup_size: 128
    .name:           _ZN7rocprim17ROCPRIM_400000_NS6detail17trampoline_kernelINS0_14default_configENS1_35adjacent_difference_config_selectorILb1EfEEZNS1_24adjacent_difference_implIS3_Lb1ELb0EPKfPfN6thrust23THRUST_200600_302600_NS4plusIfEEEE10hipError_tPvRmT2_T3_mT4_P12ihipStream_tbEUlT_E_NS1_11comp_targetILNS1_3genE9ELNS1_11target_archE1100ELNS1_3gpuE3ELNS1_3repE0EEENS1_30default_config_static_selectorELNS0_4arch9wavefront6targetE1EEEvT1_
    .private_segment_fixed_size: 0
    .sgpr_count:     4
    .sgpr_spill_count: 0
    .symbol:         _ZN7rocprim17ROCPRIM_400000_NS6detail17trampoline_kernelINS0_14default_configENS1_35adjacent_difference_config_selectorILb1EfEEZNS1_24adjacent_difference_implIS3_Lb1ELb0EPKfPfN6thrust23THRUST_200600_302600_NS4plusIfEEEE10hipError_tPvRmT2_T3_mT4_P12ihipStream_tbEUlT_E_NS1_11comp_targetILNS1_3genE9ELNS1_11target_archE1100ELNS1_3gpuE3ELNS1_3repE0EEENS1_30default_config_static_selectorELNS0_4arch9wavefront6targetE1EEEvT1_.kd
    .uniform_work_group_size: 1
    .uses_dynamic_stack: false
    .vgpr_count:     0
    .vgpr_spill_count: 0
    .wavefront_size: 64
  - .agpr_count:     0
    .args:
      - .offset:         0
        .size:           56
        .value_kind:     by_value
    .group_segment_fixed_size: 0
    .kernarg_segment_align: 8
    .kernarg_segment_size: 56
    .language:       OpenCL C
    .language_version:
      - 2
      - 0
    .max_flat_workgroup_size: 32
    .name:           _ZN7rocprim17ROCPRIM_400000_NS6detail17trampoline_kernelINS0_14default_configENS1_35adjacent_difference_config_selectorILb1EfEEZNS1_24adjacent_difference_implIS3_Lb1ELb0EPKfPfN6thrust23THRUST_200600_302600_NS4plusIfEEEE10hipError_tPvRmT2_T3_mT4_P12ihipStream_tbEUlT_E_NS1_11comp_targetILNS1_3genE8ELNS1_11target_archE1030ELNS1_3gpuE2ELNS1_3repE0EEENS1_30default_config_static_selectorELNS0_4arch9wavefront6targetE1EEEvT1_
    .private_segment_fixed_size: 0
    .sgpr_count:     4
    .sgpr_spill_count: 0
    .symbol:         _ZN7rocprim17ROCPRIM_400000_NS6detail17trampoline_kernelINS0_14default_configENS1_35adjacent_difference_config_selectorILb1EfEEZNS1_24adjacent_difference_implIS3_Lb1ELb0EPKfPfN6thrust23THRUST_200600_302600_NS4plusIfEEEE10hipError_tPvRmT2_T3_mT4_P12ihipStream_tbEUlT_E_NS1_11comp_targetILNS1_3genE8ELNS1_11target_archE1030ELNS1_3gpuE2ELNS1_3repE0EEENS1_30default_config_static_selectorELNS0_4arch9wavefront6targetE1EEEvT1_.kd
    .uniform_work_group_size: 1
    .uses_dynamic_stack: false
    .vgpr_count:     0
    .vgpr_spill_count: 0
    .wavefront_size: 64
  - .agpr_count:     0
    .args:
      - .offset:         0
        .size:           56
        .value_kind:     by_value
    .group_segment_fixed_size: 0
    .kernarg_segment_align: 8
    .kernarg_segment_size: 56
    .language:       OpenCL C
    .language_version:
      - 2
      - 0
    .max_flat_workgroup_size: 128
    .name:           _ZN7rocprim17ROCPRIM_400000_NS6detail17trampoline_kernelINS0_14default_configENS1_35adjacent_difference_config_selectorILb0EdEEZNS1_24adjacent_difference_implIS3_Lb0ELb0EPKdPdN6thrust23THRUST_200600_302600_NS4plusIdEEEE10hipError_tPvRmT2_T3_mT4_P12ihipStream_tbEUlT_E_NS1_11comp_targetILNS1_3genE0ELNS1_11target_archE4294967295ELNS1_3gpuE0ELNS1_3repE0EEENS1_30default_config_static_selectorELNS0_4arch9wavefront6targetE1EEEvT1_
    .private_segment_fixed_size: 0
    .sgpr_count:     4
    .sgpr_spill_count: 0
    .symbol:         _ZN7rocprim17ROCPRIM_400000_NS6detail17trampoline_kernelINS0_14default_configENS1_35adjacent_difference_config_selectorILb0EdEEZNS1_24adjacent_difference_implIS3_Lb0ELb0EPKdPdN6thrust23THRUST_200600_302600_NS4plusIdEEEE10hipError_tPvRmT2_T3_mT4_P12ihipStream_tbEUlT_E_NS1_11comp_targetILNS1_3genE0ELNS1_11target_archE4294967295ELNS1_3gpuE0ELNS1_3repE0EEENS1_30default_config_static_selectorELNS0_4arch9wavefront6targetE1EEEvT1_.kd
    .uniform_work_group_size: 1
    .uses_dynamic_stack: false
    .vgpr_count:     0
    .vgpr_spill_count: 0
    .wavefront_size: 64
  - .agpr_count:     0
    .args:
      - .offset:         0
        .size:           56
        .value_kind:     by_value
    .group_segment_fixed_size: 0
    .kernarg_segment_align: 8
    .kernarg_segment_size: 56
    .language:       OpenCL C
    .language_version:
      - 2
      - 0
    .max_flat_workgroup_size: 32
    .name:           _ZN7rocprim17ROCPRIM_400000_NS6detail17trampoline_kernelINS0_14default_configENS1_35adjacent_difference_config_selectorILb0EdEEZNS1_24adjacent_difference_implIS3_Lb0ELb0EPKdPdN6thrust23THRUST_200600_302600_NS4plusIdEEEE10hipError_tPvRmT2_T3_mT4_P12ihipStream_tbEUlT_E_NS1_11comp_targetILNS1_3genE10ELNS1_11target_archE1201ELNS1_3gpuE5ELNS1_3repE0EEENS1_30default_config_static_selectorELNS0_4arch9wavefront6targetE1EEEvT1_
    .private_segment_fixed_size: 0
    .sgpr_count:     4
    .sgpr_spill_count: 0
    .symbol:         _ZN7rocprim17ROCPRIM_400000_NS6detail17trampoline_kernelINS0_14default_configENS1_35adjacent_difference_config_selectorILb0EdEEZNS1_24adjacent_difference_implIS3_Lb0ELb0EPKdPdN6thrust23THRUST_200600_302600_NS4plusIdEEEE10hipError_tPvRmT2_T3_mT4_P12ihipStream_tbEUlT_E_NS1_11comp_targetILNS1_3genE10ELNS1_11target_archE1201ELNS1_3gpuE5ELNS1_3repE0EEENS1_30default_config_static_selectorELNS0_4arch9wavefront6targetE1EEEvT1_.kd
    .uniform_work_group_size: 1
    .uses_dynamic_stack: false
    .vgpr_count:     0
    .vgpr_spill_count: 0
    .wavefront_size: 64
  - .agpr_count:     0
    .args:
      - .offset:         0
        .size:           56
        .value_kind:     by_value
    .group_segment_fixed_size: 0
    .kernarg_segment_align: 8
    .kernarg_segment_size: 56
    .language:       OpenCL C
    .language_version:
      - 2
      - 0
    .max_flat_workgroup_size: 64
    .name:           _ZN7rocprim17ROCPRIM_400000_NS6detail17trampoline_kernelINS0_14default_configENS1_35adjacent_difference_config_selectorILb0EdEEZNS1_24adjacent_difference_implIS3_Lb0ELb0EPKdPdN6thrust23THRUST_200600_302600_NS4plusIdEEEE10hipError_tPvRmT2_T3_mT4_P12ihipStream_tbEUlT_E_NS1_11comp_targetILNS1_3genE5ELNS1_11target_archE942ELNS1_3gpuE9ELNS1_3repE0EEENS1_30default_config_static_selectorELNS0_4arch9wavefront6targetE1EEEvT1_
    .private_segment_fixed_size: 0
    .sgpr_count:     4
    .sgpr_spill_count: 0
    .symbol:         _ZN7rocprim17ROCPRIM_400000_NS6detail17trampoline_kernelINS0_14default_configENS1_35adjacent_difference_config_selectorILb0EdEEZNS1_24adjacent_difference_implIS3_Lb0ELb0EPKdPdN6thrust23THRUST_200600_302600_NS4plusIdEEEE10hipError_tPvRmT2_T3_mT4_P12ihipStream_tbEUlT_E_NS1_11comp_targetILNS1_3genE5ELNS1_11target_archE942ELNS1_3gpuE9ELNS1_3repE0EEENS1_30default_config_static_selectorELNS0_4arch9wavefront6targetE1EEEvT1_.kd
    .uniform_work_group_size: 1
    .uses_dynamic_stack: false
    .vgpr_count:     0
    .vgpr_spill_count: 0
    .wavefront_size: 64
  - .agpr_count:     0
    .args:
      - .offset:         0
        .size:           56
        .value_kind:     by_value
    .group_segment_fixed_size: 4224
    .kernarg_segment_align: 8
    .kernarg_segment_size: 56
    .language:       OpenCL C
    .language_version:
      - 2
      - 0
    .max_flat_workgroup_size: 256
    .name:           _ZN7rocprim17ROCPRIM_400000_NS6detail17trampoline_kernelINS0_14default_configENS1_35adjacent_difference_config_selectorILb0EdEEZNS1_24adjacent_difference_implIS3_Lb0ELb0EPKdPdN6thrust23THRUST_200600_302600_NS4plusIdEEEE10hipError_tPvRmT2_T3_mT4_P12ihipStream_tbEUlT_E_NS1_11comp_targetILNS1_3genE4ELNS1_11target_archE910ELNS1_3gpuE8ELNS1_3repE0EEENS1_30default_config_static_selectorELNS0_4arch9wavefront6targetE1EEEvT1_
    .private_segment_fixed_size: 0
    .sgpr_count:     26
    .sgpr_spill_count: 0
    .symbol:         _ZN7rocprim17ROCPRIM_400000_NS6detail17trampoline_kernelINS0_14default_configENS1_35adjacent_difference_config_selectorILb0EdEEZNS1_24adjacent_difference_implIS3_Lb0ELb0EPKdPdN6thrust23THRUST_200600_302600_NS4plusIdEEEE10hipError_tPvRmT2_T3_mT4_P12ihipStream_tbEUlT_E_NS1_11comp_targetILNS1_3genE4ELNS1_11target_archE910ELNS1_3gpuE8ELNS1_3repE0EEENS1_30default_config_static_selectorELNS0_4arch9wavefront6targetE1EEEvT1_.kd
    .uniform_work_group_size: 1
    .uses_dynamic_stack: false
    .vgpr_count:     14
    .vgpr_spill_count: 0
    .wavefront_size: 64
  - .agpr_count:     0
    .args:
      - .offset:         0
        .size:           56
        .value_kind:     by_value
    .group_segment_fixed_size: 0
    .kernarg_segment_align: 8
    .kernarg_segment_size: 56
    .language:       OpenCL C
    .language_version:
      - 2
      - 0
    .max_flat_workgroup_size: 128
    .name:           _ZN7rocprim17ROCPRIM_400000_NS6detail17trampoline_kernelINS0_14default_configENS1_35adjacent_difference_config_selectorILb0EdEEZNS1_24adjacent_difference_implIS3_Lb0ELb0EPKdPdN6thrust23THRUST_200600_302600_NS4plusIdEEEE10hipError_tPvRmT2_T3_mT4_P12ihipStream_tbEUlT_E_NS1_11comp_targetILNS1_3genE3ELNS1_11target_archE908ELNS1_3gpuE7ELNS1_3repE0EEENS1_30default_config_static_selectorELNS0_4arch9wavefront6targetE1EEEvT1_
    .private_segment_fixed_size: 0
    .sgpr_count:     4
    .sgpr_spill_count: 0
    .symbol:         _ZN7rocprim17ROCPRIM_400000_NS6detail17trampoline_kernelINS0_14default_configENS1_35adjacent_difference_config_selectorILb0EdEEZNS1_24adjacent_difference_implIS3_Lb0ELb0EPKdPdN6thrust23THRUST_200600_302600_NS4plusIdEEEE10hipError_tPvRmT2_T3_mT4_P12ihipStream_tbEUlT_E_NS1_11comp_targetILNS1_3genE3ELNS1_11target_archE908ELNS1_3gpuE7ELNS1_3repE0EEENS1_30default_config_static_selectorELNS0_4arch9wavefront6targetE1EEEvT1_.kd
    .uniform_work_group_size: 1
    .uses_dynamic_stack: false
    .vgpr_count:     0
    .vgpr_spill_count: 0
    .wavefront_size: 64
  - .agpr_count:     0
    .args:
      - .offset:         0
        .size:           56
        .value_kind:     by_value
    .group_segment_fixed_size: 0
    .kernarg_segment_align: 8
    .kernarg_segment_size: 56
    .language:       OpenCL C
    .language_version:
      - 2
      - 0
    .max_flat_workgroup_size: 1024
    .name:           _ZN7rocprim17ROCPRIM_400000_NS6detail17trampoline_kernelINS0_14default_configENS1_35adjacent_difference_config_selectorILb0EdEEZNS1_24adjacent_difference_implIS3_Lb0ELb0EPKdPdN6thrust23THRUST_200600_302600_NS4plusIdEEEE10hipError_tPvRmT2_T3_mT4_P12ihipStream_tbEUlT_E_NS1_11comp_targetILNS1_3genE2ELNS1_11target_archE906ELNS1_3gpuE6ELNS1_3repE0EEENS1_30default_config_static_selectorELNS0_4arch9wavefront6targetE1EEEvT1_
    .private_segment_fixed_size: 0
    .sgpr_count:     4
    .sgpr_spill_count: 0
    .symbol:         _ZN7rocprim17ROCPRIM_400000_NS6detail17trampoline_kernelINS0_14default_configENS1_35adjacent_difference_config_selectorILb0EdEEZNS1_24adjacent_difference_implIS3_Lb0ELb0EPKdPdN6thrust23THRUST_200600_302600_NS4plusIdEEEE10hipError_tPvRmT2_T3_mT4_P12ihipStream_tbEUlT_E_NS1_11comp_targetILNS1_3genE2ELNS1_11target_archE906ELNS1_3gpuE6ELNS1_3repE0EEENS1_30default_config_static_selectorELNS0_4arch9wavefront6targetE1EEEvT1_.kd
    .uniform_work_group_size: 1
    .uses_dynamic_stack: false
    .vgpr_count:     0
    .vgpr_spill_count: 0
    .wavefront_size: 64
  - .agpr_count:     0
    .args:
      - .offset:         0
        .size:           56
        .value_kind:     by_value
    .group_segment_fixed_size: 0
    .kernarg_segment_align: 8
    .kernarg_segment_size: 56
    .language:       OpenCL C
    .language_version:
      - 2
      - 0
    .max_flat_workgroup_size: 1024
    .name:           _ZN7rocprim17ROCPRIM_400000_NS6detail17trampoline_kernelINS0_14default_configENS1_35adjacent_difference_config_selectorILb0EdEEZNS1_24adjacent_difference_implIS3_Lb0ELb0EPKdPdN6thrust23THRUST_200600_302600_NS4plusIdEEEE10hipError_tPvRmT2_T3_mT4_P12ihipStream_tbEUlT_E_NS1_11comp_targetILNS1_3genE9ELNS1_11target_archE1100ELNS1_3gpuE3ELNS1_3repE0EEENS1_30default_config_static_selectorELNS0_4arch9wavefront6targetE1EEEvT1_
    .private_segment_fixed_size: 0
    .sgpr_count:     4
    .sgpr_spill_count: 0
    .symbol:         _ZN7rocprim17ROCPRIM_400000_NS6detail17trampoline_kernelINS0_14default_configENS1_35adjacent_difference_config_selectorILb0EdEEZNS1_24adjacent_difference_implIS3_Lb0ELb0EPKdPdN6thrust23THRUST_200600_302600_NS4plusIdEEEE10hipError_tPvRmT2_T3_mT4_P12ihipStream_tbEUlT_E_NS1_11comp_targetILNS1_3genE9ELNS1_11target_archE1100ELNS1_3gpuE3ELNS1_3repE0EEENS1_30default_config_static_selectorELNS0_4arch9wavefront6targetE1EEEvT1_.kd
    .uniform_work_group_size: 1
    .uses_dynamic_stack: false
    .vgpr_count:     0
    .vgpr_spill_count: 0
    .wavefront_size: 64
  - .agpr_count:     0
    .args:
      - .offset:         0
        .size:           56
        .value_kind:     by_value
    .group_segment_fixed_size: 0
    .kernarg_segment_align: 8
    .kernarg_segment_size: 56
    .language:       OpenCL C
    .language_version:
      - 2
      - 0
    .max_flat_workgroup_size: 1024
    .name:           _ZN7rocprim17ROCPRIM_400000_NS6detail17trampoline_kernelINS0_14default_configENS1_35adjacent_difference_config_selectorILb0EdEEZNS1_24adjacent_difference_implIS3_Lb0ELb0EPKdPdN6thrust23THRUST_200600_302600_NS4plusIdEEEE10hipError_tPvRmT2_T3_mT4_P12ihipStream_tbEUlT_E_NS1_11comp_targetILNS1_3genE8ELNS1_11target_archE1030ELNS1_3gpuE2ELNS1_3repE0EEENS1_30default_config_static_selectorELNS0_4arch9wavefront6targetE1EEEvT1_
    .private_segment_fixed_size: 0
    .sgpr_count:     4
    .sgpr_spill_count: 0
    .symbol:         _ZN7rocprim17ROCPRIM_400000_NS6detail17trampoline_kernelINS0_14default_configENS1_35adjacent_difference_config_selectorILb0EdEEZNS1_24adjacent_difference_implIS3_Lb0ELb0EPKdPdN6thrust23THRUST_200600_302600_NS4plusIdEEEE10hipError_tPvRmT2_T3_mT4_P12ihipStream_tbEUlT_E_NS1_11comp_targetILNS1_3genE8ELNS1_11target_archE1030ELNS1_3gpuE2ELNS1_3repE0EEENS1_30default_config_static_selectorELNS0_4arch9wavefront6targetE1EEEvT1_.kd
    .uniform_work_group_size: 1
    .uses_dynamic_stack: false
    .vgpr_count:     0
    .vgpr_spill_count: 0
    .wavefront_size: 64
  - .agpr_count:     0
    .args:
      - .offset:         0
        .size:           56
        .value_kind:     by_value
    .group_segment_fixed_size: 0
    .kernarg_segment_align: 8
    .kernarg_segment_size: 56
    .language:       OpenCL C
    .language_version:
      - 2
      - 0
    .max_flat_workgroup_size: 128
    .name:           _ZN7rocprim17ROCPRIM_400000_NS6detail17trampoline_kernelINS0_14default_configENS1_25transform_config_selectorIdLb0EEEZNS1_14transform_implILb0ES3_S5_NS0_18transform_iteratorINS0_17counting_iteratorImlEEZNS1_24adjacent_difference_implIS3_Lb1ELb0EPKdPdN6thrust23THRUST_200600_302600_NS4plusIdEEEE10hipError_tPvRmT2_T3_mT4_P12ihipStream_tbEUlmE_dEESD_NS0_8identityIvEEEESI_SL_SM_mSN_SP_bEUlT_E_NS1_11comp_targetILNS1_3genE0ELNS1_11target_archE4294967295ELNS1_3gpuE0ELNS1_3repE0EEENS1_30default_config_static_selectorELNS0_4arch9wavefront6targetE1EEEvT1_
    .private_segment_fixed_size: 0
    .sgpr_count:     4
    .sgpr_spill_count: 0
    .symbol:         _ZN7rocprim17ROCPRIM_400000_NS6detail17trampoline_kernelINS0_14default_configENS1_25transform_config_selectorIdLb0EEEZNS1_14transform_implILb0ES3_S5_NS0_18transform_iteratorINS0_17counting_iteratorImlEEZNS1_24adjacent_difference_implIS3_Lb1ELb0EPKdPdN6thrust23THRUST_200600_302600_NS4plusIdEEEE10hipError_tPvRmT2_T3_mT4_P12ihipStream_tbEUlmE_dEESD_NS0_8identityIvEEEESI_SL_SM_mSN_SP_bEUlT_E_NS1_11comp_targetILNS1_3genE0ELNS1_11target_archE4294967295ELNS1_3gpuE0ELNS1_3repE0EEENS1_30default_config_static_selectorELNS0_4arch9wavefront6targetE1EEEvT1_.kd
    .uniform_work_group_size: 1
    .uses_dynamic_stack: false
    .vgpr_count:     0
    .vgpr_spill_count: 0
    .wavefront_size: 64
  - .agpr_count:     0
    .args:
      - .offset:         0
        .size:           56
        .value_kind:     by_value
    .group_segment_fixed_size: 0
    .kernarg_segment_align: 8
    .kernarg_segment_size: 56
    .language:       OpenCL C
    .language_version:
      - 2
      - 0
    .max_flat_workgroup_size: 512
    .name:           _ZN7rocprim17ROCPRIM_400000_NS6detail17trampoline_kernelINS0_14default_configENS1_25transform_config_selectorIdLb0EEEZNS1_14transform_implILb0ES3_S5_NS0_18transform_iteratorINS0_17counting_iteratorImlEEZNS1_24adjacent_difference_implIS3_Lb1ELb0EPKdPdN6thrust23THRUST_200600_302600_NS4plusIdEEEE10hipError_tPvRmT2_T3_mT4_P12ihipStream_tbEUlmE_dEESD_NS0_8identityIvEEEESI_SL_SM_mSN_SP_bEUlT_E_NS1_11comp_targetILNS1_3genE5ELNS1_11target_archE942ELNS1_3gpuE9ELNS1_3repE0EEENS1_30default_config_static_selectorELNS0_4arch9wavefront6targetE1EEEvT1_
    .private_segment_fixed_size: 0
    .sgpr_count:     4
    .sgpr_spill_count: 0
    .symbol:         _ZN7rocprim17ROCPRIM_400000_NS6detail17trampoline_kernelINS0_14default_configENS1_25transform_config_selectorIdLb0EEEZNS1_14transform_implILb0ES3_S5_NS0_18transform_iteratorINS0_17counting_iteratorImlEEZNS1_24adjacent_difference_implIS3_Lb1ELb0EPKdPdN6thrust23THRUST_200600_302600_NS4plusIdEEEE10hipError_tPvRmT2_T3_mT4_P12ihipStream_tbEUlmE_dEESD_NS0_8identityIvEEEESI_SL_SM_mSN_SP_bEUlT_E_NS1_11comp_targetILNS1_3genE5ELNS1_11target_archE942ELNS1_3gpuE9ELNS1_3repE0EEENS1_30default_config_static_selectorELNS0_4arch9wavefront6targetE1EEEvT1_.kd
    .uniform_work_group_size: 1
    .uses_dynamic_stack: false
    .vgpr_count:     0
    .vgpr_spill_count: 0
    .wavefront_size: 64
  - .agpr_count:     0
    .args:
      - .offset:         0
        .size:           56
        .value_kind:     by_value
      - .offset:         56
        .size:           4
        .value_kind:     hidden_block_count_x
      - .offset:         60
        .size:           4
        .value_kind:     hidden_block_count_y
      - .offset:         64
        .size:           4
        .value_kind:     hidden_block_count_z
      - .offset:         68
        .size:           2
        .value_kind:     hidden_group_size_x
      - .offset:         70
        .size:           2
        .value_kind:     hidden_group_size_y
      - .offset:         72
        .size:           2
        .value_kind:     hidden_group_size_z
      - .offset:         74
        .size:           2
        .value_kind:     hidden_remainder_x
      - .offset:         76
        .size:           2
        .value_kind:     hidden_remainder_y
      - .offset:         78
        .size:           2
        .value_kind:     hidden_remainder_z
      - .offset:         96
        .size:           8
        .value_kind:     hidden_global_offset_x
      - .offset:         104
        .size:           8
        .value_kind:     hidden_global_offset_y
      - .offset:         112
        .size:           8
        .value_kind:     hidden_global_offset_z
      - .offset:         120
        .size:           2
        .value_kind:     hidden_grid_dims
    .group_segment_fixed_size: 0
    .kernarg_segment_align: 8
    .kernarg_segment_size: 312
    .language:       OpenCL C
    .language_version:
      - 2
      - 0
    .max_flat_workgroup_size: 256
    .name:           _ZN7rocprim17ROCPRIM_400000_NS6detail17trampoline_kernelINS0_14default_configENS1_25transform_config_selectorIdLb0EEEZNS1_14transform_implILb0ES3_S5_NS0_18transform_iteratorINS0_17counting_iteratorImlEEZNS1_24adjacent_difference_implIS3_Lb1ELb0EPKdPdN6thrust23THRUST_200600_302600_NS4plusIdEEEE10hipError_tPvRmT2_T3_mT4_P12ihipStream_tbEUlmE_dEESD_NS0_8identityIvEEEESI_SL_SM_mSN_SP_bEUlT_E_NS1_11comp_targetILNS1_3genE4ELNS1_11target_archE910ELNS1_3gpuE8ELNS1_3repE0EEENS1_30default_config_static_selectorELNS0_4arch9wavefront6targetE1EEEvT1_
    .private_segment_fixed_size: 0
    .sgpr_count:     22
    .sgpr_spill_count: 0
    .symbol:         _ZN7rocprim17ROCPRIM_400000_NS6detail17trampoline_kernelINS0_14default_configENS1_25transform_config_selectorIdLb0EEEZNS1_14transform_implILb0ES3_S5_NS0_18transform_iteratorINS0_17counting_iteratorImlEEZNS1_24adjacent_difference_implIS3_Lb1ELb0EPKdPdN6thrust23THRUST_200600_302600_NS4plusIdEEEE10hipError_tPvRmT2_T3_mT4_P12ihipStream_tbEUlmE_dEESD_NS0_8identityIvEEEESI_SL_SM_mSN_SP_bEUlT_E_NS1_11comp_targetILNS1_3genE4ELNS1_11target_archE910ELNS1_3gpuE8ELNS1_3repE0EEENS1_30default_config_static_selectorELNS0_4arch9wavefront6targetE1EEEvT1_.kd
    .uniform_work_group_size: 1
    .uses_dynamic_stack: false
    .vgpr_count:     10
    .vgpr_spill_count: 0
    .wavefront_size: 64
  - .agpr_count:     0
    .args:
      - .offset:         0
        .size:           56
        .value_kind:     by_value
    .group_segment_fixed_size: 0
    .kernarg_segment_align: 8
    .kernarg_segment_size: 56
    .language:       OpenCL C
    .language_version:
      - 2
      - 0
    .max_flat_workgroup_size: 128
    .name:           _ZN7rocprim17ROCPRIM_400000_NS6detail17trampoline_kernelINS0_14default_configENS1_25transform_config_selectorIdLb0EEEZNS1_14transform_implILb0ES3_S5_NS0_18transform_iteratorINS0_17counting_iteratorImlEEZNS1_24adjacent_difference_implIS3_Lb1ELb0EPKdPdN6thrust23THRUST_200600_302600_NS4plusIdEEEE10hipError_tPvRmT2_T3_mT4_P12ihipStream_tbEUlmE_dEESD_NS0_8identityIvEEEESI_SL_SM_mSN_SP_bEUlT_E_NS1_11comp_targetILNS1_3genE3ELNS1_11target_archE908ELNS1_3gpuE7ELNS1_3repE0EEENS1_30default_config_static_selectorELNS0_4arch9wavefront6targetE1EEEvT1_
    .private_segment_fixed_size: 0
    .sgpr_count:     4
    .sgpr_spill_count: 0
    .symbol:         _ZN7rocprim17ROCPRIM_400000_NS6detail17trampoline_kernelINS0_14default_configENS1_25transform_config_selectorIdLb0EEEZNS1_14transform_implILb0ES3_S5_NS0_18transform_iteratorINS0_17counting_iteratorImlEEZNS1_24adjacent_difference_implIS3_Lb1ELb0EPKdPdN6thrust23THRUST_200600_302600_NS4plusIdEEEE10hipError_tPvRmT2_T3_mT4_P12ihipStream_tbEUlmE_dEESD_NS0_8identityIvEEEESI_SL_SM_mSN_SP_bEUlT_E_NS1_11comp_targetILNS1_3genE3ELNS1_11target_archE908ELNS1_3gpuE7ELNS1_3repE0EEENS1_30default_config_static_selectorELNS0_4arch9wavefront6targetE1EEEvT1_.kd
    .uniform_work_group_size: 1
    .uses_dynamic_stack: false
    .vgpr_count:     0
    .vgpr_spill_count: 0
    .wavefront_size: 64
  - .agpr_count:     0
    .args:
      - .offset:         0
        .size:           56
        .value_kind:     by_value
    .group_segment_fixed_size: 0
    .kernarg_segment_align: 8
    .kernarg_segment_size: 56
    .language:       OpenCL C
    .language_version:
      - 2
      - 0
    .max_flat_workgroup_size: 1024
    .name:           _ZN7rocprim17ROCPRIM_400000_NS6detail17trampoline_kernelINS0_14default_configENS1_25transform_config_selectorIdLb0EEEZNS1_14transform_implILb0ES3_S5_NS0_18transform_iteratorINS0_17counting_iteratorImlEEZNS1_24adjacent_difference_implIS3_Lb1ELb0EPKdPdN6thrust23THRUST_200600_302600_NS4plusIdEEEE10hipError_tPvRmT2_T3_mT4_P12ihipStream_tbEUlmE_dEESD_NS0_8identityIvEEEESI_SL_SM_mSN_SP_bEUlT_E_NS1_11comp_targetILNS1_3genE2ELNS1_11target_archE906ELNS1_3gpuE6ELNS1_3repE0EEENS1_30default_config_static_selectorELNS0_4arch9wavefront6targetE1EEEvT1_
    .private_segment_fixed_size: 0
    .sgpr_count:     4
    .sgpr_spill_count: 0
    .symbol:         _ZN7rocprim17ROCPRIM_400000_NS6detail17trampoline_kernelINS0_14default_configENS1_25transform_config_selectorIdLb0EEEZNS1_14transform_implILb0ES3_S5_NS0_18transform_iteratorINS0_17counting_iteratorImlEEZNS1_24adjacent_difference_implIS3_Lb1ELb0EPKdPdN6thrust23THRUST_200600_302600_NS4plusIdEEEE10hipError_tPvRmT2_T3_mT4_P12ihipStream_tbEUlmE_dEESD_NS0_8identityIvEEEESI_SL_SM_mSN_SP_bEUlT_E_NS1_11comp_targetILNS1_3genE2ELNS1_11target_archE906ELNS1_3gpuE6ELNS1_3repE0EEENS1_30default_config_static_selectorELNS0_4arch9wavefront6targetE1EEEvT1_.kd
    .uniform_work_group_size: 1
    .uses_dynamic_stack: false
    .vgpr_count:     0
    .vgpr_spill_count: 0
    .wavefront_size: 64
  - .agpr_count:     0
    .args:
      - .offset:         0
        .size:           56
        .value_kind:     by_value
    .group_segment_fixed_size: 0
    .kernarg_segment_align: 8
    .kernarg_segment_size: 56
    .language:       OpenCL C
    .language_version:
      - 2
      - 0
    .max_flat_workgroup_size: 64
    .name:           _ZN7rocprim17ROCPRIM_400000_NS6detail17trampoline_kernelINS0_14default_configENS1_25transform_config_selectorIdLb0EEEZNS1_14transform_implILb0ES3_S5_NS0_18transform_iteratorINS0_17counting_iteratorImlEEZNS1_24adjacent_difference_implIS3_Lb1ELb0EPKdPdN6thrust23THRUST_200600_302600_NS4plusIdEEEE10hipError_tPvRmT2_T3_mT4_P12ihipStream_tbEUlmE_dEESD_NS0_8identityIvEEEESI_SL_SM_mSN_SP_bEUlT_E_NS1_11comp_targetILNS1_3genE10ELNS1_11target_archE1201ELNS1_3gpuE5ELNS1_3repE0EEENS1_30default_config_static_selectorELNS0_4arch9wavefront6targetE1EEEvT1_
    .private_segment_fixed_size: 0
    .sgpr_count:     4
    .sgpr_spill_count: 0
    .symbol:         _ZN7rocprim17ROCPRIM_400000_NS6detail17trampoline_kernelINS0_14default_configENS1_25transform_config_selectorIdLb0EEEZNS1_14transform_implILb0ES3_S5_NS0_18transform_iteratorINS0_17counting_iteratorImlEEZNS1_24adjacent_difference_implIS3_Lb1ELb0EPKdPdN6thrust23THRUST_200600_302600_NS4plusIdEEEE10hipError_tPvRmT2_T3_mT4_P12ihipStream_tbEUlmE_dEESD_NS0_8identityIvEEEESI_SL_SM_mSN_SP_bEUlT_E_NS1_11comp_targetILNS1_3genE10ELNS1_11target_archE1201ELNS1_3gpuE5ELNS1_3repE0EEENS1_30default_config_static_selectorELNS0_4arch9wavefront6targetE1EEEvT1_.kd
    .uniform_work_group_size: 1
    .uses_dynamic_stack: false
    .vgpr_count:     0
    .vgpr_spill_count: 0
    .wavefront_size: 64
  - .agpr_count:     0
    .args:
      - .offset:         0
        .size:           56
        .value_kind:     by_value
    .group_segment_fixed_size: 0
    .kernarg_segment_align: 8
    .kernarg_segment_size: 56
    .language:       OpenCL C
    .language_version:
      - 2
      - 0
    .max_flat_workgroup_size: 512
    .name:           _ZN7rocprim17ROCPRIM_400000_NS6detail17trampoline_kernelINS0_14default_configENS1_25transform_config_selectorIdLb0EEEZNS1_14transform_implILb0ES3_S5_NS0_18transform_iteratorINS0_17counting_iteratorImlEEZNS1_24adjacent_difference_implIS3_Lb1ELb0EPKdPdN6thrust23THRUST_200600_302600_NS4plusIdEEEE10hipError_tPvRmT2_T3_mT4_P12ihipStream_tbEUlmE_dEESD_NS0_8identityIvEEEESI_SL_SM_mSN_SP_bEUlT_E_NS1_11comp_targetILNS1_3genE10ELNS1_11target_archE1200ELNS1_3gpuE4ELNS1_3repE0EEENS1_30default_config_static_selectorELNS0_4arch9wavefront6targetE1EEEvT1_
    .private_segment_fixed_size: 0
    .sgpr_count:     4
    .sgpr_spill_count: 0
    .symbol:         _ZN7rocprim17ROCPRIM_400000_NS6detail17trampoline_kernelINS0_14default_configENS1_25transform_config_selectorIdLb0EEEZNS1_14transform_implILb0ES3_S5_NS0_18transform_iteratorINS0_17counting_iteratorImlEEZNS1_24adjacent_difference_implIS3_Lb1ELb0EPKdPdN6thrust23THRUST_200600_302600_NS4plusIdEEEE10hipError_tPvRmT2_T3_mT4_P12ihipStream_tbEUlmE_dEESD_NS0_8identityIvEEEESI_SL_SM_mSN_SP_bEUlT_E_NS1_11comp_targetILNS1_3genE10ELNS1_11target_archE1200ELNS1_3gpuE4ELNS1_3repE0EEENS1_30default_config_static_selectorELNS0_4arch9wavefront6targetE1EEEvT1_.kd
    .uniform_work_group_size: 1
    .uses_dynamic_stack: false
    .vgpr_count:     0
    .vgpr_spill_count: 0
    .wavefront_size: 64
  - .agpr_count:     0
    .args:
      - .offset:         0
        .size:           56
        .value_kind:     by_value
    .group_segment_fixed_size: 0
    .kernarg_segment_align: 8
    .kernarg_segment_size: 56
    .language:       OpenCL C
    .language_version:
      - 2
      - 0
    .max_flat_workgroup_size: 512
    .name:           _ZN7rocprim17ROCPRIM_400000_NS6detail17trampoline_kernelINS0_14default_configENS1_25transform_config_selectorIdLb0EEEZNS1_14transform_implILb0ES3_S5_NS0_18transform_iteratorINS0_17counting_iteratorImlEEZNS1_24adjacent_difference_implIS3_Lb1ELb0EPKdPdN6thrust23THRUST_200600_302600_NS4plusIdEEEE10hipError_tPvRmT2_T3_mT4_P12ihipStream_tbEUlmE_dEESD_NS0_8identityIvEEEESI_SL_SM_mSN_SP_bEUlT_E_NS1_11comp_targetILNS1_3genE9ELNS1_11target_archE1100ELNS1_3gpuE3ELNS1_3repE0EEENS1_30default_config_static_selectorELNS0_4arch9wavefront6targetE1EEEvT1_
    .private_segment_fixed_size: 0
    .sgpr_count:     4
    .sgpr_spill_count: 0
    .symbol:         _ZN7rocprim17ROCPRIM_400000_NS6detail17trampoline_kernelINS0_14default_configENS1_25transform_config_selectorIdLb0EEEZNS1_14transform_implILb0ES3_S5_NS0_18transform_iteratorINS0_17counting_iteratorImlEEZNS1_24adjacent_difference_implIS3_Lb1ELb0EPKdPdN6thrust23THRUST_200600_302600_NS4plusIdEEEE10hipError_tPvRmT2_T3_mT4_P12ihipStream_tbEUlmE_dEESD_NS0_8identityIvEEEESI_SL_SM_mSN_SP_bEUlT_E_NS1_11comp_targetILNS1_3genE9ELNS1_11target_archE1100ELNS1_3gpuE3ELNS1_3repE0EEENS1_30default_config_static_selectorELNS0_4arch9wavefront6targetE1EEEvT1_.kd
    .uniform_work_group_size: 1
    .uses_dynamic_stack: false
    .vgpr_count:     0
    .vgpr_spill_count: 0
    .wavefront_size: 64
  - .agpr_count:     0
    .args:
      - .offset:         0
        .size:           56
        .value_kind:     by_value
    .group_segment_fixed_size: 0
    .kernarg_segment_align: 8
    .kernarg_segment_size: 56
    .language:       OpenCL C
    .language_version:
      - 2
      - 0
    .max_flat_workgroup_size: 512
    .name:           _ZN7rocprim17ROCPRIM_400000_NS6detail17trampoline_kernelINS0_14default_configENS1_25transform_config_selectorIdLb0EEEZNS1_14transform_implILb0ES3_S5_NS0_18transform_iteratorINS0_17counting_iteratorImlEEZNS1_24adjacent_difference_implIS3_Lb1ELb0EPKdPdN6thrust23THRUST_200600_302600_NS4plusIdEEEE10hipError_tPvRmT2_T3_mT4_P12ihipStream_tbEUlmE_dEESD_NS0_8identityIvEEEESI_SL_SM_mSN_SP_bEUlT_E_NS1_11comp_targetILNS1_3genE8ELNS1_11target_archE1030ELNS1_3gpuE2ELNS1_3repE0EEENS1_30default_config_static_selectorELNS0_4arch9wavefront6targetE1EEEvT1_
    .private_segment_fixed_size: 0
    .sgpr_count:     4
    .sgpr_spill_count: 0
    .symbol:         _ZN7rocprim17ROCPRIM_400000_NS6detail17trampoline_kernelINS0_14default_configENS1_25transform_config_selectorIdLb0EEEZNS1_14transform_implILb0ES3_S5_NS0_18transform_iteratorINS0_17counting_iteratorImlEEZNS1_24adjacent_difference_implIS3_Lb1ELb0EPKdPdN6thrust23THRUST_200600_302600_NS4plusIdEEEE10hipError_tPvRmT2_T3_mT4_P12ihipStream_tbEUlmE_dEESD_NS0_8identityIvEEEESI_SL_SM_mSN_SP_bEUlT_E_NS1_11comp_targetILNS1_3genE8ELNS1_11target_archE1030ELNS1_3gpuE2ELNS1_3repE0EEENS1_30default_config_static_selectorELNS0_4arch9wavefront6targetE1EEEvT1_.kd
    .uniform_work_group_size: 1
    .uses_dynamic_stack: false
    .vgpr_count:     0
    .vgpr_spill_count: 0
    .wavefront_size: 64
  - .agpr_count:     0
    .args:
      - .offset:         0
        .size:           56
        .value_kind:     by_value
    .group_segment_fixed_size: 0
    .kernarg_segment_align: 8
    .kernarg_segment_size: 56
    .language:       OpenCL C
    .language_version:
      - 2
      - 0
    .max_flat_workgroup_size: 512
    .name:           _ZN7rocprim17ROCPRIM_400000_NS6detail17trampoline_kernelINS0_14default_configENS1_35adjacent_difference_config_selectorILb1EdEEZNS1_24adjacent_difference_implIS3_Lb1ELb0EPKdPdN6thrust23THRUST_200600_302600_NS4plusIdEEEE10hipError_tPvRmT2_T3_mT4_P12ihipStream_tbEUlT_E_NS1_11comp_targetILNS1_3genE0ELNS1_11target_archE4294967295ELNS1_3gpuE0ELNS1_3repE0EEENS1_30default_config_static_selectorELNS0_4arch9wavefront6targetE1EEEvT1_
    .private_segment_fixed_size: 0
    .sgpr_count:     4
    .sgpr_spill_count: 0
    .symbol:         _ZN7rocprim17ROCPRIM_400000_NS6detail17trampoline_kernelINS0_14default_configENS1_35adjacent_difference_config_selectorILb1EdEEZNS1_24adjacent_difference_implIS3_Lb1ELb0EPKdPdN6thrust23THRUST_200600_302600_NS4plusIdEEEE10hipError_tPvRmT2_T3_mT4_P12ihipStream_tbEUlT_E_NS1_11comp_targetILNS1_3genE0ELNS1_11target_archE4294967295ELNS1_3gpuE0ELNS1_3repE0EEENS1_30default_config_static_selectorELNS0_4arch9wavefront6targetE1EEEvT1_.kd
    .uniform_work_group_size: 1
    .uses_dynamic_stack: false
    .vgpr_count:     0
    .vgpr_spill_count: 0
    .wavefront_size: 64
  - .agpr_count:     0
    .args:
      - .offset:         0
        .size:           56
        .value_kind:     by_value
    .group_segment_fixed_size: 0
    .kernarg_segment_align: 8
    .kernarg_segment_size: 56
    .language:       OpenCL C
    .language_version:
      - 2
      - 0
    .max_flat_workgroup_size: 256
    .name:           _ZN7rocprim17ROCPRIM_400000_NS6detail17trampoline_kernelINS0_14default_configENS1_35adjacent_difference_config_selectorILb1EdEEZNS1_24adjacent_difference_implIS3_Lb1ELb0EPKdPdN6thrust23THRUST_200600_302600_NS4plusIdEEEE10hipError_tPvRmT2_T3_mT4_P12ihipStream_tbEUlT_E_NS1_11comp_targetILNS1_3genE10ELNS1_11target_archE1201ELNS1_3gpuE5ELNS1_3repE0EEENS1_30default_config_static_selectorELNS0_4arch9wavefront6targetE1EEEvT1_
    .private_segment_fixed_size: 0
    .sgpr_count:     4
    .sgpr_spill_count: 0
    .symbol:         _ZN7rocprim17ROCPRIM_400000_NS6detail17trampoline_kernelINS0_14default_configENS1_35adjacent_difference_config_selectorILb1EdEEZNS1_24adjacent_difference_implIS3_Lb1ELb0EPKdPdN6thrust23THRUST_200600_302600_NS4plusIdEEEE10hipError_tPvRmT2_T3_mT4_P12ihipStream_tbEUlT_E_NS1_11comp_targetILNS1_3genE10ELNS1_11target_archE1201ELNS1_3gpuE5ELNS1_3repE0EEENS1_30default_config_static_selectorELNS0_4arch9wavefront6targetE1EEEvT1_.kd
    .uniform_work_group_size: 1
    .uses_dynamic_stack: false
    .vgpr_count:     0
    .vgpr_spill_count: 0
    .wavefront_size: 64
  - .agpr_count:     0
    .args:
      - .offset:         0
        .size:           56
        .value_kind:     by_value
    .group_segment_fixed_size: 0
    .kernarg_segment_align: 8
    .kernarg_segment_size: 56
    .language:       OpenCL C
    .language_version:
      - 2
      - 0
    .max_flat_workgroup_size: 128
    .name:           _ZN7rocprim17ROCPRIM_400000_NS6detail17trampoline_kernelINS0_14default_configENS1_35adjacent_difference_config_selectorILb1EdEEZNS1_24adjacent_difference_implIS3_Lb1ELb0EPKdPdN6thrust23THRUST_200600_302600_NS4plusIdEEEE10hipError_tPvRmT2_T3_mT4_P12ihipStream_tbEUlT_E_NS1_11comp_targetILNS1_3genE5ELNS1_11target_archE942ELNS1_3gpuE9ELNS1_3repE0EEENS1_30default_config_static_selectorELNS0_4arch9wavefront6targetE1EEEvT1_
    .private_segment_fixed_size: 0
    .sgpr_count:     4
    .sgpr_spill_count: 0
    .symbol:         _ZN7rocprim17ROCPRIM_400000_NS6detail17trampoline_kernelINS0_14default_configENS1_35adjacent_difference_config_selectorILb1EdEEZNS1_24adjacent_difference_implIS3_Lb1ELb0EPKdPdN6thrust23THRUST_200600_302600_NS4plusIdEEEE10hipError_tPvRmT2_T3_mT4_P12ihipStream_tbEUlT_E_NS1_11comp_targetILNS1_3genE5ELNS1_11target_archE942ELNS1_3gpuE9ELNS1_3repE0EEENS1_30default_config_static_selectorELNS0_4arch9wavefront6targetE1EEEvT1_.kd
    .uniform_work_group_size: 1
    .uses_dynamic_stack: false
    .vgpr_count:     0
    .vgpr_spill_count: 0
    .wavefront_size: 64
  - .agpr_count:     0
    .args:
      - .offset:         0
        .size:           56
        .value_kind:     by_value
    .group_segment_fixed_size: 8448
    .kernarg_segment_align: 8
    .kernarg_segment_size: 56
    .language:       OpenCL C
    .language_version:
      - 2
      - 0
    .max_flat_workgroup_size: 512
    .name:           _ZN7rocprim17ROCPRIM_400000_NS6detail17trampoline_kernelINS0_14default_configENS1_35adjacent_difference_config_selectorILb1EdEEZNS1_24adjacent_difference_implIS3_Lb1ELb0EPKdPdN6thrust23THRUST_200600_302600_NS4plusIdEEEE10hipError_tPvRmT2_T3_mT4_P12ihipStream_tbEUlT_E_NS1_11comp_targetILNS1_3genE4ELNS1_11target_archE910ELNS1_3gpuE8ELNS1_3repE0EEENS1_30default_config_static_selectorELNS0_4arch9wavefront6targetE1EEEvT1_
    .private_segment_fixed_size: 0
    .sgpr_count:     32
    .sgpr_spill_count: 0
    .symbol:         _ZN7rocprim17ROCPRIM_400000_NS6detail17trampoline_kernelINS0_14default_configENS1_35adjacent_difference_config_selectorILb1EdEEZNS1_24adjacent_difference_implIS3_Lb1ELb0EPKdPdN6thrust23THRUST_200600_302600_NS4plusIdEEEE10hipError_tPvRmT2_T3_mT4_P12ihipStream_tbEUlT_E_NS1_11comp_targetILNS1_3genE4ELNS1_11target_archE910ELNS1_3gpuE8ELNS1_3repE0EEENS1_30default_config_static_selectorELNS0_4arch9wavefront6targetE1EEEvT1_.kd
    .uniform_work_group_size: 1
    .uses_dynamic_stack: false
    .vgpr_count:     14
    .vgpr_spill_count: 0
    .wavefront_size: 64
  - .agpr_count:     0
    .args:
      - .offset:         0
        .size:           56
        .value_kind:     by_value
    .group_segment_fixed_size: 0
    .kernarg_segment_align: 8
    .kernarg_segment_size: 56
    .language:       OpenCL C
    .language_version:
      - 2
      - 0
    .max_flat_workgroup_size: 512
    .name:           _ZN7rocprim17ROCPRIM_400000_NS6detail17trampoline_kernelINS0_14default_configENS1_35adjacent_difference_config_selectorILb1EdEEZNS1_24adjacent_difference_implIS3_Lb1ELb0EPKdPdN6thrust23THRUST_200600_302600_NS4plusIdEEEE10hipError_tPvRmT2_T3_mT4_P12ihipStream_tbEUlT_E_NS1_11comp_targetILNS1_3genE3ELNS1_11target_archE908ELNS1_3gpuE7ELNS1_3repE0EEENS1_30default_config_static_selectorELNS0_4arch9wavefront6targetE1EEEvT1_
    .private_segment_fixed_size: 0
    .sgpr_count:     4
    .sgpr_spill_count: 0
    .symbol:         _ZN7rocprim17ROCPRIM_400000_NS6detail17trampoline_kernelINS0_14default_configENS1_35adjacent_difference_config_selectorILb1EdEEZNS1_24adjacent_difference_implIS3_Lb1ELb0EPKdPdN6thrust23THRUST_200600_302600_NS4plusIdEEEE10hipError_tPvRmT2_T3_mT4_P12ihipStream_tbEUlT_E_NS1_11comp_targetILNS1_3genE3ELNS1_11target_archE908ELNS1_3gpuE7ELNS1_3repE0EEENS1_30default_config_static_selectorELNS0_4arch9wavefront6targetE1EEEvT1_.kd
    .uniform_work_group_size: 1
    .uses_dynamic_stack: false
    .vgpr_count:     0
    .vgpr_spill_count: 0
    .wavefront_size: 64
  - .agpr_count:     0
    .args:
      - .offset:         0
        .size:           56
        .value_kind:     by_value
    .group_segment_fixed_size: 0
    .kernarg_segment_align: 8
    .kernarg_segment_size: 56
    .language:       OpenCL C
    .language_version:
      - 2
      - 0
    .max_flat_workgroup_size: 128
    .name:           _ZN7rocprim17ROCPRIM_400000_NS6detail17trampoline_kernelINS0_14default_configENS1_35adjacent_difference_config_selectorILb1EdEEZNS1_24adjacent_difference_implIS3_Lb1ELb0EPKdPdN6thrust23THRUST_200600_302600_NS4plusIdEEEE10hipError_tPvRmT2_T3_mT4_P12ihipStream_tbEUlT_E_NS1_11comp_targetILNS1_3genE2ELNS1_11target_archE906ELNS1_3gpuE6ELNS1_3repE0EEENS1_30default_config_static_selectorELNS0_4arch9wavefront6targetE1EEEvT1_
    .private_segment_fixed_size: 0
    .sgpr_count:     4
    .sgpr_spill_count: 0
    .symbol:         _ZN7rocprim17ROCPRIM_400000_NS6detail17trampoline_kernelINS0_14default_configENS1_35adjacent_difference_config_selectorILb1EdEEZNS1_24adjacent_difference_implIS3_Lb1ELb0EPKdPdN6thrust23THRUST_200600_302600_NS4plusIdEEEE10hipError_tPvRmT2_T3_mT4_P12ihipStream_tbEUlT_E_NS1_11comp_targetILNS1_3genE2ELNS1_11target_archE906ELNS1_3gpuE6ELNS1_3repE0EEENS1_30default_config_static_selectorELNS0_4arch9wavefront6targetE1EEEvT1_.kd
    .uniform_work_group_size: 1
    .uses_dynamic_stack: false
    .vgpr_count:     0
    .vgpr_spill_count: 0
    .wavefront_size: 64
  - .agpr_count:     0
    .args:
      - .offset:         0
        .size:           56
        .value_kind:     by_value
    .group_segment_fixed_size: 0
    .kernarg_segment_align: 8
    .kernarg_segment_size: 56
    .language:       OpenCL C
    .language_version:
      - 2
      - 0
    .max_flat_workgroup_size: 128
    .name:           _ZN7rocprim17ROCPRIM_400000_NS6detail17trampoline_kernelINS0_14default_configENS1_35adjacent_difference_config_selectorILb1EdEEZNS1_24adjacent_difference_implIS3_Lb1ELb0EPKdPdN6thrust23THRUST_200600_302600_NS4plusIdEEEE10hipError_tPvRmT2_T3_mT4_P12ihipStream_tbEUlT_E_NS1_11comp_targetILNS1_3genE9ELNS1_11target_archE1100ELNS1_3gpuE3ELNS1_3repE0EEENS1_30default_config_static_selectorELNS0_4arch9wavefront6targetE1EEEvT1_
    .private_segment_fixed_size: 0
    .sgpr_count:     4
    .sgpr_spill_count: 0
    .symbol:         _ZN7rocprim17ROCPRIM_400000_NS6detail17trampoline_kernelINS0_14default_configENS1_35adjacent_difference_config_selectorILb1EdEEZNS1_24adjacent_difference_implIS3_Lb1ELb0EPKdPdN6thrust23THRUST_200600_302600_NS4plusIdEEEE10hipError_tPvRmT2_T3_mT4_P12ihipStream_tbEUlT_E_NS1_11comp_targetILNS1_3genE9ELNS1_11target_archE1100ELNS1_3gpuE3ELNS1_3repE0EEENS1_30default_config_static_selectorELNS0_4arch9wavefront6targetE1EEEvT1_.kd
    .uniform_work_group_size: 1
    .uses_dynamic_stack: false
    .vgpr_count:     0
    .vgpr_spill_count: 0
    .wavefront_size: 64
  - .agpr_count:     0
    .args:
      - .offset:         0
        .size:           56
        .value_kind:     by_value
    .group_segment_fixed_size: 0
    .kernarg_segment_align: 8
    .kernarg_segment_size: 56
    .language:       OpenCL C
    .language_version:
      - 2
      - 0
    .max_flat_workgroup_size: 32
    .name:           _ZN7rocprim17ROCPRIM_400000_NS6detail17trampoline_kernelINS0_14default_configENS1_35adjacent_difference_config_selectorILb1EdEEZNS1_24adjacent_difference_implIS3_Lb1ELb0EPKdPdN6thrust23THRUST_200600_302600_NS4plusIdEEEE10hipError_tPvRmT2_T3_mT4_P12ihipStream_tbEUlT_E_NS1_11comp_targetILNS1_3genE8ELNS1_11target_archE1030ELNS1_3gpuE2ELNS1_3repE0EEENS1_30default_config_static_selectorELNS0_4arch9wavefront6targetE1EEEvT1_
    .private_segment_fixed_size: 0
    .sgpr_count:     4
    .sgpr_spill_count: 0
    .symbol:         _ZN7rocprim17ROCPRIM_400000_NS6detail17trampoline_kernelINS0_14default_configENS1_35adjacent_difference_config_selectorILb1EdEEZNS1_24adjacent_difference_implIS3_Lb1ELb0EPKdPdN6thrust23THRUST_200600_302600_NS4plusIdEEEE10hipError_tPvRmT2_T3_mT4_P12ihipStream_tbEUlT_E_NS1_11comp_targetILNS1_3genE8ELNS1_11target_archE1030ELNS1_3gpuE2ELNS1_3repE0EEENS1_30default_config_static_selectorELNS0_4arch9wavefront6targetE1EEEvT1_.kd
    .uniform_work_group_size: 1
    .uses_dynamic_stack: false
    .vgpr_count:     0
    .vgpr_spill_count: 0
    .wavefront_size: 64
  - .agpr_count:     0
    .args:
      - .offset:         0
        .size:           56
        .value_kind:     by_value
    .group_segment_fixed_size: 0
    .kernarg_segment_align: 8
    .kernarg_segment_size: 56
    .language:       OpenCL C
    .language_version:
      - 2
      - 0
    .max_flat_workgroup_size: 128
    .name:           _ZN7rocprim17ROCPRIM_400000_NS6detail17trampoline_kernelINS0_14default_configENS1_25transform_config_selectorIaLb0EEEZNS1_14transform_implILb0ES3_S5_NS0_18transform_iteratorINS0_17counting_iteratorImlEEZNS1_24adjacent_difference_implIS3_Lb1ELb0EPaN6thrust23THRUST_200600_302600_NS16discard_iteratorINSD_11use_defaultEEENSD_5minusIaEEEE10hipError_tPvRmT2_T3_mT4_P12ihipStream_tbEUlmE_aEESB_NS0_8identityIvEEEESJ_SM_SN_mSO_SQ_bEUlT_E_NS1_11comp_targetILNS1_3genE0ELNS1_11target_archE4294967295ELNS1_3gpuE0ELNS1_3repE0EEENS1_30default_config_static_selectorELNS0_4arch9wavefront6targetE1EEEvT1_
    .private_segment_fixed_size: 0
    .sgpr_count:     4
    .sgpr_spill_count: 0
    .symbol:         _ZN7rocprim17ROCPRIM_400000_NS6detail17trampoline_kernelINS0_14default_configENS1_25transform_config_selectorIaLb0EEEZNS1_14transform_implILb0ES3_S5_NS0_18transform_iteratorINS0_17counting_iteratorImlEEZNS1_24adjacent_difference_implIS3_Lb1ELb0EPaN6thrust23THRUST_200600_302600_NS16discard_iteratorINSD_11use_defaultEEENSD_5minusIaEEEE10hipError_tPvRmT2_T3_mT4_P12ihipStream_tbEUlmE_aEESB_NS0_8identityIvEEEESJ_SM_SN_mSO_SQ_bEUlT_E_NS1_11comp_targetILNS1_3genE0ELNS1_11target_archE4294967295ELNS1_3gpuE0ELNS1_3repE0EEENS1_30default_config_static_selectorELNS0_4arch9wavefront6targetE1EEEvT1_.kd
    .uniform_work_group_size: 1
    .uses_dynamic_stack: false
    .vgpr_count:     0
    .vgpr_spill_count: 0
    .wavefront_size: 64
  - .agpr_count:     0
    .args:
      - .offset:         0
        .size:           56
        .value_kind:     by_value
    .group_segment_fixed_size: 0
    .kernarg_segment_align: 8
    .kernarg_segment_size: 56
    .language:       OpenCL C
    .language_version:
      - 2
      - 0
    .max_flat_workgroup_size: 1024
    .name:           _ZN7rocprim17ROCPRIM_400000_NS6detail17trampoline_kernelINS0_14default_configENS1_25transform_config_selectorIaLb0EEEZNS1_14transform_implILb0ES3_S5_NS0_18transform_iteratorINS0_17counting_iteratorImlEEZNS1_24adjacent_difference_implIS3_Lb1ELb0EPaN6thrust23THRUST_200600_302600_NS16discard_iteratorINSD_11use_defaultEEENSD_5minusIaEEEE10hipError_tPvRmT2_T3_mT4_P12ihipStream_tbEUlmE_aEESB_NS0_8identityIvEEEESJ_SM_SN_mSO_SQ_bEUlT_E_NS1_11comp_targetILNS1_3genE5ELNS1_11target_archE942ELNS1_3gpuE9ELNS1_3repE0EEENS1_30default_config_static_selectorELNS0_4arch9wavefront6targetE1EEEvT1_
    .private_segment_fixed_size: 0
    .sgpr_count:     4
    .sgpr_spill_count: 0
    .symbol:         _ZN7rocprim17ROCPRIM_400000_NS6detail17trampoline_kernelINS0_14default_configENS1_25transform_config_selectorIaLb0EEEZNS1_14transform_implILb0ES3_S5_NS0_18transform_iteratorINS0_17counting_iteratorImlEEZNS1_24adjacent_difference_implIS3_Lb1ELb0EPaN6thrust23THRUST_200600_302600_NS16discard_iteratorINSD_11use_defaultEEENSD_5minusIaEEEE10hipError_tPvRmT2_T3_mT4_P12ihipStream_tbEUlmE_aEESB_NS0_8identityIvEEEESJ_SM_SN_mSO_SQ_bEUlT_E_NS1_11comp_targetILNS1_3genE5ELNS1_11target_archE942ELNS1_3gpuE9ELNS1_3repE0EEENS1_30default_config_static_selectorELNS0_4arch9wavefront6targetE1EEEvT1_.kd
    .uniform_work_group_size: 1
    .uses_dynamic_stack: false
    .vgpr_count:     0
    .vgpr_spill_count: 0
    .wavefront_size: 64
  - .agpr_count:     0
    .args:
      - .offset:         0
        .size:           56
        .value_kind:     by_value
      - .offset:         56
        .size:           4
        .value_kind:     hidden_block_count_x
      - .offset:         60
        .size:           4
        .value_kind:     hidden_block_count_y
      - .offset:         64
        .size:           4
        .value_kind:     hidden_block_count_z
      - .offset:         68
        .size:           2
        .value_kind:     hidden_group_size_x
      - .offset:         70
        .size:           2
        .value_kind:     hidden_group_size_y
      - .offset:         72
        .size:           2
        .value_kind:     hidden_group_size_z
      - .offset:         74
        .size:           2
        .value_kind:     hidden_remainder_x
      - .offset:         76
        .size:           2
        .value_kind:     hidden_remainder_y
      - .offset:         78
        .size:           2
        .value_kind:     hidden_remainder_z
      - .offset:         96
        .size:           8
        .value_kind:     hidden_global_offset_x
      - .offset:         104
        .size:           8
        .value_kind:     hidden_global_offset_y
      - .offset:         112
        .size:           8
        .value_kind:     hidden_global_offset_z
      - .offset:         120
        .size:           2
        .value_kind:     hidden_grid_dims
    .group_segment_fixed_size: 0
    .kernarg_segment_align: 8
    .kernarg_segment_size: 312
    .language:       OpenCL C
    .language_version:
      - 2
      - 0
    .max_flat_workgroup_size: 64
    .name:           _ZN7rocprim17ROCPRIM_400000_NS6detail17trampoline_kernelINS0_14default_configENS1_25transform_config_selectorIaLb0EEEZNS1_14transform_implILb0ES3_S5_NS0_18transform_iteratorINS0_17counting_iteratorImlEEZNS1_24adjacent_difference_implIS3_Lb1ELb0EPaN6thrust23THRUST_200600_302600_NS16discard_iteratorINSD_11use_defaultEEENSD_5minusIaEEEE10hipError_tPvRmT2_T3_mT4_P12ihipStream_tbEUlmE_aEESB_NS0_8identityIvEEEESJ_SM_SN_mSO_SQ_bEUlT_E_NS1_11comp_targetILNS1_3genE4ELNS1_11target_archE910ELNS1_3gpuE8ELNS1_3repE0EEENS1_30default_config_static_selectorELNS0_4arch9wavefront6targetE1EEEvT1_
    .private_segment_fixed_size: 0
    .sgpr_count:     50
    .sgpr_spill_count: 0
    .symbol:         _ZN7rocprim17ROCPRIM_400000_NS6detail17trampoline_kernelINS0_14default_configENS1_25transform_config_selectorIaLb0EEEZNS1_14transform_implILb0ES3_S5_NS0_18transform_iteratorINS0_17counting_iteratorImlEEZNS1_24adjacent_difference_implIS3_Lb1ELb0EPaN6thrust23THRUST_200600_302600_NS16discard_iteratorINSD_11use_defaultEEENSD_5minusIaEEEE10hipError_tPvRmT2_T3_mT4_P12ihipStream_tbEUlmE_aEESB_NS0_8identityIvEEEESJ_SM_SN_mSO_SQ_bEUlT_E_NS1_11comp_targetILNS1_3genE4ELNS1_11target_archE910ELNS1_3gpuE8ELNS1_3repE0EEENS1_30default_config_static_selectorELNS0_4arch9wavefront6targetE1EEEvT1_.kd
    .uniform_work_group_size: 1
    .uses_dynamic_stack: false
    .vgpr_count:     20
    .vgpr_spill_count: 0
    .wavefront_size: 64
  - .agpr_count:     0
    .args:
      - .offset:         0
        .size:           56
        .value_kind:     by_value
    .group_segment_fixed_size: 0
    .kernarg_segment_align: 8
    .kernarg_segment_size: 56
    .language:       OpenCL C
    .language_version:
      - 2
      - 0
    .max_flat_workgroup_size: 128
    .name:           _ZN7rocprim17ROCPRIM_400000_NS6detail17trampoline_kernelINS0_14default_configENS1_25transform_config_selectorIaLb0EEEZNS1_14transform_implILb0ES3_S5_NS0_18transform_iteratorINS0_17counting_iteratorImlEEZNS1_24adjacent_difference_implIS3_Lb1ELb0EPaN6thrust23THRUST_200600_302600_NS16discard_iteratorINSD_11use_defaultEEENSD_5minusIaEEEE10hipError_tPvRmT2_T3_mT4_P12ihipStream_tbEUlmE_aEESB_NS0_8identityIvEEEESJ_SM_SN_mSO_SQ_bEUlT_E_NS1_11comp_targetILNS1_3genE3ELNS1_11target_archE908ELNS1_3gpuE7ELNS1_3repE0EEENS1_30default_config_static_selectorELNS0_4arch9wavefront6targetE1EEEvT1_
    .private_segment_fixed_size: 0
    .sgpr_count:     4
    .sgpr_spill_count: 0
    .symbol:         _ZN7rocprim17ROCPRIM_400000_NS6detail17trampoline_kernelINS0_14default_configENS1_25transform_config_selectorIaLb0EEEZNS1_14transform_implILb0ES3_S5_NS0_18transform_iteratorINS0_17counting_iteratorImlEEZNS1_24adjacent_difference_implIS3_Lb1ELb0EPaN6thrust23THRUST_200600_302600_NS16discard_iteratorINSD_11use_defaultEEENSD_5minusIaEEEE10hipError_tPvRmT2_T3_mT4_P12ihipStream_tbEUlmE_aEESB_NS0_8identityIvEEEESJ_SM_SN_mSO_SQ_bEUlT_E_NS1_11comp_targetILNS1_3genE3ELNS1_11target_archE908ELNS1_3gpuE7ELNS1_3repE0EEENS1_30default_config_static_selectorELNS0_4arch9wavefront6targetE1EEEvT1_.kd
    .uniform_work_group_size: 1
    .uses_dynamic_stack: false
    .vgpr_count:     0
    .vgpr_spill_count: 0
    .wavefront_size: 64
  - .agpr_count:     0
    .args:
      - .offset:         0
        .size:           56
        .value_kind:     by_value
    .group_segment_fixed_size: 0
    .kernarg_segment_align: 8
    .kernarg_segment_size: 56
    .language:       OpenCL C
    .language_version:
      - 2
      - 0
    .max_flat_workgroup_size: 64
    .name:           _ZN7rocprim17ROCPRIM_400000_NS6detail17trampoline_kernelINS0_14default_configENS1_25transform_config_selectorIaLb0EEEZNS1_14transform_implILb0ES3_S5_NS0_18transform_iteratorINS0_17counting_iteratorImlEEZNS1_24adjacent_difference_implIS3_Lb1ELb0EPaN6thrust23THRUST_200600_302600_NS16discard_iteratorINSD_11use_defaultEEENSD_5minusIaEEEE10hipError_tPvRmT2_T3_mT4_P12ihipStream_tbEUlmE_aEESB_NS0_8identityIvEEEESJ_SM_SN_mSO_SQ_bEUlT_E_NS1_11comp_targetILNS1_3genE2ELNS1_11target_archE906ELNS1_3gpuE6ELNS1_3repE0EEENS1_30default_config_static_selectorELNS0_4arch9wavefront6targetE1EEEvT1_
    .private_segment_fixed_size: 0
    .sgpr_count:     4
    .sgpr_spill_count: 0
    .symbol:         _ZN7rocprim17ROCPRIM_400000_NS6detail17trampoline_kernelINS0_14default_configENS1_25transform_config_selectorIaLb0EEEZNS1_14transform_implILb0ES3_S5_NS0_18transform_iteratorINS0_17counting_iteratorImlEEZNS1_24adjacent_difference_implIS3_Lb1ELb0EPaN6thrust23THRUST_200600_302600_NS16discard_iteratorINSD_11use_defaultEEENSD_5minusIaEEEE10hipError_tPvRmT2_T3_mT4_P12ihipStream_tbEUlmE_aEESB_NS0_8identityIvEEEESJ_SM_SN_mSO_SQ_bEUlT_E_NS1_11comp_targetILNS1_3genE2ELNS1_11target_archE906ELNS1_3gpuE6ELNS1_3repE0EEENS1_30default_config_static_selectorELNS0_4arch9wavefront6targetE1EEEvT1_.kd
    .uniform_work_group_size: 1
    .uses_dynamic_stack: false
    .vgpr_count:     0
    .vgpr_spill_count: 0
    .wavefront_size: 64
  - .agpr_count:     0
    .args:
      - .offset:         0
        .size:           56
        .value_kind:     by_value
    .group_segment_fixed_size: 0
    .kernarg_segment_align: 8
    .kernarg_segment_size: 56
    .language:       OpenCL C
    .language_version:
      - 2
      - 0
    .max_flat_workgroup_size: 256
    .name:           _ZN7rocprim17ROCPRIM_400000_NS6detail17trampoline_kernelINS0_14default_configENS1_25transform_config_selectorIaLb0EEEZNS1_14transform_implILb0ES3_S5_NS0_18transform_iteratorINS0_17counting_iteratorImlEEZNS1_24adjacent_difference_implIS3_Lb1ELb0EPaN6thrust23THRUST_200600_302600_NS16discard_iteratorINSD_11use_defaultEEENSD_5minusIaEEEE10hipError_tPvRmT2_T3_mT4_P12ihipStream_tbEUlmE_aEESB_NS0_8identityIvEEEESJ_SM_SN_mSO_SQ_bEUlT_E_NS1_11comp_targetILNS1_3genE10ELNS1_11target_archE1201ELNS1_3gpuE5ELNS1_3repE0EEENS1_30default_config_static_selectorELNS0_4arch9wavefront6targetE1EEEvT1_
    .private_segment_fixed_size: 0
    .sgpr_count:     4
    .sgpr_spill_count: 0
    .symbol:         _ZN7rocprim17ROCPRIM_400000_NS6detail17trampoline_kernelINS0_14default_configENS1_25transform_config_selectorIaLb0EEEZNS1_14transform_implILb0ES3_S5_NS0_18transform_iteratorINS0_17counting_iteratorImlEEZNS1_24adjacent_difference_implIS3_Lb1ELb0EPaN6thrust23THRUST_200600_302600_NS16discard_iteratorINSD_11use_defaultEEENSD_5minusIaEEEE10hipError_tPvRmT2_T3_mT4_P12ihipStream_tbEUlmE_aEESB_NS0_8identityIvEEEESJ_SM_SN_mSO_SQ_bEUlT_E_NS1_11comp_targetILNS1_3genE10ELNS1_11target_archE1201ELNS1_3gpuE5ELNS1_3repE0EEENS1_30default_config_static_selectorELNS0_4arch9wavefront6targetE1EEEvT1_.kd
    .uniform_work_group_size: 1
    .uses_dynamic_stack: false
    .vgpr_count:     0
    .vgpr_spill_count: 0
    .wavefront_size: 64
  - .agpr_count:     0
    .args:
      - .offset:         0
        .size:           56
        .value_kind:     by_value
    .group_segment_fixed_size: 0
    .kernarg_segment_align: 8
    .kernarg_segment_size: 56
    .language:       OpenCL C
    .language_version:
      - 2
      - 0
    .max_flat_workgroup_size: 256
    .name:           _ZN7rocprim17ROCPRIM_400000_NS6detail17trampoline_kernelINS0_14default_configENS1_25transform_config_selectorIaLb0EEEZNS1_14transform_implILb0ES3_S5_NS0_18transform_iteratorINS0_17counting_iteratorImlEEZNS1_24adjacent_difference_implIS3_Lb1ELb0EPaN6thrust23THRUST_200600_302600_NS16discard_iteratorINSD_11use_defaultEEENSD_5minusIaEEEE10hipError_tPvRmT2_T3_mT4_P12ihipStream_tbEUlmE_aEESB_NS0_8identityIvEEEESJ_SM_SN_mSO_SQ_bEUlT_E_NS1_11comp_targetILNS1_3genE10ELNS1_11target_archE1200ELNS1_3gpuE4ELNS1_3repE0EEENS1_30default_config_static_selectorELNS0_4arch9wavefront6targetE1EEEvT1_
    .private_segment_fixed_size: 0
    .sgpr_count:     4
    .sgpr_spill_count: 0
    .symbol:         _ZN7rocprim17ROCPRIM_400000_NS6detail17trampoline_kernelINS0_14default_configENS1_25transform_config_selectorIaLb0EEEZNS1_14transform_implILb0ES3_S5_NS0_18transform_iteratorINS0_17counting_iteratorImlEEZNS1_24adjacent_difference_implIS3_Lb1ELb0EPaN6thrust23THRUST_200600_302600_NS16discard_iteratorINSD_11use_defaultEEENSD_5minusIaEEEE10hipError_tPvRmT2_T3_mT4_P12ihipStream_tbEUlmE_aEESB_NS0_8identityIvEEEESJ_SM_SN_mSO_SQ_bEUlT_E_NS1_11comp_targetILNS1_3genE10ELNS1_11target_archE1200ELNS1_3gpuE4ELNS1_3repE0EEENS1_30default_config_static_selectorELNS0_4arch9wavefront6targetE1EEEvT1_.kd
    .uniform_work_group_size: 1
    .uses_dynamic_stack: false
    .vgpr_count:     0
    .vgpr_spill_count: 0
    .wavefront_size: 64
  - .agpr_count:     0
    .args:
      - .offset:         0
        .size:           56
        .value_kind:     by_value
    .group_segment_fixed_size: 0
    .kernarg_segment_align: 8
    .kernarg_segment_size: 56
    .language:       OpenCL C
    .language_version:
      - 2
      - 0
    .max_flat_workgroup_size: 1024
    .name:           _ZN7rocprim17ROCPRIM_400000_NS6detail17trampoline_kernelINS0_14default_configENS1_25transform_config_selectorIaLb0EEEZNS1_14transform_implILb0ES3_S5_NS0_18transform_iteratorINS0_17counting_iteratorImlEEZNS1_24adjacent_difference_implIS3_Lb1ELb0EPaN6thrust23THRUST_200600_302600_NS16discard_iteratorINSD_11use_defaultEEENSD_5minusIaEEEE10hipError_tPvRmT2_T3_mT4_P12ihipStream_tbEUlmE_aEESB_NS0_8identityIvEEEESJ_SM_SN_mSO_SQ_bEUlT_E_NS1_11comp_targetILNS1_3genE9ELNS1_11target_archE1100ELNS1_3gpuE3ELNS1_3repE0EEENS1_30default_config_static_selectorELNS0_4arch9wavefront6targetE1EEEvT1_
    .private_segment_fixed_size: 0
    .sgpr_count:     4
    .sgpr_spill_count: 0
    .symbol:         _ZN7rocprim17ROCPRIM_400000_NS6detail17trampoline_kernelINS0_14default_configENS1_25transform_config_selectorIaLb0EEEZNS1_14transform_implILb0ES3_S5_NS0_18transform_iteratorINS0_17counting_iteratorImlEEZNS1_24adjacent_difference_implIS3_Lb1ELb0EPaN6thrust23THRUST_200600_302600_NS16discard_iteratorINSD_11use_defaultEEENSD_5minusIaEEEE10hipError_tPvRmT2_T3_mT4_P12ihipStream_tbEUlmE_aEESB_NS0_8identityIvEEEESJ_SM_SN_mSO_SQ_bEUlT_E_NS1_11comp_targetILNS1_3genE9ELNS1_11target_archE1100ELNS1_3gpuE3ELNS1_3repE0EEENS1_30default_config_static_selectorELNS0_4arch9wavefront6targetE1EEEvT1_.kd
    .uniform_work_group_size: 1
    .uses_dynamic_stack: false
    .vgpr_count:     0
    .vgpr_spill_count: 0
    .wavefront_size: 64
  - .agpr_count:     0
    .args:
      - .offset:         0
        .size:           56
        .value_kind:     by_value
    .group_segment_fixed_size: 0
    .kernarg_segment_align: 8
    .kernarg_segment_size: 56
    .language:       OpenCL C
    .language_version:
      - 2
      - 0
    .max_flat_workgroup_size: 128
    .name:           _ZN7rocprim17ROCPRIM_400000_NS6detail17trampoline_kernelINS0_14default_configENS1_25transform_config_selectorIaLb0EEEZNS1_14transform_implILb0ES3_S5_NS0_18transform_iteratorINS0_17counting_iteratorImlEEZNS1_24adjacent_difference_implIS3_Lb1ELb0EPaN6thrust23THRUST_200600_302600_NS16discard_iteratorINSD_11use_defaultEEENSD_5minusIaEEEE10hipError_tPvRmT2_T3_mT4_P12ihipStream_tbEUlmE_aEESB_NS0_8identityIvEEEESJ_SM_SN_mSO_SQ_bEUlT_E_NS1_11comp_targetILNS1_3genE8ELNS1_11target_archE1030ELNS1_3gpuE2ELNS1_3repE0EEENS1_30default_config_static_selectorELNS0_4arch9wavefront6targetE1EEEvT1_
    .private_segment_fixed_size: 0
    .sgpr_count:     4
    .sgpr_spill_count: 0
    .symbol:         _ZN7rocprim17ROCPRIM_400000_NS6detail17trampoline_kernelINS0_14default_configENS1_25transform_config_selectorIaLb0EEEZNS1_14transform_implILb0ES3_S5_NS0_18transform_iteratorINS0_17counting_iteratorImlEEZNS1_24adjacent_difference_implIS3_Lb1ELb0EPaN6thrust23THRUST_200600_302600_NS16discard_iteratorINSD_11use_defaultEEENSD_5minusIaEEEE10hipError_tPvRmT2_T3_mT4_P12ihipStream_tbEUlmE_aEESB_NS0_8identityIvEEEESJ_SM_SN_mSO_SQ_bEUlT_E_NS1_11comp_targetILNS1_3genE8ELNS1_11target_archE1030ELNS1_3gpuE2ELNS1_3repE0EEENS1_30default_config_static_selectorELNS0_4arch9wavefront6targetE1EEEvT1_.kd
    .uniform_work_group_size: 1
    .uses_dynamic_stack: false
    .vgpr_count:     0
    .vgpr_spill_count: 0
    .wavefront_size: 64
  - .agpr_count:     0
    .args:
      - .offset:         0
        .size:           64
        .value_kind:     by_value
    .group_segment_fixed_size: 0
    .kernarg_segment_align: 8
    .kernarg_segment_size: 64
    .language:       OpenCL C
    .language_version:
      - 2
      - 0
    .max_flat_workgroup_size: 64
    .name:           _ZN7rocprim17ROCPRIM_400000_NS6detail17trampoline_kernelINS0_14default_configENS1_35adjacent_difference_config_selectorILb1EaEEZNS1_24adjacent_difference_implIS3_Lb1ELb0EPaN6thrust23THRUST_200600_302600_NS16discard_iteratorINS9_11use_defaultEEENS9_5minusIaEEEE10hipError_tPvRmT2_T3_mT4_P12ihipStream_tbEUlT_E_NS1_11comp_targetILNS1_3genE0ELNS1_11target_archE4294967295ELNS1_3gpuE0ELNS1_3repE0EEENS1_30default_config_static_selectorELNS0_4arch9wavefront6targetE1EEEvT1_
    .private_segment_fixed_size: 0
    .sgpr_count:     4
    .sgpr_spill_count: 0
    .symbol:         _ZN7rocprim17ROCPRIM_400000_NS6detail17trampoline_kernelINS0_14default_configENS1_35adjacent_difference_config_selectorILb1EaEEZNS1_24adjacent_difference_implIS3_Lb1ELb0EPaN6thrust23THRUST_200600_302600_NS16discard_iteratorINS9_11use_defaultEEENS9_5minusIaEEEE10hipError_tPvRmT2_T3_mT4_P12ihipStream_tbEUlT_E_NS1_11comp_targetILNS1_3genE0ELNS1_11target_archE4294967295ELNS1_3gpuE0ELNS1_3repE0EEENS1_30default_config_static_selectorELNS0_4arch9wavefront6targetE1EEEvT1_.kd
    .uniform_work_group_size: 1
    .uses_dynamic_stack: false
    .vgpr_count:     0
    .vgpr_spill_count: 0
    .wavefront_size: 64
  - .agpr_count:     0
    .args:
      - .offset:         0
        .size:           64
        .value_kind:     by_value
    .group_segment_fixed_size: 0
    .kernarg_segment_align: 8
    .kernarg_segment_size: 64
    .language:       OpenCL C
    .language_version:
      - 2
      - 0
    .max_flat_workgroup_size: 128
    .name:           _ZN7rocprim17ROCPRIM_400000_NS6detail17trampoline_kernelINS0_14default_configENS1_35adjacent_difference_config_selectorILb1EaEEZNS1_24adjacent_difference_implIS3_Lb1ELb0EPaN6thrust23THRUST_200600_302600_NS16discard_iteratorINS9_11use_defaultEEENS9_5minusIaEEEE10hipError_tPvRmT2_T3_mT4_P12ihipStream_tbEUlT_E_NS1_11comp_targetILNS1_3genE10ELNS1_11target_archE1201ELNS1_3gpuE5ELNS1_3repE0EEENS1_30default_config_static_selectorELNS0_4arch9wavefront6targetE1EEEvT1_
    .private_segment_fixed_size: 0
    .sgpr_count:     4
    .sgpr_spill_count: 0
    .symbol:         _ZN7rocprim17ROCPRIM_400000_NS6detail17trampoline_kernelINS0_14default_configENS1_35adjacent_difference_config_selectorILb1EaEEZNS1_24adjacent_difference_implIS3_Lb1ELb0EPaN6thrust23THRUST_200600_302600_NS16discard_iteratorINS9_11use_defaultEEENS9_5minusIaEEEE10hipError_tPvRmT2_T3_mT4_P12ihipStream_tbEUlT_E_NS1_11comp_targetILNS1_3genE10ELNS1_11target_archE1201ELNS1_3gpuE5ELNS1_3repE0EEENS1_30default_config_static_selectorELNS0_4arch9wavefront6targetE1EEEvT1_.kd
    .uniform_work_group_size: 1
    .uses_dynamic_stack: false
    .vgpr_count:     0
    .vgpr_spill_count: 0
    .wavefront_size: 64
  - .agpr_count:     0
    .args:
      - .offset:         0
        .size:           64
        .value_kind:     by_value
    .group_segment_fixed_size: 0
    .kernarg_segment_align: 8
    .kernarg_segment_size: 64
    .language:       OpenCL C
    .language_version:
      - 2
      - 0
    .max_flat_workgroup_size: 128
    .name:           _ZN7rocprim17ROCPRIM_400000_NS6detail17trampoline_kernelINS0_14default_configENS1_35adjacent_difference_config_selectorILb1EaEEZNS1_24adjacent_difference_implIS3_Lb1ELb0EPaN6thrust23THRUST_200600_302600_NS16discard_iteratorINS9_11use_defaultEEENS9_5minusIaEEEE10hipError_tPvRmT2_T3_mT4_P12ihipStream_tbEUlT_E_NS1_11comp_targetILNS1_3genE5ELNS1_11target_archE942ELNS1_3gpuE9ELNS1_3repE0EEENS1_30default_config_static_selectorELNS0_4arch9wavefront6targetE1EEEvT1_
    .private_segment_fixed_size: 0
    .sgpr_count:     4
    .sgpr_spill_count: 0
    .symbol:         _ZN7rocprim17ROCPRIM_400000_NS6detail17trampoline_kernelINS0_14default_configENS1_35adjacent_difference_config_selectorILb1EaEEZNS1_24adjacent_difference_implIS3_Lb1ELb0EPaN6thrust23THRUST_200600_302600_NS16discard_iteratorINS9_11use_defaultEEENS9_5minusIaEEEE10hipError_tPvRmT2_T3_mT4_P12ihipStream_tbEUlT_E_NS1_11comp_targetILNS1_3genE5ELNS1_11target_archE942ELNS1_3gpuE9ELNS1_3repE0EEENS1_30default_config_static_selectorELNS0_4arch9wavefront6targetE1EEEvT1_.kd
    .uniform_work_group_size: 1
    .uses_dynamic_stack: false
    .vgpr_count:     0
    .vgpr_spill_count: 0
    .wavefront_size: 64
  - .agpr_count:     0
    .args:
      - .offset:         0
        .size:           64
        .value_kind:     by_value
    .group_segment_fixed_size: 2432
    .kernarg_segment_align: 8
    .kernarg_segment_size: 64
    .language:       OpenCL C
    .language_version:
      - 2
      - 0
    .max_flat_workgroup_size: 128
    .name:           _ZN7rocprim17ROCPRIM_400000_NS6detail17trampoline_kernelINS0_14default_configENS1_35adjacent_difference_config_selectorILb1EaEEZNS1_24adjacent_difference_implIS3_Lb1ELb0EPaN6thrust23THRUST_200600_302600_NS16discard_iteratorINS9_11use_defaultEEENS9_5minusIaEEEE10hipError_tPvRmT2_T3_mT4_P12ihipStream_tbEUlT_E_NS1_11comp_targetILNS1_3genE4ELNS1_11target_archE910ELNS1_3gpuE8ELNS1_3repE0EEENS1_30default_config_static_selectorELNS0_4arch9wavefront6targetE1EEEvT1_
    .private_segment_fixed_size: 0
    .sgpr_count:     24
    .sgpr_spill_count: 0
    .symbol:         _ZN7rocprim17ROCPRIM_400000_NS6detail17trampoline_kernelINS0_14default_configENS1_35adjacent_difference_config_selectorILb1EaEEZNS1_24adjacent_difference_implIS3_Lb1ELb0EPaN6thrust23THRUST_200600_302600_NS16discard_iteratorINS9_11use_defaultEEENS9_5minusIaEEEE10hipError_tPvRmT2_T3_mT4_P12ihipStream_tbEUlT_E_NS1_11comp_targetILNS1_3genE4ELNS1_11target_archE910ELNS1_3gpuE8ELNS1_3repE0EEENS1_30default_config_static_selectorELNS0_4arch9wavefront6targetE1EEEvT1_.kd
    .uniform_work_group_size: 1
    .uses_dynamic_stack: false
    .vgpr_count:     36
    .vgpr_spill_count: 0
    .wavefront_size: 64
  - .agpr_count:     0
    .args:
      - .offset:         0
        .size:           64
        .value_kind:     by_value
    .group_segment_fixed_size: 0
    .kernarg_segment_align: 8
    .kernarg_segment_size: 64
    .language:       OpenCL C
    .language_version:
      - 2
      - 0
    .max_flat_workgroup_size: 64
    .name:           _ZN7rocprim17ROCPRIM_400000_NS6detail17trampoline_kernelINS0_14default_configENS1_35adjacent_difference_config_selectorILb1EaEEZNS1_24adjacent_difference_implIS3_Lb1ELb0EPaN6thrust23THRUST_200600_302600_NS16discard_iteratorINS9_11use_defaultEEENS9_5minusIaEEEE10hipError_tPvRmT2_T3_mT4_P12ihipStream_tbEUlT_E_NS1_11comp_targetILNS1_3genE3ELNS1_11target_archE908ELNS1_3gpuE7ELNS1_3repE0EEENS1_30default_config_static_selectorELNS0_4arch9wavefront6targetE1EEEvT1_
    .private_segment_fixed_size: 0
    .sgpr_count:     4
    .sgpr_spill_count: 0
    .symbol:         _ZN7rocprim17ROCPRIM_400000_NS6detail17trampoline_kernelINS0_14default_configENS1_35adjacent_difference_config_selectorILb1EaEEZNS1_24adjacent_difference_implIS3_Lb1ELb0EPaN6thrust23THRUST_200600_302600_NS16discard_iteratorINS9_11use_defaultEEENS9_5minusIaEEEE10hipError_tPvRmT2_T3_mT4_P12ihipStream_tbEUlT_E_NS1_11comp_targetILNS1_3genE3ELNS1_11target_archE908ELNS1_3gpuE7ELNS1_3repE0EEENS1_30default_config_static_selectorELNS0_4arch9wavefront6targetE1EEEvT1_.kd
    .uniform_work_group_size: 1
    .uses_dynamic_stack: false
    .vgpr_count:     0
    .vgpr_spill_count: 0
    .wavefront_size: 64
  - .agpr_count:     0
    .args:
      - .offset:         0
        .size:           64
        .value_kind:     by_value
    .group_segment_fixed_size: 0
    .kernarg_segment_align: 8
    .kernarg_segment_size: 64
    .language:       OpenCL C
    .language_version:
      - 2
      - 0
    .max_flat_workgroup_size: 64
    .name:           _ZN7rocprim17ROCPRIM_400000_NS6detail17trampoline_kernelINS0_14default_configENS1_35adjacent_difference_config_selectorILb1EaEEZNS1_24adjacent_difference_implIS3_Lb1ELb0EPaN6thrust23THRUST_200600_302600_NS16discard_iteratorINS9_11use_defaultEEENS9_5minusIaEEEE10hipError_tPvRmT2_T3_mT4_P12ihipStream_tbEUlT_E_NS1_11comp_targetILNS1_3genE2ELNS1_11target_archE906ELNS1_3gpuE6ELNS1_3repE0EEENS1_30default_config_static_selectorELNS0_4arch9wavefront6targetE1EEEvT1_
    .private_segment_fixed_size: 0
    .sgpr_count:     4
    .sgpr_spill_count: 0
    .symbol:         _ZN7rocprim17ROCPRIM_400000_NS6detail17trampoline_kernelINS0_14default_configENS1_35adjacent_difference_config_selectorILb1EaEEZNS1_24adjacent_difference_implIS3_Lb1ELb0EPaN6thrust23THRUST_200600_302600_NS16discard_iteratorINS9_11use_defaultEEENS9_5minusIaEEEE10hipError_tPvRmT2_T3_mT4_P12ihipStream_tbEUlT_E_NS1_11comp_targetILNS1_3genE2ELNS1_11target_archE906ELNS1_3gpuE6ELNS1_3repE0EEENS1_30default_config_static_selectorELNS0_4arch9wavefront6targetE1EEEvT1_.kd
    .uniform_work_group_size: 1
    .uses_dynamic_stack: false
    .vgpr_count:     0
    .vgpr_spill_count: 0
    .wavefront_size: 64
  - .agpr_count:     0
    .args:
      - .offset:         0
        .size:           64
        .value_kind:     by_value
    .group_segment_fixed_size: 0
    .kernarg_segment_align: 8
    .kernarg_segment_size: 64
    .language:       OpenCL C
    .language_version:
      - 2
      - 0
    .max_flat_workgroup_size: 512
    .name:           _ZN7rocprim17ROCPRIM_400000_NS6detail17trampoline_kernelINS0_14default_configENS1_35adjacent_difference_config_selectorILb1EaEEZNS1_24adjacent_difference_implIS3_Lb1ELb0EPaN6thrust23THRUST_200600_302600_NS16discard_iteratorINS9_11use_defaultEEENS9_5minusIaEEEE10hipError_tPvRmT2_T3_mT4_P12ihipStream_tbEUlT_E_NS1_11comp_targetILNS1_3genE9ELNS1_11target_archE1100ELNS1_3gpuE3ELNS1_3repE0EEENS1_30default_config_static_selectorELNS0_4arch9wavefront6targetE1EEEvT1_
    .private_segment_fixed_size: 0
    .sgpr_count:     4
    .sgpr_spill_count: 0
    .symbol:         _ZN7rocprim17ROCPRIM_400000_NS6detail17trampoline_kernelINS0_14default_configENS1_35adjacent_difference_config_selectorILb1EaEEZNS1_24adjacent_difference_implIS3_Lb1ELb0EPaN6thrust23THRUST_200600_302600_NS16discard_iteratorINS9_11use_defaultEEENS9_5minusIaEEEE10hipError_tPvRmT2_T3_mT4_P12ihipStream_tbEUlT_E_NS1_11comp_targetILNS1_3genE9ELNS1_11target_archE1100ELNS1_3gpuE3ELNS1_3repE0EEENS1_30default_config_static_selectorELNS0_4arch9wavefront6targetE1EEEvT1_.kd
    .uniform_work_group_size: 1
    .uses_dynamic_stack: false
    .vgpr_count:     0
    .vgpr_spill_count: 0
    .wavefront_size: 64
  - .agpr_count:     0
    .args:
      - .offset:         0
        .size:           64
        .value_kind:     by_value
    .group_segment_fixed_size: 0
    .kernarg_segment_align: 8
    .kernarg_segment_size: 64
    .language:       OpenCL C
    .language_version:
      - 2
      - 0
    .max_flat_workgroup_size: 1024
    .name:           _ZN7rocprim17ROCPRIM_400000_NS6detail17trampoline_kernelINS0_14default_configENS1_35adjacent_difference_config_selectorILb1EaEEZNS1_24adjacent_difference_implIS3_Lb1ELb0EPaN6thrust23THRUST_200600_302600_NS16discard_iteratorINS9_11use_defaultEEENS9_5minusIaEEEE10hipError_tPvRmT2_T3_mT4_P12ihipStream_tbEUlT_E_NS1_11comp_targetILNS1_3genE8ELNS1_11target_archE1030ELNS1_3gpuE2ELNS1_3repE0EEENS1_30default_config_static_selectorELNS0_4arch9wavefront6targetE1EEEvT1_
    .private_segment_fixed_size: 0
    .sgpr_count:     4
    .sgpr_spill_count: 0
    .symbol:         _ZN7rocprim17ROCPRIM_400000_NS6detail17trampoline_kernelINS0_14default_configENS1_35adjacent_difference_config_selectorILb1EaEEZNS1_24adjacent_difference_implIS3_Lb1ELb0EPaN6thrust23THRUST_200600_302600_NS16discard_iteratorINS9_11use_defaultEEENS9_5minusIaEEEE10hipError_tPvRmT2_T3_mT4_P12ihipStream_tbEUlT_E_NS1_11comp_targetILNS1_3genE8ELNS1_11target_archE1030ELNS1_3gpuE2ELNS1_3repE0EEENS1_30default_config_static_selectorELNS0_4arch9wavefront6targetE1EEEvT1_.kd
    .uniform_work_group_size: 1
    .uses_dynamic_stack: false
    .vgpr_count:     0
    .vgpr_spill_count: 0
    .wavefront_size: 64
  - .agpr_count:     0
    .args:
      - .offset:         0
        .size:           56
        .value_kind:     by_value
    .group_segment_fixed_size: 0
    .kernarg_segment_align: 8
    .kernarg_segment_size: 56
    .language:       OpenCL C
    .language_version:
      - 2
      - 0
    .max_flat_workgroup_size: 128
    .name:           _ZN7rocprim17ROCPRIM_400000_NS6detail17trampoline_kernelINS0_14default_configENS1_25transform_config_selectorIhLb0EEEZNS1_14transform_implILb0ES3_S5_NS0_18transform_iteratorINS0_17counting_iteratorImlEEZNS1_24adjacent_difference_implIS3_Lb1ELb0EPhN6thrust23THRUST_200600_302600_NS16discard_iteratorINSD_11use_defaultEEENSD_5minusIhEEEE10hipError_tPvRmT2_T3_mT4_P12ihipStream_tbEUlmE_hEESB_NS0_8identityIvEEEESJ_SM_SN_mSO_SQ_bEUlT_E_NS1_11comp_targetILNS1_3genE0ELNS1_11target_archE4294967295ELNS1_3gpuE0ELNS1_3repE0EEENS1_30default_config_static_selectorELNS0_4arch9wavefront6targetE1EEEvT1_
    .private_segment_fixed_size: 0
    .sgpr_count:     4
    .sgpr_spill_count: 0
    .symbol:         _ZN7rocprim17ROCPRIM_400000_NS6detail17trampoline_kernelINS0_14default_configENS1_25transform_config_selectorIhLb0EEEZNS1_14transform_implILb0ES3_S5_NS0_18transform_iteratorINS0_17counting_iteratorImlEEZNS1_24adjacent_difference_implIS3_Lb1ELb0EPhN6thrust23THRUST_200600_302600_NS16discard_iteratorINSD_11use_defaultEEENSD_5minusIhEEEE10hipError_tPvRmT2_T3_mT4_P12ihipStream_tbEUlmE_hEESB_NS0_8identityIvEEEESJ_SM_SN_mSO_SQ_bEUlT_E_NS1_11comp_targetILNS1_3genE0ELNS1_11target_archE4294967295ELNS1_3gpuE0ELNS1_3repE0EEENS1_30default_config_static_selectorELNS0_4arch9wavefront6targetE1EEEvT1_.kd
    .uniform_work_group_size: 1
    .uses_dynamic_stack: false
    .vgpr_count:     0
    .vgpr_spill_count: 0
    .wavefront_size: 64
  - .agpr_count:     0
    .args:
      - .offset:         0
        .size:           56
        .value_kind:     by_value
    .group_segment_fixed_size: 0
    .kernarg_segment_align: 8
    .kernarg_segment_size: 56
    .language:       OpenCL C
    .language_version:
      - 2
      - 0
    .max_flat_workgroup_size: 1024
    .name:           _ZN7rocprim17ROCPRIM_400000_NS6detail17trampoline_kernelINS0_14default_configENS1_25transform_config_selectorIhLb0EEEZNS1_14transform_implILb0ES3_S5_NS0_18transform_iteratorINS0_17counting_iteratorImlEEZNS1_24adjacent_difference_implIS3_Lb1ELb0EPhN6thrust23THRUST_200600_302600_NS16discard_iteratorINSD_11use_defaultEEENSD_5minusIhEEEE10hipError_tPvRmT2_T3_mT4_P12ihipStream_tbEUlmE_hEESB_NS0_8identityIvEEEESJ_SM_SN_mSO_SQ_bEUlT_E_NS1_11comp_targetILNS1_3genE5ELNS1_11target_archE942ELNS1_3gpuE9ELNS1_3repE0EEENS1_30default_config_static_selectorELNS0_4arch9wavefront6targetE1EEEvT1_
    .private_segment_fixed_size: 0
    .sgpr_count:     4
    .sgpr_spill_count: 0
    .symbol:         _ZN7rocprim17ROCPRIM_400000_NS6detail17trampoline_kernelINS0_14default_configENS1_25transform_config_selectorIhLb0EEEZNS1_14transform_implILb0ES3_S5_NS0_18transform_iteratorINS0_17counting_iteratorImlEEZNS1_24adjacent_difference_implIS3_Lb1ELb0EPhN6thrust23THRUST_200600_302600_NS16discard_iteratorINSD_11use_defaultEEENSD_5minusIhEEEE10hipError_tPvRmT2_T3_mT4_P12ihipStream_tbEUlmE_hEESB_NS0_8identityIvEEEESJ_SM_SN_mSO_SQ_bEUlT_E_NS1_11comp_targetILNS1_3genE5ELNS1_11target_archE942ELNS1_3gpuE9ELNS1_3repE0EEENS1_30default_config_static_selectorELNS0_4arch9wavefront6targetE1EEEvT1_.kd
    .uniform_work_group_size: 1
    .uses_dynamic_stack: false
    .vgpr_count:     0
    .vgpr_spill_count: 0
    .wavefront_size: 64
  - .agpr_count:     0
    .args:
      - .offset:         0
        .size:           56
        .value_kind:     by_value
      - .offset:         56
        .size:           4
        .value_kind:     hidden_block_count_x
      - .offset:         60
        .size:           4
        .value_kind:     hidden_block_count_y
      - .offset:         64
        .size:           4
        .value_kind:     hidden_block_count_z
      - .offset:         68
        .size:           2
        .value_kind:     hidden_group_size_x
      - .offset:         70
        .size:           2
        .value_kind:     hidden_group_size_y
      - .offset:         72
        .size:           2
        .value_kind:     hidden_group_size_z
      - .offset:         74
        .size:           2
        .value_kind:     hidden_remainder_x
      - .offset:         76
        .size:           2
        .value_kind:     hidden_remainder_y
      - .offset:         78
        .size:           2
        .value_kind:     hidden_remainder_z
      - .offset:         96
        .size:           8
        .value_kind:     hidden_global_offset_x
      - .offset:         104
        .size:           8
        .value_kind:     hidden_global_offset_y
      - .offset:         112
        .size:           8
        .value_kind:     hidden_global_offset_z
      - .offset:         120
        .size:           2
        .value_kind:     hidden_grid_dims
    .group_segment_fixed_size: 0
    .kernarg_segment_align: 8
    .kernarg_segment_size: 312
    .language:       OpenCL C
    .language_version:
      - 2
      - 0
    .max_flat_workgroup_size: 64
    .name:           _ZN7rocprim17ROCPRIM_400000_NS6detail17trampoline_kernelINS0_14default_configENS1_25transform_config_selectorIhLb0EEEZNS1_14transform_implILb0ES3_S5_NS0_18transform_iteratorINS0_17counting_iteratorImlEEZNS1_24adjacent_difference_implIS3_Lb1ELb0EPhN6thrust23THRUST_200600_302600_NS16discard_iteratorINSD_11use_defaultEEENSD_5minusIhEEEE10hipError_tPvRmT2_T3_mT4_P12ihipStream_tbEUlmE_hEESB_NS0_8identityIvEEEESJ_SM_SN_mSO_SQ_bEUlT_E_NS1_11comp_targetILNS1_3genE4ELNS1_11target_archE910ELNS1_3gpuE8ELNS1_3repE0EEENS1_30default_config_static_selectorELNS0_4arch9wavefront6targetE1EEEvT1_
    .private_segment_fixed_size: 0
    .sgpr_count:     50
    .sgpr_spill_count: 0
    .symbol:         _ZN7rocprim17ROCPRIM_400000_NS6detail17trampoline_kernelINS0_14default_configENS1_25transform_config_selectorIhLb0EEEZNS1_14transform_implILb0ES3_S5_NS0_18transform_iteratorINS0_17counting_iteratorImlEEZNS1_24adjacent_difference_implIS3_Lb1ELb0EPhN6thrust23THRUST_200600_302600_NS16discard_iteratorINSD_11use_defaultEEENSD_5minusIhEEEE10hipError_tPvRmT2_T3_mT4_P12ihipStream_tbEUlmE_hEESB_NS0_8identityIvEEEESJ_SM_SN_mSO_SQ_bEUlT_E_NS1_11comp_targetILNS1_3genE4ELNS1_11target_archE910ELNS1_3gpuE8ELNS1_3repE0EEENS1_30default_config_static_selectorELNS0_4arch9wavefront6targetE1EEEvT1_.kd
    .uniform_work_group_size: 1
    .uses_dynamic_stack: false
    .vgpr_count:     20
    .vgpr_spill_count: 0
    .wavefront_size: 64
  - .agpr_count:     0
    .args:
      - .offset:         0
        .size:           56
        .value_kind:     by_value
    .group_segment_fixed_size: 0
    .kernarg_segment_align: 8
    .kernarg_segment_size: 56
    .language:       OpenCL C
    .language_version:
      - 2
      - 0
    .max_flat_workgroup_size: 128
    .name:           _ZN7rocprim17ROCPRIM_400000_NS6detail17trampoline_kernelINS0_14default_configENS1_25transform_config_selectorIhLb0EEEZNS1_14transform_implILb0ES3_S5_NS0_18transform_iteratorINS0_17counting_iteratorImlEEZNS1_24adjacent_difference_implIS3_Lb1ELb0EPhN6thrust23THRUST_200600_302600_NS16discard_iteratorINSD_11use_defaultEEENSD_5minusIhEEEE10hipError_tPvRmT2_T3_mT4_P12ihipStream_tbEUlmE_hEESB_NS0_8identityIvEEEESJ_SM_SN_mSO_SQ_bEUlT_E_NS1_11comp_targetILNS1_3genE3ELNS1_11target_archE908ELNS1_3gpuE7ELNS1_3repE0EEENS1_30default_config_static_selectorELNS0_4arch9wavefront6targetE1EEEvT1_
    .private_segment_fixed_size: 0
    .sgpr_count:     4
    .sgpr_spill_count: 0
    .symbol:         _ZN7rocprim17ROCPRIM_400000_NS6detail17trampoline_kernelINS0_14default_configENS1_25transform_config_selectorIhLb0EEEZNS1_14transform_implILb0ES3_S5_NS0_18transform_iteratorINS0_17counting_iteratorImlEEZNS1_24adjacent_difference_implIS3_Lb1ELb0EPhN6thrust23THRUST_200600_302600_NS16discard_iteratorINSD_11use_defaultEEENSD_5minusIhEEEE10hipError_tPvRmT2_T3_mT4_P12ihipStream_tbEUlmE_hEESB_NS0_8identityIvEEEESJ_SM_SN_mSO_SQ_bEUlT_E_NS1_11comp_targetILNS1_3genE3ELNS1_11target_archE908ELNS1_3gpuE7ELNS1_3repE0EEENS1_30default_config_static_selectorELNS0_4arch9wavefront6targetE1EEEvT1_.kd
    .uniform_work_group_size: 1
    .uses_dynamic_stack: false
    .vgpr_count:     0
    .vgpr_spill_count: 0
    .wavefront_size: 64
  - .agpr_count:     0
    .args:
      - .offset:         0
        .size:           56
        .value_kind:     by_value
    .group_segment_fixed_size: 0
    .kernarg_segment_align: 8
    .kernarg_segment_size: 56
    .language:       OpenCL C
    .language_version:
      - 2
      - 0
    .max_flat_workgroup_size: 64
    .name:           _ZN7rocprim17ROCPRIM_400000_NS6detail17trampoline_kernelINS0_14default_configENS1_25transform_config_selectorIhLb0EEEZNS1_14transform_implILb0ES3_S5_NS0_18transform_iteratorINS0_17counting_iteratorImlEEZNS1_24adjacent_difference_implIS3_Lb1ELb0EPhN6thrust23THRUST_200600_302600_NS16discard_iteratorINSD_11use_defaultEEENSD_5minusIhEEEE10hipError_tPvRmT2_T3_mT4_P12ihipStream_tbEUlmE_hEESB_NS0_8identityIvEEEESJ_SM_SN_mSO_SQ_bEUlT_E_NS1_11comp_targetILNS1_3genE2ELNS1_11target_archE906ELNS1_3gpuE6ELNS1_3repE0EEENS1_30default_config_static_selectorELNS0_4arch9wavefront6targetE1EEEvT1_
    .private_segment_fixed_size: 0
    .sgpr_count:     4
    .sgpr_spill_count: 0
    .symbol:         _ZN7rocprim17ROCPRIM_400000_NS6detail17trampoline_kernelINS0_14default_configENS1_25transform_config_selectorIhLb0EEEZNS1_14transform_implILb0ES3_S5_NS0_18transform_iteratorINS0_17counting_iteratorImlEEZNS1_24adjacent_difference_implIS3_Lb1ELb0EPhN6thrust23THRUST_200600_302600_NS16discard_iteratorINSD_11use_defaultEEENSD_5minusIhEEEE10hipError_tPvRmT2_T3_mT4_P12ihipStream_tbEUlmE_hEESB_NS0_8identityIvEEEESJ_SM_SN_mSO_SQ_bEUlT_E_NS1_11comp_targetILNS1_3genE2ELNS1_11target_archE906ELNS1_3gpuE6ELNS1_3repE0EEENS1_30default_config_static_selectorELNS0_4arch9wavefront6targetE1EEEvT1_.kd
    .uniform_work_group_size: 1
    .uses_dynamic_stack: false
    .vgpr_count:     0
    .vgpr_spill_count: 0
    .wavefront_size: 64
  - .agpr_count:     0
    .args:
      - .offset:         0
        .size:           56
        .value_kind:     by_value
    .group_segment_fixed_size: 0
    .kernarg_segment_align: 8
    .kernarg_segment_size: 56
    .language:       OpenCL C
    .language_version:
      - 2
      - 0
    .max_flat_workgroup_size: 256
    .name:           _ZN7rocprim17ROCPRIM_400000_NS6detail17trampoline_kernelINS0_14default_configENS1_25transform_config_selectorIhLb0EEEZNS1_14transform_implILb0ES3_S5_NS0_18transform_iteratorINS0_17counting_iteratorImlEEZNS1_24adjacent_difference_implIS3_Lb1ELb0EPhN6thrust23THRUST_200600_302600_NS16discard_iteratorINSD_11use_defaultEEENSD_5minusIhEEEE10hipError_tPvRmT2_T3_mT4_P12ihipStream_tbEUlmE_hEESB_NS0_8identityIvEEEESJ_SM_SN_mSO_SQ_bEUlT_E_NS1_11comp_targetILNS1_3genE10ELNS1_11target_archE1201ELNS1_3gpuE5ELNS1_3repE0EEENS1_30default_config_static_selectorELNS0_4arch9wavefront6targetE1EEEvT1_
    .private_segment_fixed_size: 0
    .sgpr_count:     4
    .sgpr_spill_count: 0
    .symbol:         _ZN7rocprim17ROCPRIM_400000_NS6detail17trampoline_kernelINS0_14default_configENS1_25transform_config_selectorIhLb0EEEZNS1_14transform_implILb0ES3_S5_NS0_18transform_iteratorINS0_17counting_iteratorImlEEZNS1_24adjacent_difference_implIS3_Lb1ELb0EPhN6thrust23THRUST_200600_302600_NS16discard_iteratorINSD_11use_defaultEEENSD_5minusIhEEEE10hipError_tPvRmT2_T3_mT4_P12ihipStream_tbEUlmE_hEESB_NS0_8identityIvEEEESJ_SM_SN_mSO_SQ_bEUlT_E_NS1_11comp_targetILNS1_3genE10ELNS1_11target_archE1201ELNS1_3gpuE5ELNS1_3repE0EEENS1_30default_config_static_selectorELNS0_4arch9wavefront6targetE1EEEvT1_.kd
    .uniform_work_group_size: 1
    .uses_dynamic_stack: false
    .vgpr_count:     0
    .vgpr_spill_count: 0
    .wavefront_size: 64
  - .agpr_count:     0
    .args:
      - .offset:         0
        .size:           56
        .value_kind:     by_value
    .group_segment_fixed_size: 0
    .kernarg_segment_align: 8
    .kernarg_segment_size: 56
    .language:       OpenCL C
    .language_version:
      - 2
      - 0
    .max_flat_workgroup_size: 256
    .name:           _ZN7rocprim17ROCPRIM_400000_NS6detail17trampoline_kernelINS0_14default_configENS1_25transform_config_selectorIhLb0EEEZNS1_14transform_implILb0ES3_S5_NS0_18transform_iteratorINS0_17counting_iteratorImlEEZNS1_24adjacent_difference_implIS3_Lb1ELb0EPhN6thrust23THRUST_200600_302600_NS16discard_iteratorINSD_11use_defaultEEENSD_5minusIhEEEE10hipError_tPvRmT2_T3_mT4_P12ihipStream_tbEUlmE_hEESB_NS0_8identityIvEEEESJ_SM_SN_mSO_SQ_bEUlT_E_NS1_11comp_targetILNS1_3genE10ELNS1_11target_archE1200ELNS1_3gpuE4ELNS1_3repE0EEENS1_30default_config_static_selectorELNS0_4arch9wavefront6targetE1EEEvT1_
    .private_segment_fixed_size: 0
    .sgpr_count:     4
    .sgpr_spill_count: 0
    .symbol:         _ZN7rocprim17ROCPRIM_400000_NS6detail17trampoline_kernelINS0_14default_configENS1_25transform_config_selectorIhLb0EEEZNS1_14transform_implILb0ES3_S5_NS0_18transform_iteratorINS0_17counting_iteratorImlEEZNS1_24adjacent_difference_implIS3_Lb1ELb0EPhN6thrust23THRUST_200600_302600_NS16discard_iteratorINSD_11use_defaultEEENSD_5minusIhEEEE10hipError_tPvRmT2_T3_mT4_P12ihipStream_tbEUlmE_hEESB_NS0_8identityIvEEEESJ_SM_SN_mSO_SQ_bEUlT_E_NS1_11comp_targetILNS1_3genE10ELNS1_11target_archE1200ELNS1_3gpuE4ELNS1_3repE0EEENS1_30default_config_static_selectorELNS0_4arch9wavefront6targetE1EEEvT1_.kd
    .uniform_work_group_size: 1
    .uses_dynamic_stack: false
    .vgpr_count:     0
    .vgpr_spill_count: 0
    .wavefront_size: 64
  - .agpr_count:     0
    .args:
      - .offset:         0
        .size:           56
        .value_kind:     by_value
    .group_segment_fixed_size: 0
    .kernarg_segment_align: 8
    .kernarg_segment_size: 56
    .language:       OpenCL C
    .language_version:
      - 2
      - 0
    .max_flat_workgroup_size: 1024
    .name:           _ZN7rocprim17ROCPRIM_400000_NS6detail17trampoline_kernelINS0_14default_configENS1_25transform_config_selectorIhLb0EEEZNS1_14transform_implILb0ES3_S5_NS0_18transform_iteratorINS0_17counting_iteratorImlEEZNS1_24adjacent_difference_implIS3_Lb1ELb0EPhN6thrust23THRUST_200600_302600_NS16discard_iteratorINSD_11use_defaultEEENSD_5minusIhEEEE10hipError_tPvRmT2_T3_mT4_P12ihipStream_tbEUlmE_hEESB_NS0_8identityIvEEEESJ_SM_SN_mSO_SQ_bEUlT_E_NS1_11comp_targetILNS1_3genE9ELNS1_11target_archE1100ELNS1_3gpuE3ELNS1_3repE0EEENS1_30default_config_static_selectorELNS0_4arch9wavefront6targetE1EEEvT1_
    .private_segment_fixed_size: 0
    .sgpr_count:     4
    .sgpr_spill_count: 0
    .symbol:         _ZN7rocprim17ROCPRIM_400000_NS6detail17trampoline_kernelINS0_14default_configENS1_25transform_config_selectorIhLb0EEEZNS1_14transform_implILb0ES3_S5_NS0_18transform_iteratorINS0_17counting_iteratorImlEEZNS1_24adjacent_difference_implIS3_Lb1ELb0EPhN6thrust23THRUST_200600_302600_NS16discard_iteratorINSD_11use_defaultEEENSD_5minusIhEEEE10hipError_tPvRmT2_T3_mT4_P12ihipStream_tbEUlmE_hEESB_NS0_8identityIvEEEESJ_SM_SN_mSO_SQ_bEUlT_E_NS1_11comp_targetILNS1_3genE9ELNS1_11target_archE1100ELNS1_3gpuE3ELNS1_3repE0EEENS1_30default_config_static_selectorELNS0_4arch9wavefront6targetE1EEEvT1_.kd
    .uniform_work_group_size: 1
    .uses_dynamic_stack: false
    .vgpr_count:     0
    .vgpr_spill_count: 0
    .wavefront_size: 64
  - .agpr_count:     0
    .args:
      - .offset:         0
        .size:           56
        .value_kind:     by_value
    .group_segment_fixed_size: 0
    .kernarg_segment_align: 8
    .kernarg_segment_size: 56
    .language:       OpenCL C
    .language_version:
      - 2
      - 0
    .max_flat_workgroup_size: 128
    .name:           _ZN7rocprim17ROCPRIM_400000_NS6detail17trampoline_kernelINS0_14default_configENS1_25transform_config_selectorIhLb0EEEZNS1_14transform_implILb0ES3_S5_NS0_18transform_iteratorINS0_17counting_iteratorImlEEZNS1_24adjacent_difference_implIS3_Lb1ELb0EPhN6thrust23THRUST_200600_302600_NS16discard_iteratorINSD_11use_defaultEEENSD_5minusIhEEEE10hipError_tPvRmT2_T3_mT4_P12ihipStream_tbEUlmE_hEESB_NS0_8identityIvEEEESJ_SM_SN_mSO_SQ_bEUlT_E_NS1_11comp_targetILNS1_3genE8ELNS1_11target_archE1030ELNS1_3gpuE2ELNS1_3repE0EEENS1_30default_config_static_selectorELNS0_4arch9wavefront6targetE1EEEvT1_
    .private_segment_fixed_size: 0
    .sgpr_count:     4
    .sgpr_spill_count: 0
    .symbol:         _ZN7rocprim17ROCPRIM_400000_NS6detail17trampoline_kernelINS0_14default_configENS1_25transform_config_selectorIhLb0EEEZNS1_14transform_implILb0ES3_S5_NS0_18transform_iteratorINS0_17counting_iteratorImlEEZNS1_24adjacent_difference_implIS3_Lb1ELb0EPhN6thrust23THRUST_200600_302600_NS16discard_iteratorINSD_11use_defaultEEENSD_5minusIhEEEE10hipError_tPvRmT2_T3_mT4_P12ihipStream_tbEUlmE_hEESB_NS0_8identityIvEEEESJ_SM_SN_mSO_SQ_bEUlT_E_NS1_11comp_targetILNS1_3genE8ELNS1_11target_archE1030ELNS1_3gpuE2ELNS1_3repE0EEENS1_30default_config_static_selectorELNS0_4arch9wavefront6targetE1EEEvT1_.kd
    .uniform_work_group_size: 1
    .uses_dynamic_stack: false
    .vgpr_count:     0
    .vgpr_spill_count: 0
    .wavefront_size: 64
  - .agpr_count:     0
    .args:
      - .offset:         0
        .size:           64
        .value_kind:     by_value
    .group_segment_fixed_size: 0
    .kernarg_segment_align: 8
    .kernarg_segment_size: 64
    .language:       OpenCL C
    .language_version:
      - 2
      - 0
    .max_flat_workgroup_size: 64
    .name:           _ZN7rocprim17ROCPRIM_400000_NS6detail17trampoline_kernelINS0_14default_configENS1_35adjacent_difference_config_selectorILb1EhEEZNS1_24adjacent_difference_implIS3_Lb1ELb0EPhN6thrust23THRUST_200600_302600_NS16discard_iteratorINS9_11use_defaultEEENS9_5minusIhEEEE10hipError_tPvRmT2_T3_mT4_P12ihipStream_tbEUlT_E_NS1_11comp_targetILNS1_3genE0ELNS1_11target_archE4294967295ELNS1_3gpuE0ELNS1_3repE0EEENS1_30default_config_static_selectorELNS0_4arch9wavefront6targetE1EEEvT1_
    .private_segment_fixed_size: 0
    .sgpr_count:     4
    .sgpr_spill_count: 0
    .symbol:         _ZN7rocprim17ROCPRIM_400000_NS6detail17trampoline_kernelINS0_14default_configENS1_35adjacent_difference_config_selectorILb1EhEEZNS1_24adjacent_difference_implIS3_Lb1ELb0EPhN6thrust23THRUST_200600_302600_NS16discard_iteratorINS9_11use_defaultEEENS9_5minusIhEEEE10hipError_tPvRmT2_T3_mT4_P12ihipStream_tbEUlT_E_NS1_11comp_targetILNS1_3genE0ELNS1_11target_archE4294967295ELNS1_3gpuE0ELNS1_3repE0EEENS1_30default_config_static_selectorELNS0_4arch9wavefront6targetE1EEEvT1_.kd
    .uniform_work_group_size: 1
    .uses_dynamic_stack: false
    .vgpr_count:     0
    .vgpr_spill_count: 0
    .wavefront_size: 64
  - .agpr_count:     0
    .args:
      - .offset:         0
        .size:           64
        .value_kind:     by_value
    .group_segment_fixed_size: 0
    .kernarg_segment_align: 8
    .kernarg_segment_size: 64
    .language:       OpenCL C
    .language_version:
      - 2
      - 0
    .max_flat_workgroup_size: 128
    .name:           _ZN7rocprim17ROCPRIM_400000_NS6detail17trampoline_kernelINS0_14default_configENS1_35adjacent_difference_config_selectorILb1EhEEZNS1_24adjacent_difference_implIS3_Lb1ELb0EPhN6thrust23THRUST_200600_302600_NS16discard_iteratorINS9_11use_defaultEEENS9_5minusIhEEEE10hipError_tPvRmT2_T3_mT4_P12ihipStream_tbEUlT_E_NS1_11comp_targetILNS1_3genE10ELNS1_11target_archE1201ELNS1_3gpuE5ELNS1_3repE0EEENS1_30default_config_static_selectorELNS0_4arch9wavefront6targetE1EEEvT1_
    .private_segment_fixed_size: 0
    .sgpr_count:     4
    .sgpr_spill_count: 0
    .symbol:         _ZN7rocprim17ROCPRIM_400000_NS6detail17trampoline_kernelINS0_14default_configENS1_35adjacent_difference_config_selectorILb1EhEEZNS1_24adjacent_difference_implIS3_Lb1ELb0EPhN6thrust23THRUST_200600_302600_NS16discard_iteratorINS9_11use_defaultEEENS9_5minusIhEEEE10hipError_tPvRmT2_T3_mT4_P12ihipStream_tbEUlT_E_NS1_11comp_targetILNS1_3genE10ELNS1_11target_archE1201ELNS1_3gpuE5ELNS1_3repE0EEENS1_30default_config_static_selectorELNS0_4arch9wavefront6targetE1EEEvT1_.kd
    .uniform_work_group_size: 1
    .uses_dynamic_stack: false
    .vgpr_count:     0
    .vgpr_spill_count: 0
    .wavefront_size: 64
  - .agpr_count:     0
    .args:
      - .offset:         0
        .size:           64
        .value_kind:     by_value
    .group_segment_fixed_size: 0
    .kernarg_segment_align: 8
    .kernarg_segment_size: 64
    .language:       OpenCL C
    .language_version:
      - 2
      - 0
    .max_flat_workgroup_size: 128
    .name:           _ZN7rocprim17ROCPRIM_400000_NS6detail17trampoline_kernelINS0_14default_configENS1_35adjacent_difference_config_selectorILb1EhEEZNS1_24adjacent_difference_implIS3_Lb1ELb0EPhN6thrust23THRUST_200600_302600_NS16discard_iteratorINS9_11use_defaultEEENS9_5minusIhEEEE10hipError_tPvRmT2_T3_mT4_P12ihipStream_tbEUlT_E_NS1_11comp_targetILNS1_3genE5ELNS1_11target_archE942ELNS1_3gpuE9ELNS1_3repE0EEENS1_30default_config_static_selectorELNS0_4arch9wavefront6targetE1EEEvT1_
    .private_segment_fixed_size: 0
    .sgpr_count:     4
    .sgpr_spill_count: 0
    .symbol:         _ZN7rocprim17ROCPRIM_400000_NS6detail17trampoline_kernelINS0_14default_configENS1_35adjacent_difference_config_selectorILb1EhEEZNS1_24adjacent_difference_implIS3_Lb1ELb0EPhN6thrust23THRUST_200600_302600_NS16discard_iteratorINS9_11use_defaultEEENS9_5minusIhEEEE10hipError_tPvRmT2_T3_mT4_P12ihipStream_tbEUlT_E_NS1_11comp_targetILNS1_3genE5ELNS1_11target_archE942ELNS1_3gpuE9ELNS1_3repE0EEENS1_30default_config_static_selectorELNS0_4arch9wavefront6targetE1EEEvT1_.kd
    .uniform_work_group_size: 1
    .uses_dynamic_stack: false
    .vgpr_count:     0
    .vgpr_spill_count: 0
    .wavefront_size: 64
  - .agpr_count:     0
    .args:
      - .offset:         0
        .size:           64
        .value_kind:     by_value
    .group_segment_fixed_size: 2432
    .kernarg_segment_align: 8
    .kernarg_segment_size: 64
    .language:       OpenCL C
    .language_version:
      - 2
      - 0
    .max_flat_workgroup_size: 128
    .name:           _ZN7rocprim17ROCPRIM_400000_NS6detail17trampoline_kernelINS0_14default_configENS1_35adjacent_difference_config_selectorILb1EhEEZNS1_24adjacent_difference_implIS3_Lb1ELb0EPhN6thrust23THRUST_200600_302600_NS16discard_iteratorINS9_11use_defaultEEENS9_5minusIhEEEE10hipError_tPvRmT2_T3_mT4_P12ihipStream_tbEUlT_E_NS1_11comp_targetILNS1_3genE4ELNS1_11target_archE910ELNS1_3gpuE8ELNS1_3repE0EEENS1_30default_config_static_selectorELNS0_4arch9wavefront6targetE1EEEvT1_
    .private_segment_fixed_size: 0
    .sgpr_count:     24
    .sgpr_spill_count: 0
    .symbol:         _ZN7rocprim17ROCPRIM_400000_NS6detail17trampoline_kernelINS0_14default_configENS1_35adjacent_difference_config_selectorILb1EhEEZNS1_24adjacent_difference_implIS3_Lb1ELb0EPhN6thrust23THRUST_200600_302600_NS16discard_iteratorINS9_11use_defaultEEENS9_5minusIhEEEE10hipError_tPvRmT2_T3_mT4_P12ihipStream_tbEUlT_E_NS1_11comp_targetILNS1_3genE4ELNS1_11target_archE910ELNS1_3gpuE8ELNS1_3repE0EEENS1_30default_config_static_selectorELNS0_4arch9wavefront6targetE1EEEvT1_.kd
    .uniform_work_group_size: 1
    .uses_dynamic_stack: false
    .vgpr_count:     36
    .vgpr_spill_count: 0
    .wavefront_size: 64
  - .agpr_count:     0
    .args:
      - .offset:         0
        .size:           64
        .value_kind:     by_value
    .group_segment_fixed_size: 0
    .kernarg_segment_align: 8
    .kernarg_segment_size: 64
    .language:       OpenCL C
    .language_version:
      - 2
      - 0
    .max_flat_workgroup_size: 64
    .name:           _ZN7rocprim17ROCPRIM_400000_NS6detail17trampoline_kernelINS0_14default_configENS1_35adjacent_difference_config_selectorILb1EhEEZNS1_24adjacent_difference_implIS3_Lb1ELb0EPhN6thrust23THRUST_200600_302600_NS16discard_iteratorINS9_11use_defaultEEENS9_5minusIhEEEE10hipError_tPvRmT2_T3_mT4_P12ihipStream_tbEUlT_E_NS1_11comp_targetILNS1_3genE3ELNS1_11target_archE908ELNS1_3gpuE7ELNS1_3repE0EEENS1_30default_config_static_selectorELNS0_4arch9wavefront6targetE1EEEvT1_
    .private_segment_fixed_size: 0
    .sgpr_count:     4
    .sgpr_spill_count: 0
    .symbol:         _ZN7rocprim17ROCPRIM_400000_NS6detail17trampoline_kernelINS0_14default_configENS1_35adjacent_difference_config_selectorILb1EhEEZNS1_24adjacent_difference_implIS3_Lb1ELb0EPhN6thrust23THRUST_200600_302600_NS16discard_iteratorINS9_11use_defaultEEENS9_5minusIhEEEE10hipError_tPvRmT2_T3_mT4_P12ihipStream_tbEUlT_E_NS1_11comp_targetILNS1_3genE3ELNS1_11target_archE908ELNS1_3gpuE7ELNS1_3repE0EEENS1_30default_config_static_selectorELNS0_4arch9wavefront6targetE1EEEvT1_.kd
    .uniform_work_group_size: 1
    .uses_dynamic_stack: false
    .vgpr_count:     0
    .vgpr_spill_count: 0
    .wavefront_size: 64
  - .agpr_count:     0
    .args:
      - .offset:         0
        .size:           64
        .value_kind:     by_value
    .group_segment_fixed_size: 0
    .kernarg_segment_align: 8
    .kernarg_segment_size: 64
    .language:       OpenCL C
    .language_version:
      - 2
      - 0
    .max_flat_workgroup_size: 64
    .name:           _ZN7rocprim17ROCPRIM_400000_NS6detail17trampoline_kernelINS0_14default_configENS1_35adjacent_difference_config_selectorILb1EhEEZNS1_24adjacent_difference_implIS3_Lb1ELb0EPhN6thrust23THRUST_200600_302600_NS16discard_iteratorINS9_11use_defaultEEENS9_5minusIhEEEE10hipError_tPvRmT2_T3_mT4_P12ihipStream_tbEUlT_E_NS1_11comp_targetILNS1_3genE2ELNS1_11target_archE906ELNS1_3gpuE6ELNS1_3repE0EEENS1_30default_config_static_selectorELNS0_4arch9wavefront6targetE1EEEvT1_
    .private_segment_fixed_size: 0
    .sgpr_count:     4
    .sgpr_spill_count: 0
    .symbol:         _ZN7rocprim17ROCPRIM_400000_NS6detail17trampoline_kernelINS0_14default_configENS1_35adjacent_difference_config_selectorILb1EhEEZNS1_24adjacent_difference_implIS3_Lb1ELb0EPhN6thrust23THRUST_200600_302600_NS16discard_iteratorINS9_11use_defaultEEENS9_5minusIhEEEE10hipError_tPvRmT2_T3_mT4_P12ihipStream_tbEUlT_E_NS1_11comp_targetILNS1_3genE2ELNS1_11target_archE906ELNS1_3gpuE6ELNS1_3repE0EEENS1_30default_config_static_selectorELNS0_4arch9wavefront6targetE1EEEvT1_.kd
    .uniform_work_group_size: 1
    .uses_dynamic_stack: false
    .vgpr_count:     0
    .vgpr_spill_count: 0
    .wavefront_size: 64
  - .agpr_count:     0
    .args:
      - .offset:         0
        .size:           64
        .value_kind:     by_value
    .group_segment_fixed_size: 0
    .kernarg_segment_align: 8
    .kernarg_segment_size: 64
    .language:       OpenCL C
    .language_version:
      - 2
      - 0
    .max_flat_workgroup_size: 512
    .name:           _ZN7rocprim17ROCPRIM_400000_NS6detail17trampoline_kernelINS0_14default_configENS1_35adjacent_difference_config_selectorILb1EhEEZNS1_24adjacent_difference_implIS3_Lb1ELb0EPhN6thrust23THRUST_200600_302600_NS16discard_iteratorINS9_11use_defaultEEENS9_5minusIhEEEE10hipError_tPvRmT2_T3_mT4_P12ihipStream_tbEUlT_E_NS1_11comp_targetILNS1_3genE9ELNS1_11target_archE1100ELNS1_3gpuE3ELNS1_3repE0EEENS1_30default_config_static_selectorELNS0_4arch9wavefront6targetE1EEEvT1_
    .private_segment_fixed_size: 0
    .sgpr_count:     4
    .sgpr_spill_count: 0
    .symbol:         _ZN7rocprim17ROCPRIM_400000_NS6detail17trampoline_kernelINS0_14default_configENS1_35adjacent_difference_config_selectorILb1EhEEZNS1_24adjacent_difference_implIS3_Lb1ELb0EPhN6thrust23THRUST_200600_302600_NS16discard_iteratorINS9_11use_defaultEEENS9_5minusIhEEEE10hipError_tPvRmT2_T3_mT4_P12ihipStream_tbEUlT_E_NS1_11comp_targetILNS1_3genE9ELNS1_11target_archE1100ELNS1_3gpuE3ELNS1_3repE0EEENS1_30default_config_static_selectorELNS0_4arch9wavefront6targetE1EEEvT1_.kd
    .uniform_work_group_size: 1
    .uses_dynamic_stack: false
    .vgpr_count:     0
    .vgpr_spill_count: 0
    .wavefront_size: 64
  - .agpr_count:     0
    .args:
      - .offset:         0
        .size:           64
        .value_kind:     by_value
    .group_segment_fixed_size: 0
    .kernarg_segment_align: 8
    .kernarg_segment_size: 64
    .language:       OpenCL C
    .language_version:
      - 2
      - 0
    .max_flat_workgroup_size: 1024
    .name:           _ZN7rocprim17ROCPRIM_400000_NS6detail17trampoline_kernelINS0_14default_configENS1_35adjacent_difference_config_selectorILb1EhEEZNS1_24adjacent_difference_implIS3_Lb1ELb0EPhN6thrust23THRUST_200600_302600_NS16discard_iteratorINS9_11use_defaultEEENS9_5minusIhEEEE10hipError_tPvRmT2_T3_mT4_P12ihipStream_tbEUlT_E_NS1_11comp_targetILNS1_3genE8ELNS1_11target_archE1030ELNS1_3gpuE2ELNS1_3repE0EEENS1_30default_config_static_selectorELNS0_4arch9wavefront6targetE1EEEvT1_
    .private_segment_fixed_size: 0
    .sgpr_count:     4
    .sgpr_spill_count: 0
    .symbol:         _ZN7rocprim17ROCPRIM_400000_NS6detail17trampoline_kernelINS0_14default_configENS1_35adjacent_difference_config_selectorILb1EhEEZNS1_24adjacent_difference_implIS3_Lb1ELb0EPhN6thrust23THRUST_200600_302600_NS16discard_iteratorINS9_11use_defaultEEENS9_5minusIhEEEE10hipError_tPvRmT2_T3_mT4_P12ihipStream_tbEUlT_E_NS1_11comp_targetILNS1_3genE8ELNS1_11target_archE1030ELNS1_3gpuE2ELNS1_3repE0EEENS1_30default_config_static_selectorELNS0_4arch9wavefront6targetE1EEEvT1_.kd
    .uniform_work_group_size: 1
    .uses_dynamic_stack: false
    .vgpr_count:     0
    .vgpr_spill_count: 0
    .wavefront_size: 64
  - .agpr_count:     0
    .args:
      - .offset:         0
        .size:           56
        .value_kind:     by_value
    .group_segment_fixed_size: 0
    .kernarg_segment_align: 8
    .kernarg_segment_size: 56
    .language:       OpenCL C
    .language_version:
      - 2
      - 0
    .max_flat_workgroup_size: 128
    .name:           _ZN7rocprim17ROCPRIM_400000_NS6detail17trampoline_kernelINS0_14default_configENS1_25transform_config_selectorIsLb0EEEZNS1_14transform_implILb0ES3_S5_NS0_18transform_iteratorINS0_17counting_iteratorImlEEZNS1_24adjacent_difference_implIS3_Lb1ELb0EPsN6thrust23THRUST_200600_302600_NS16discard_iteratorINSD_11use_defaultEEENSD_5minusIsEEEE10hipError_tPvRmT2_T3_mT4_P12ihipStream_tbEUlmE_sEESB_NS0_8identityIvEEEESJ_SM_SN_mSO_SQ_bEUlT_E_NS1_11comp_targetILNS1_3genE0ELNS1_11target_archE4294967295ELNS1_3gpuE0ELNS1_3repE0EEENS1_30default_config_static_selectorELNS0_4arch9wavefront6targetE1EEEvT1_
    .private_segment_fixed_size: 0
    .sgpr_count:     4
    .sgpr_spill_count: 0
    .symbol:         _ZN7rocprim17ROCPRIM_400000_NS6detail17trampoline_kernelINS0_14default_configENS1_25transform_config_selectorIsLb0EEEZNS1_14transform_implILb0ES3_S5_NS0_18transform_iteratorINS0_17counting_iteratorImlEEZNS1_24adjacent_difference_implIS3_Lb1ELb0EPsN6thrust23THRUST_200600_302600_NS16discard_iteratorINSD_11use_defaultEEENSD_5minusIsEEEE10hipError_tPvRmT2_T3_mT4_P12ihipStream_tbEUlmE_sEESB_NS0_8identityIvEEEESJ_SM_SN_mSO_SQ_bEUlT_E_NS1_11comp_targetILNS1_3genE0ELNS1_11target_archE4294967295ELNS1_3gpuE0ELNS1_3repE0EEENS1_30default_config_static_selectorELNS0_4arch9wavefront6targetE1EEEvT1_.kd
    .uniform_work_group_size: 1
    .uses_dynamic_stack: false
    .vgpr_count:     0
    .vgpr_spill_count: 0
    .wavefront_size: 64
  - .agpr_count:     0
    .args:
      - .offset:         0
        .size:           56
        .value_kind:     by_value
    .group_segment_fixed_size: 0
    .kernarg_segment_align: 8
    .kernarg_segment_size: 56
    .language:       OpenCL C
    .language_version:
      - 2
      - 0
    .max_flat_workgroup_size: 256
    .name:           _ZN7rocprim17ROCPRIM_400000_NS6detail17trampoline_kernelINS0_14default_configENS1_25transform_config_selectorIsLb0EEEZNS1_14transform_implILb0ES3_S5_NS0_18transform_iteratorINS0_17counting_iteratorImlEEZNS1_24adjacent_difference_implIS3_Lb1ELb0EPsN6thrust23THRUST_200600_302600_NS16discard_iteratorINSD_11use_defaultEEENSD_5minusIsEEEE10hipError_tPvRmT2_T3_mT4_P12ihipStream_tbEUlmE_sEESB_NS0_8identityIvEEEESJ_SM_SN_mSO_SQ_bEUlT_E_NS1_11comp_targetILNS1_3genE5ELNS1_11target_archE942ELNS1_3gpuE9ELNS1_3repE0EEENS1_30default_config_static_selectorELNS0_4arch9wavefront6targetE1EEEvT1_
    .private_segment_fixed_size: 0
    .sgpr_count:     4
    .sgpr_spill_count: 0
    .symbol:         _ZN7rocprim17ROCPRIM_400000_NS6detail17trampoline_kernelINS0_14default_configENS1_25transform_config_selectorIsLb0EEEZNS1_14transform_implILb0ES3_S5_NS0_18transform_iteratorINS0_17counting_iteratorImlEEZNS1_24adjacent_difference_implIS3_Lb1ELb0EPsN6thrust23THRUST_200600_302600_NS16discard_iteratorINSD_11use_defaultEEENSD_5minusIsEEEE10hipError_tPvRmT2_T3_mT4_P12ihipStream_tbEUlmE_sEESB_NS0_8identityIvEEEESJ_SM_SN_mSO_SQ_bEUlT_E_NS1_11comp_targetILNS1_3genE5ELNS1_11target_archE942ELNS1_3gpuE9ELNS1_3repE0EEENS1_30default_config_static_selectorELNS0_4arch9wavefront6targetE1EEEvT1_.kd
    .uniform_work_group_size: 1
    .uses_dynamic_stack: false
    .vgpr_count:     0
    .vgpr_spill_count: 0
    .wavefront_size: 64
  - .agpr_count:     0
    .args:
      - .offset:         0
        .size:           56
        .value_kind:     by_value
      - .offset:         56
        .size:           4
        .value_kind:     hidden_block_count_x
      - .offset:         60
        .size:           4
        .value_kind:     hidden_block_count_y
      - .offset:         64
        .size:           4
        .value_kind:     hidden_block_count_z
      - .offset:         68
        .size:           2
        .value_kind:     hidden_group_size_x
      - .offset:         70
        .size:           2
        .value_kind:     hidden_group_size_y
      - .offset:         72
        .size:           2
        .value_kind:     hidden_group_size_z
      - .offset:         74
        .size:           2
        .value_kind:     hidden_remainder_x
      - .offset:         76
        .size:           2
        .value_kind:     hidden_remainder_y
      - .offset:         78
        .size:           2
        .value_kind:     hidden_remainder_z
      - .offset:         96
        .size:           8
        .value_kind:     hidden_global_offset_x
      - .offset:         104
        .size:           8
        .value_kind:     hidden_global_offset_y
      - .offset:         112
        .size:           8
        .value_kind:     hidden_global_offset_z
      - .offset:         120
        .size:           2
        .value_kind:     hidden_grid_dims
    .group_segment_fixed_size: 0
    .kernarg_segment_align: 8
    .kernarg_segment_size: 312
    .language:       OpenCL C
    .language_version:
      - 2
      - 0
    .max_flat_workgroup_size: 64
    .name:           _ZN7rocprim17ROCPRIM_400000_NS6detail17trampoline_kernelINS0_14default_configENS1_25transform_config_selectorIsLb0EEEZNS1_14transform_implILb0ES3_S5_NS0_18transform_iteratorINS0_17counting_iteratorImlEEZNS1_24adjacent_difference_implIS3_Lb1ELb0EPsN6thrust23THRUST_200600_302600_NS16discard_iteratorINSD_11use_defaultEEENSD_5minusIsEEEE10hipError_tPvRmT2_T3_mT4_P12ihipStream_tbEUlmE_sEESB_NS0_8identityIvEEEESJ_SM_SN_mSO_SQ_bEUlT_E_NS1_11comp_targetILNS1_3genE4ELNS1_11target_archE910ELNS1_3gpuE8ELNS1_3repE0EEENS1_30default_config_static_selectorELNS0_4arch9wavefront6targetE1EEEvT1_
    .private_segment_fixed_size: 0
    .sgpr_count:     34
    .sgpr_spill_count: 0
    .symbol:         _ZN7rocprim17ROCPRIM_400000_NS6detail17trampoline_kernelINS0_14default_configENS1_25transform_config_selectorIsLb0EEEZNS1_14transform_implILb0ES3_S5_NS0_18transform_iteratorINS0_17counting_iteratorImlEEZNS1_24adjacent_difference_implIS3_Lb1ELb0EPsN6thrust23THRUST_200600_302600_NS16discard_iteratorINSD_11use_defaultEEENSD_5minusIsEEEE10hipError_tPvRmT2_T3_mT4_P12ihipStream_tbEUlmE_sEESB_NS0_8identityIvEEEESJ_SM_SN_mSO_SQ_bEUlT_E_NS1_11comp_targetILNS1_3genE4ELNS1_11target_archE910ELNS1_3gpuE8ELNS1_3repE0EEENS1_30default_config_static_selectorELNS0_4arch9wavefront6targetE1EEEvT1_.kd
    .uniform_work_group_size: 1
    .uses_dynamic_stack: false
    .vgpr_count:     18
    .vgpr_spill_count: 0
    .wavefront_size: 64
  - .agpr_count:     0
    .args:
      - .offset:         0
        .size:           56
        .value_kind:     by_value
    .group_segment_fixed_size: 0
    .kernarg_segment_align: 8
    .kernarg_segment_size: 56
    .language:       OpenCL C
    .language_version:
      - 2
      - 0
    .max_flat_workgroup_size: 128
    .name:           _ZN7rocprim17ROCPRIM_400000_NS6detail17trampoline_kernelINS0_14default_configENS1_25transform_config_selectorIsLb0EEEZNS1_14transform_implILb0ES3_S5_NS0_18transform_iteratorINS0_17counting_iteratorImlEEZNS1_24adjacent_difference_implIS3_Lb1ELb0EPsN6thrust23THRUST_200600_302600_NS16discard_iteratorINSD_11use_defaultEEENSD_5minusIsEEEE10hipError_tPvRmT2_T3_mT4_P12ihipStream_tbEUlmE_sEESB_NS0_8identityIvEEEESJ_SM_SN_mSO_SQ_bEUlT_E_NS1_11comp_targetILNS1_3genE3ELNS1_11target_archE908ELNS1_3gpuE7ELNS1_3repE0EEENS1_30default_config_static_selectorELNS0_4arch9wavefront6targetE1EEEvT1_
    .private_segment_fixed_size: 0
    .sgpr_count:     4
    .sgpr_spill_count: 0
    .symbol:         _ZN7rocprim17ROCPRIM_400000_NS6detail17trampoline_kernelINS0_14default_configENS1_25transform_config_selectorIsLb0EEEZNS1_14transform_implILb0ES3_S5_NS0_18transform_iteratorINS0_17counting_iteratorImlEEZNS1_24adjacent_difference_implIS3_Lb1ELb0EPsN6thrust23THRUST_200600_302600_NS16discard_iteratorINSD_11use_defaultEEENSD_5minusIsEEEE10hipError_tPvRmT2_T3_mT4_P12ihipStream_tbEUlmE_sEESB_NS0_8identityIvEEEESJ_SM_SN_mSO_SQ_bEUlT_E_NS1_11comp_targetILNS1_3genE3ELNS1_11target_archE908ELNS1_3gpuE7ELNS1_3repE0EEENS1_30default_config_static_selectorELNS0_4arch9wavefront6targetE1EEEvT1_.kd
    .uniform_work_group_size: 1
    .uses_dynamic_stack: false
    .vgpr_count:     0
    .vgpr_spill_count: 0
    .wavefront_size: 64
  - .agpr_count:     0
    .args:
      - .offset:         0
        .size:           56
        .value_kind:     by_value
    .group_segment_fixed_size: 0
    .kernarg_segment_align: 8
    .kernarg_segment_size: 56
    .language:       OpenCL C
    .language_version:
      - 2
      - 0
    .max_flat_workgroup_size: 512
    .name:           _ZN7rocprim17ROCPRIM_400000_NS6detail17trampoline_kernelINS0_14default_configENS1_25transform_config_selectorIsLb0EEEZNS1_14transform_implILb0ES3_S5_NS0_18transform_iteratorINS0_17counting_iteratorImlEEZNS1_24adjacent_difference_implIS3_Lb1ELb0EPsN6thrust23THRUST_200600_302600_NS16discard_iteratorINSD_11use_defaultEEENSD_5minusIsEEEE10hipError_tPvRmT2_T3_mT4_P12ihipStream_tbEUlmE_sEESB_NS0_8identityIvEEEESJ_SM_SN_mSO_SQ_bEUlT_E_NS1_11comp_targetILNS1_3genE2ELNS1_11target_archE906ELNS1_3gpuE6ELNS1_3repE0EEENS1_30default_config_static_selectorELNS0_4arch9wavefront6targetE1EEEvT1_
    .private_segment_fixed_size: 0
    .sgpr_count:     4
    .sgpr_spill_count: 0
    .symbol:         _ZN7rocprim17ROCPRIM_400000_NS6detail17trampoline_kernelINS0_14default_configENS1_25transform_config_selectorIsLb0EEEZNS1_14transform_implILb0ES3_S5_NS0_18transform_iteratorINS0_17counting_iteratorImlEEZNS1_24adjacent_difference_implIS3_Lb1ELb0EPsN6thrust23THRUST_200600_302600_NS16discard_iteratorINSD_11use_defaultEEENSD_5minusIsEEEE10hipError_tPvRmT2_T3_mT4_P12ihipStream_tbEUlmE_sEESB_NS0_8identityIvEEEESJ_SM_SN_mSO_SQ_bEUlT_E_NS1_11comp_targetILNS1_3genE2ELNS1_11target_archE906ELNS1_3gpuE6ELNS1_3repE0EEENS1_30default_config_static_selectorELNS0_4arch9wavefront6targetE1EEEvT1_.kd
    .uniform_work_group_size: 1
    .uses_dynamic_stack: false
    .vgpr_count:     0
    .vgpr_spill_count: 0
    .wavefront_size: 64
  - .agpr_count:     0
    .args:
      - .offset:         0
        .size:           56
        .value_kind:     by_value
    .group_segment_fixed_size: 0
    .kernarg_segment_align: 8
    .kernarg_segment_size: 56
    .language:       OpenCL C
    .language_version:
      - 2
      - 0
    .max_flat_workgroup_size: 1024
    .name:           _ZN7rocprim17ROCPRIM_400000_NS6detail17trampoline_kernelINS0_14default_configENS1_25transform_config_selectorIsLb0EEEZNS1_14transform_implILb0ES3_S5_NS0_18transform_iteratorINS0_17counting_iteratorImlEEZNS1_24adjacent_difference_implIS3_Lb1ELb0EPsN6thrust23THRUST_200600_302600_NS16discard_iteratorINSD_11use_defaultEEENSD_5minusIsEEEE10hipError_tPvRmT2_T3_mT4_P12ihipStream_tbEUlmE_sEESB_NS0_8identityIvEEEESJ_SM_SN_mSO_SQ_bEUlT_E_NS1_11comp_targetILNS1_3genE10ELNS1_11target_archE1201ELNS1_3gpuE5ELNS1_3repE0EEENS1_30default_config_static_selectorELNS0_4arch9wavefront6targetE1EEEvT1_
    .private_segment_fixed_size: 0
    .sgpr_count:     4
    .sgpr_spill_count: 0
    .symbol:         _ZN7rocprim17ROCPRIM_400000_NS6detail17trampoline_kernelINS0_14default_configENS1_25transform_config_selectorIsLb0EEEZNS1_14transform_implILb0ES3_S5_NS0_18transform_iteratorINS0_17counting_iteratorImlEEZNS1_24adjacent_difference_implIS3_Lb1ELb0EPsN6thrust23THRUST_200600_302600_NS16discard_iteratorINSD_11use_defaultEEENSD_5minusIsEEEE10hipError_tPvRmT2_T3_mT4_P12ihipStream_tbEUlmE_sEESB_NS0_8identityIvEEEESJ_SM_SN_mSO_SQ_bEUlT_E_NS1_11comp_targetILNS1_3genE10ELNS1_11target_archE1201ELNS1_3gpuE5ELNS1_3repE0EEENS1_30default_config_static_selectorELNS0_4arch9wavefront6targetE1EEEvT1_.kd
    .uniform_work_group_size: 1
    .uses_dynamic_stack: false
    .vgpr_count:     0
    .vgpr_spill_count: 0
    .wavefront_size: 64
  - .agpr_count:     0
    .args:
      - .offset:         0
        .size:           56
        .value_kind:     by_value
    .group_segment_fixed_size: 0
    .kernarg_segment_align: 8
    .kernarg_segment_size: 56
    .language:       OpenCL C
    .language_version:
      - 2
      - 0
    .max_flat_workgroup_size: 512
    .name:           _ZN7rocprim17ROCPRIM_400000_NS6detail17trampoline_kernelINS0_14default_configENS1_25transform_config_selectorIsLb0EEEZNS1_14transform_implILb0ES3_S5_NS0_18transform_iteratorINS0_17counting_iteratorImlEEZNS1_24adjacent_difference_implIS3_Lb1ELb0EPsN6thrust23THRUST_200600_302600_NS16discard_iteratorINSD_11use_defaultEEENSD_5minusIsEEEE10hipError_tPvRmT2_T3_mT4_P12ihipStream_tbEUlmE_sEESB_NS0_8identityIvEEEESJ_SM_SN_mSO_SQ_bEUlT_E_NS1_11comp_targetILNS1_3genE10ELNS1_11target_archE1200ELNS1_3gpuE4ELNS1_3repE0EEENS1_30default_config_static_selectorELNS0_4arch9wavefront6targetE1EEEvT1_
    .private_segment_fixed_size: 0
    .sgpr_count:     4
    .sgpr_spill_count: 0
    .symbol:         _ZN7rocprim17ROCPRIM_400000_NS6detail17trampoline_kernelINS0_14default_configENS1_25transform_config_selectorIsLb0EEEZNS1_14transform_implILb0ES3_S5_NS0_18transform_iteratorINS0_17counting_iteratorImlEEZNS1_24adjacent_difference_implIS3_Lb1ELb0EPsN6thrust23THRUST_200600_302600_NS16discard_iteratorINSD_11use_defaultEEENSD_5minusIsEEEE10hipError_tPvRmT2_T3_mT4_P12ihipStream_tbEUlmE_sEESB_NS0_8identityIvEEEESJ_SM_SN_mSO_SQ_bEUlT_E_NS1_11comp_targetILNS1_3genE10ELNS1_11target_archE1200ELNS1_3gpuE4ELNS1_3repE0EEENS1_30default_config_static_selectorELNS0_4arch9wavefront6targetE1EEEvT1_.kd
    .uniform_work_group_size: 1
    .uses_dynamic_stack: false
    .vgpr_count:     0
    .vgpr_spill_count: 0
    .wavefront_size: 64
  - .agpr_count:     0
    .args:
      - .offset:         0
        .size:           56
        .value_kind:     by_value
    .group_segment_fixed_size: 0
    .kernarg_segment_align: 8
    .kernarg_segment_size: 56
    .language:       OpenCL C
    .language_version:
      - 2
      - 0
    .max_flat_workgroup_size: 1024
    .name:           _ZN7rocprim17ROCPRIM_400000_NS6detail17trampoline_kernelINS0_14default_configENS1_25transform_config_selectorIsLb0EEEZNS1_14transform_implILb0ES3_S5_NS0_18transform_iteratorINS0_17counting_iteratorImlEEZNS1_24adjacent_difference_implIS3_Lb1ELb0EPsN6thrust23THRUST_200600_302600_NS16discard_iteratorINSD_11use_defaultEEENSD_5minusIsEEEE10hipError_tPvRmT2_T3_mT4_P12ihipStream_tbEUlmE_sEESB_NS0_8identityIvEEEESJ_SM_SN_mSO_SQ_bEUlT_E_NS1_11comp_targetILNS1_3genE9ELNS1_11target_archE1100ELNS1_3gpuE3ELNS1_3repE0EEENS1_30default_config_static_selectorELNS0_4arch9wavefront6targetE1EEEvT1_
    .private_segment_fixed_size: 0
    .sgpr_count:     4
    .sgpr_spill_count: 0
    .symbol:         _ZN7rocprim17ROCPRIM_400000_NS6detail17trampoline_kernelINS0_14default_configENS1_25transform_config_selectorIsLb0EEEZNS1_14transform_implILb0ES3_S5_NS0_18transform_iteratorINS0_17counting_iteratorImlEEZNS1_24adjacent_difference_implIS3_Lb1ELb0EPsN6thrust23THRUST_200600_302600_NS16discard_iteratorINSD_11use_defaultEEENSD_5minusIsEEEE10hipError_tPvRmT2_T3_mT4_P12ihipStream_tbEUlmE_sEESB_NS0_8identityIvEEEESJ_SM_SN_mSO_SQ_bEUlT_E_NS1_11comp_targetILNS1_3genE9ELNS1_11target_archE1100ELNS1_3gpuE3ELNS1_3repE0EEENS1_30default_config_static_selectorELNS0_4arch9wavefront6targetE1EEEvT1_.kd
    .uniform_work_group_size: 1
    .uses_dynamic_stack: false
    .vgpr_count:     0
    .vgpr_spill_count: 0
    .wavefront_size: 64
  - .agpr_count:     0
    .args:
      - .offset:         0
        .size:           56
        .value_kind:     by_value
    .group_segment_fixed_size: 0
    .kernarg_segment_align: 8
    .kernarg_segment_size: 56
    .language:       OpenCL C
    .language_version:
      - 2
      - 0
    .max_flat_workgroup_size: 1024
    .name:           _ZN7rocprim17ROCPRIM_400000_NS6detail17trampoline_kernelINS0_14default_configENS1_25transform_config_selectorIsLb0EEEZNS1_14transform_implILb0ES3_S5_NS0_18transform_iteratorINS0_17counting_iteratorImlEEZNS1_24adjacent_difference_implIS3_Lb1ELb0EPsN6thrust23THRUST_200600_302600_NS16discard_iteratorINSD_11use_defaultEEENSD_5minusIsEEEE10hipError_tPvRmT2_T3_mT4_P12ihipStream_tbEUlmE_sEESB_NS0_8identityIvEEEESJ_SM_SN_mSO_SQ_bEUlT_E_NS1_11comp_targetILNS1_3genE8ELNS1_11target_archE1030ELNS1_3gpuE2ELNS1_3repE0EEENS1_30default_config_static_selectorELNS0_4arch9wavefront6targetE1EEEvT1_
    .private_segment_fixed_size: 0
    .sgpr_count:     4
    .sgpr_spill_count: 0
    .symbol:         _ZN7rocprim17ROCPRIM_400000_NS6detail17trampoline_kernelINS0_14default_configENS1_25transform_config_selectorIsLb0EEEZNS1_14transform_implILb0ES3_S5_NS0_18transform_iteratorINS0_17counting_iteratorImlEEZNS1_24adjacent_difference_implIS3_Lb1ELb0EPsN6thrust23THRUST_200600_302600_NS16discard_iteratorINSD_11use_defaultEEENSD_5minusIsEEEE10hipError_tPvRmT2_T3_mT4_P12ihipStream_tbEUlmE_sEESB_NS0_8identityIvEEEESJ_SM_SN_mSO_SQ_bEUlT_E_NS1_11comp_targetILNS1_3genE8ELNS1_11target_archE1030ELNS1_3gpuE2ELNS1_3repE0EEENS1_30default_config_static_selectorELNS0_4arch9wavefront6targetE1EEEvT1_.kd
    .uniform_work_group_size: 1
    .uses_dynamic_stack: false
    .vgpr_count:     0
    .vgpr_spill_count: 0
    .wavefront_size: 64
  - .agpr_count:     0
    .args:
      - .offset:         0
        .size:           64
        .value_kind:     by_value
    .group_segment_fixed_size: 0
    .kernarg_segment_align: 8
    .kernarg_segment_size: 64
    .language:       OpenCL C
    .language_version:
      - 2
      - 0
    .max_flat_workgroup_size: 32
    .name:           _ZN7rocprim17ROCPRIM_400000_NS6detail17trampoline_kernelINS0_14default_configENS1_35adjacent_difference_config_selectorILb1EsEEZNS1_24adjacent_difference_implIS3_Lb1ELb0EPsN6thrust23THRUST_200600_302600_NS16discard_iteratorINS9_11use_defaultEEENS9_5minusIsEEEE10hipError_tPvRmT2_T3_mT4_P12ihipStream_tbEUlT_E_NS1_11comp_targetILNS1_3genE0ELNS1_11target_archE4294967295ELNS1_3gpuE0ELNS1_3repE0EEENS1_30default_config_static_selectorELNS0_4arch9wavefront6targetE1EEEvT1_
    .private_segment_fixed_size: 0
    .sgpr_count:     4
    .sgpr_spill_count: 0
    .symbol:         _ZN7rocprim17ROCPRIM_400000_NS6detail17trampoline_kernelINS0_14default_configENS1_35adjacent_difference_config_selectorILb1EsEEZNS1_24adjacent_difference_implIS3_Lb1ELb0EPsN6thrust23THRUST_200600_302600_NS16discard_iteratorINS9_11use_defaultEEENS9_5minusIsEEEE10hipError_tPvRmT2_T3_mT4_P12ihipStream_tbEUlT_E_NS1_11comp_targetILNS1_3genE0ELNS1_11target_archE4294967295ELNS1_3gpuE0ELNS1_3repE0EEENS1_30default_config_static_selectorELNS0_4arch9wavefront6targetE1EEEvT1_.kd
    .uniform_work_group_size: 1
    .uses_dynamic_stack: false
    .vgpr_count:     0
    .vgpr_spill_count: 0
    .wavefront_size: 64
  - .agpr_count:     0
    .args:
      - .offset:         0
        .size:           64
        .value_kind:     by_value
    .group_segment_fixed_size: 0
    .kernarg_segment_align: 8
    .kernarg_segment_size: 64
    .language:       OpenCL C
    .language_version:
      - 2
      - 0
    .max_flat_workgroup_size: 512
    .name:           _ZN7rocprim17ROCPRIM_400000_NS6detail17trampoline_kernelINS0_14default_configENS1_35adjacent_difference_config_selectorILb1EsEEZNS1_24adjacent_difference_implIS3_Lb1ELb0EPsN6thrust23THRUST_200600_302600_NS16discard_iteratorINS9_11use_defaultEEENS9_5minusIsEEEE10hipError_tPvRmT2_T3_mT4_P12ihipStream_tbEUlT_E_NS1_11comp_targetILNS1_3genE10ELNS1_11target_archE1201ELNS1_3gpuE5ELNS1_3repE0EEENS1_30default_config_static_selectorELNS0_4arch9wavefront6targetE1EEEvT1_
    .private_segment_fixed_size: 0
    .sgpr_count:     4
    .sgpr_spill_count: 0
    .symbol:         _ZN7rocprim17ROCPRIM_400000_NS6detail17trampoline_kernelINS0_14default_configENS1_35adjacent_difference_config_selectorILb1EsEEZNS1_24adjacent_difference_implIS3_Lb1ELb0EPsN6thrust23THRUST_200600_302600_NS16discard_iteratorINS9_11use_defaultEEENS9_5minusIsEEEE10hipError_tPvRmT2_T3_mT4_P12ihipStream_tbEUlT_E_NS1_11comp_targetILNS1_3genE10ELNS1_11target_archE1201ELNS1_3gpuE5ELNS1_3repE0EEENS1_30default_config_static_selectorELNS0_4arch9wavefront6targetE1EEEvT1_.kd
    .uniform_work_group_size: 1
    .uses_dynamic_stack: false
    .vgpr_count:     0
    .vgpr_spill_count: 0
    .wavefront_size: 64
  - .agpr_count:     0
    .args:
      - .offset:         0
        .size:           64
        .value_kind:     by_value
    .group_segment_fixed_size: 0
    .kernarg_segment_align: 8
    .kernarg_segment_size: 64
    .language:       OpenCL C
    .language_version:
      - 2
      - 0
    .max_flat_workgroup_size: 64
    .name:           _ZN7rocprim17ROCPRIM_400000_NS6detail17trampoline_kernelINS0_14default_configENS1_35adjacent_difference_config_selectorILb1EsEEZNS1_24adjacent_difference_implIS3_Lb1ELb0EPsN6thrust23THRUST_200600_302600_NS16discard_iteratorINS9_11use_defaultEEENS9_5minusIsEEEE10hipError_tPvRmT2_T3_mT4_P12ihipStream_tbEUlT_E_NS1_11comp_targetILNS1_3genE5ELNS1_11target_archE942ELNS1_3gpuE9ELNS1_3repE0EEENS1_30default_config_static_selectorELNS0_4arch9wavefront6targetE1EEEvT1_
    .private_segment_fixed_size: 0
    .sgpr_count:     4
    .sgpr_spill_count: 0
    .symbol:         _ZN7rocprim17ROCPRIM_400000_NS6detail17trampoline_kernelINS0_14default_configENS1_35adjacent_difference_config_selectorILb1EsEEZNS1_24adjacent_difference_implIS3_Lb1ELb0EPsN6thrust23THRUST_200600_302600_NS16discard_iteratorINS9_11use_defaultEEENS9_5minusIsEEEE10hipError_tPvRmT2_T3_mT4_P12ihipStream_tbEUlT_E_NS1_11comp_targetILNS1_3genE5ELNS1_11target_archE942ELNS1_3gpuE9ELNS1_3repE0EEENS1_30default_config_static_selectorELNS0_4arch9wavefront6targetE1EEEvT1_.kd
    .uniform_work_group_size: 1
    .uses_dynamic_stack: false
    .vgpr_count:     0
    .vgpr_spill_count: 0
    .wavefront_size: 64
  - .agpr_count:     0
    .args:
      - .offset:         0
        .size:           64
        .value_kind:     by_value
    .group_segment_fixed_size: 2176
    .kernarg_segment_align: 8
    .kernarg_segment_size: 64
    .language:       OpenCL C
    .language_version:
      - 2
      - 0
    .max_flat_workgroup_size: 64
    .name:           _ZN7rocprim17ROCPRIM_400000_NS6detail17trampoline_kernelINS0_14default_configENS1_35adjacent_difference_config_selectorILb1EsEEZNS1_24adjacent_difference_implIS3_Lb1ELb0EPsN6thrust23THRUST_200600_302600_NS16discard_iteratorINS9_11use_defaultEEENS9_5minusIsEEEE10hipError_tPvRmT2_T3_mT4_P12ihipStream_tbEUlT_E_NS1_11comp_targetILNS1_3genE4ELNS1_11target_archE910ELNS1_3gpuE8ELNS1_3repE0EEENS1_30default_config_static_selectorELNS0_4arch9wavefront6targetE1EEEvT1_
    .private_segment_fixed_size: 0
    .sgpr_count:     25
    .sgpr_spill_count: 0
    .symbol:         _ZN7rocprim17ROCPRIM_400000_NS6detail17trampoline_kernelINS0_14default_configENS1_35adjacent_difference_config_selectorILb1EsEEZNS1_24adjacent_difference_implIS3_Lb1ELb0EPsN6thrust23THRUST_200600_302600_NS16discard_iteratorINS9_11use_defaultEEENS9_5minusIsEEEE10hipError_tPvRmT2_T3_mT4_P12ihipStream_tbEUlT_E_NS1_11comp_targetILNS1_3genE4ELNS1_11target_archE910ELNS1_3gpuE8ELNS1_3repE0EEENS1_30default_config_static_selectorELNS0_4arch9wavefront6targetE1EEEvT1_.kd
    .uniform_work_group_size: 1
    .uses_dynamic_stack: false
    .vgpr_count:     32
    .vgpr_spill_count: 0
    .wavefront_size: 64
  - .agpr_count:     0
    .args:
      - .offset:         0
        .size:           64
        .value_kind:     by_value
    .group_segment_fixed_size: 0
    .kernarg_segment_align: 8
    .kernarg_segment_size: 64
    .language:       OpenCL C
    .language_version:
      - 2
      - 0
    .max_flat_workgroup_size: 32
    .name:           _ZN7rocprim17ROCPRIM_400000_NS6detail17trampoline_kernelINS0_14default_configENS1_35adjacent_difference_config_selectorILb1EsEEZNS1_24adjacent_difference_implIS3_Lb1ELb0EPsN6thrust23THRUST_200600_302600_NS16discard_iteratorINS9_11use_defaultEEENS9_5minusIsEEEE10hipError_tPvRmT2_T3_mT4_P12ihipStream_tbEUlT_E_NS1_11comp_targetILNS1_3genE3ELNS1_11target_archE908ELNS1_3gpuE7ELNS1_3repE0EEENS1_30default_config_static_selectorELNS0_4arch9wavefront6targetE1EEEvT1_
    .private_segment_fixed_size: 0
    .sgpr_count:     4
    .sgpr_spill_count: 0
    .symbol:         _ZN7rocprim17ROCPRIM_400000_NS6detail17trampoline_kernelINS0_14default_configENS1_35adjacent_difference_config_selectorILb1EsEEZNS1_24adjacent_difference_implIS3_Lb1ELb0EPsN6thrust23THRUST_200600_302600_NS16discard_iteratorINS9_11use_defaultEEENS9_5minusIsEEEE10hipError_tPvRmT2_T3_mT4_P12ihipStream_tbEUlT_E_NS1_11comp_targetILNS1_3genE3ELNS1_11target_archE908ELNS1_3gpuE7ELNS1_3repE0EEENS1_30default_config_static_selectorELNS0_4arch9wavefront6targetE1EEEvT1_.kd
    .uniform_work_group_size: 1
    .uses_dynamic_stack: false
    .vgpr_count:     0
    .vgpr_spill_count: 0
    .wavefront_size: 64
  - .agpr_count:     0
    .args:
      - .offset:         0
        .size:           64
        .value_kind:     by_value
    .group_segment_fixed_size: 0
    .kernarg_segment_align: 8
    .kernarg_segment_size: 64
    .language:       OpenCL C
    .language_version:
      - 2
      - 0
    .max_flat_workgroup_size: 64
    .name:           _ZN7rocprim17ROCPRIM_400000_NS6detail17trampoline_kernelINS0_14default_configENS1_35adjacent_difference_config_selectorILb1EsEEZNS1_24adjacent_difference_implIS3_Lb1ELb0EPsN6thrust23THRUST_200600_302600_NS16discard_iteratorINS9_11use_defaultEEENS9_5minusIsEEEE10hipError_tPvRmT2_T3_mT4_P12ihipStream_tbEUlT_E_NS1_11comp_targetILNS1_3genE2ELNS1_11target_archE906ELNS1_3gpuE6ELNS1_3repE0EEENS1_30default_config_static_selectorELNS0_4arch9wavefront6targetE1EEEvT1_
    .private_segment_fixed_size: 0
    .sgpr_count:     4
    .sgpr_spill_count: 0
    .symbol:         _ZN7rocprim17ROCPRIM_400000_NS6detail17trampoline_kernelINS0_14default_configENS1_35adjacent_difference_config_selectorILb1EsEEZNS1_24adjacent_difference_implIS3_Lb1ELb0EPsN6thrust23THRUST_200600_302600_NS16discard_iteratorINS9_11use_defaultEEENS9_5minusIsEEEE10hipError_tPvRmT2_T3_mT4_P12ihipStream_tbEUlT_E_NS1_11comp_targetILNS1_3genE2ELNS1_11target_archE906ELNS1_3gpuE6ELNS1_3repE0EEENS1_30default_config_static_selectorELNS0_4arch9wavefront6targetE1EEEvT1_.kd
    .uniform_work_group_size: 1
    .uses_dynamic_stack: false
    .vgpr_count:     0
    .vgpr_spill_count: 0
    .wavefront_size: 64
  - .agpr_count:     0
    .args:
      - .offset:         0
        .size:           64
        .value_kind:     by_value
    .group_segment_fixed_size: 0
    .kernarg_segment_align: 8
    .kernarg_segment_size: 64
    .language:       OpenCL C
    .language_version:
      - 2
      - 0
    .max_flat_workgroup_size: 128
    .name:           _ZN7rocprim17ROCPRIM_400000_NS6detail17trampoline_kernelINS0_14default_configENS1_35adjacent_difference_config_selectorILb1EsEEZNS1_24adjacent_difference_implIS3_Lb1ELb0EPsN6thrust23THRUST_200600_302600_NS16discard_iteratorINS9_11use_defaultEEENS9_5minusIsEEEE10hipError_tPvRmT2_T3_mT4_P12ihipStream_tbEUlT_E_NS1_11comp_targetILNS1_3genE9ELNS1_11target_archE1100ELNS1_3gpuE3ELNS1_3repE0EEENS1_30default_config_static_selectorELNS0_4arch9wavefront6targetE1EEEvT1_
    .private_segment_fixed_size: 0
    .sgpr_count:     4
    .sgpr_spill_count: 0
    .symbol:         _ZN7rocprim17ROCPRIM_400000_NS6detail17trampoline_kernelINS0_14default_configENS1_35adjacent_difference_config_selectorILb1EsEEZNS1_24adjacent_difference_implIS3_Lb1ELb0EPsN6thrust23THRUST_200600_302600_NS16discard_iteratorINS9_11use_defaultEEENS9_5minusIsEEEE10hipError_tPvRmT2_T3_mT4_P12ihipStream_tbEUlT_E_NS1_11comp_targetILNS1_3genE9ELNS1_11target_archE1100ELNS1_3gpuE3ELNS1_3repE0EEENS1_30default_config_static_selectorELNS0_4arch9wavefront6targetE1EEEvT1_.kd
    .uniform_work_group_size: 1
    .uses_dynamic_stack: false
    .vgpr_count:     0
    .vgpr_spill_count: 0
    .wavefront_size: 64
  - .agpr_count:     0
    .args:
      - .offset:         0
        .size:           64
        .value_kind:     by_value
    .group_segment_fixed_size: 0
    .kernarg_segment_align: 8
    .kernarg_segment_size: 64
    .language:       OpenCL C
    .language_version:
      - 2
      - 0
    .max_flat_workgroup_size: 512
    .name:           _ZN7rocprim17ROCPRIM_400000_NS6detail17trampoline_kernelINS0_14default_configENS1_35adjacent_difference_config_selectorILb1EsEEZNS1_24adjacent_difference_implIS3_Lb1ELb0EPsN6thrust23THRUST_200600_302600_NS16discard_iteratorINS9_11use_defaultEEENS9_5minusIsEEEE10hipError_tPvRmT2_T3_mT4_P12ihipStream_tbEUlT_E_NS1_11comp_targetILNS1_3genE8ELNS1_11target_archE1030ELNS1_3gpuE2ELNS1_3repE0EEENS1_30default_config_static_selectorELNS0_4arch9wavefront6targetE1EEEvT1_
    .private_segment_fixed_size: 0
    .sgpr_count:     4
    .sgpr_spill_count: 0
    .symbol:         _ZN7rocprim17ROCPRIM_400000_NS6detail17trampoline_kernelINS0_14default_configENS1_35adjacent_difference_config_selectorILb1EsEEZNS1_24adjacent_difference_implIS3_Lb1ELb0EPsN6thrust23THRUST_200600_302600_NS16discard_iteratorINS9_11use_defaultEEENS9_5minusIsEEEE10hipError_tPvRmT2_T3_mT4_P12ihipStream_tbEUlT_E_NS1_11comp_targetILNS1_3genE8ELNS1_11target_archE1030ELNS1_3gpuE2ELNS1_3repE0EEENS1_30default_config_static_selectorELNS0_4arch9wavefront6targetE1EEEvT1_.kd
    .uniform_work_group_size: 1
    .uses_dynamic_stack: false
    .vgpr_count:     0
    .vgpr_spill_count: 0
    .wavefront_size: 64
  - .agpr_count:     0
    .args:
      - .offset:         0
        .size:           56
        .value_kind:     by_value
    .group_segment_fixed_size: 0
    .kernarg_segment_align: 8
    .kernarg_segment_size: 56
    .language:       OpenCL C
    .language_version:
      - 2
      - 0
    .max_flat_workgroup_size: 128
    .name:           _ZN7rocprim17ROCPRIM_400000_NS6detail17trampoline_kernelINS0_14default_configENS1_25transform_config_selectorItLb0EEEZNS1_14transform_implILb0ES3_S5_NS0_18transform_iteratorINS0_17counting_iteratorImlEEZNS1_24adjacent_difference_implIS3_Lb1ELb0EPtN6thrust23THRUST_200600_302600_NS16discard_iteratorINSD_11use_defaultEEENSD_5minusItEEEE10hipError_tPvRmT2_T3_mT4_P12ihipStream_tbEUlmE_tEESB_NS0_8identityIvEEEESJ_SM_SN_mSO_SQ_bEUlT_E_NS1_11comp_targetILNS1_3genE0ELNS1_11target_archE4294967295ELNS1_3gpuE0ELNS1_3repE0EEENS1_30default_config_static_selectorELNS0_4arch9wavefront6targetE1EEEvT1_
    .private_segment_fixed_size: 0
    .sgpr_count:     4
    .sgpr_spill_count: 0
    .symbol:         _ZN7rocprim17ROCPRIM_400000_NS6detail17trampoline_kernelINS0_14default_configENS1_25transform_config_selectorItLb0EEEZNS1_14transform_implILb0ES3_S5_NS0_18transform_iteratorINS0_17counting_iteratorImlEEZNS1_24adjacent_difference_implIS3_Lb1ELb0EPtN6thrust23THRUST_200600_302600_NS16discard_iteratorINSD_11use_defaultEEENSD_5minusItEEEE10hipError_tPvRmT2_T3_mT4_P12ihipStream_tbEUlmE_tEESB_NS0_8identityIvEEEESJ_SM_SN_mSO_SQ_bEUlT_E_NS1_11comp_targetILNS1_3genE0ELNS1_11target_archE4294967295ELNS1_3gpuE0ELNS1_3repE0EEENS1_30default_config_static_selectorELNS0_4arch9wavefront6targetE1EEEvT1_.kd
    .uniform_work_group_size: 1
    .uses_dynamic_stack: false
    .vgpr_count:     0
    .vgpr_spill_count: 0
    .wavefront_size: 64
  - .agpr_count:     0
    .args:
      - .offset:         0
        .size:           56
        .value_kind:     by_value
    .group_segment_fixed_size: 0
    .kernarg_segment_align: 8
    .kernarg_segment_size: 56
    .language:       OpenCL C
    .language_version:
      - 2
      - 0
    .max_flat_workgroup_size: 256
    .name:           _ZN7rocprim17ROCPRIM_400000_NS6detail17trampoline_kernelINS0_14default_configENS1_25transform_config_selectorItLb0EEEZNS1_14transform_implILb0ES3_S5_NS0_18transform_iteratorINS0_17counting_iteratorImlEEZNS1_24adjacent_difference_implIS3_Lb1ELb0EPtN6thrust23THRUST_200600_302600_NS16discard_iteratorINSD_11use_defaultEEENSD_5minusItEEEE10hipError_tPvRmT2_T3_mT4_P12ihipStream_tbEUlmE_tEESB_NS0_8identityIvEEEESJ_SM_SN_mSO_SQ_bEUlT_E_NS1_11comp_targetILNS1_3genE5ELNS1_11target_archE942ELNS1_3gpuE9ELNS1_3repE0EEENS1_30default_config_static_selectorELNS0_4arch9wavefront6targetE1EEEvT1_
    .private_segment_fixed_size: 0
    .sgpr_count:     4
    .sgpr_spill_count: 0
    .symbol:         _ZN7rocprim17ROCPRIM_400000_NS6detail17trampoline_kernelINS0_14default_configENS1_25transform_config_selectorItLb0EEEZNS1_14transform_implILb0ES3_S5_NS0_18transform_iteratorINS0_17counting_iteratorImlEEZNS1_24adjacent_difference_implIS3_Lb1ELb0EPtN6thrust23THRUST_200600_302600_NS16discard_iteratorINSD_11use_defaultEEENSD_5minusItEEEE10hipError_tPvRmT2_T3_mT4_P12ihipStream_tbEUlmE_tEESB_NS0_8identityIvEEEESJ_SM_SN_mSO_SQ_bEUlT_E_NS1_11comp_targetILNS1_3genE5ELNS1_11target_archE942ELNS1_3gpuE9ELNS1_3repE0EEENS1_30default_config_static_selectorELNS0_4arch9wavefront6targetE1EEEvT1_.kd
    .uniform_work_group_size: 1
    .uses_dynamic_stack: false
    .vgpr_count:     0
    .vgpr_spill_count: 0
    .wavefront_size: 64
  - .agpr_count:     0
    .args:
      - .offset:         0
        .size:           56
        .value_kind:     by_value
      - .offset:         56
        .size:           4
        .value_kind:     hidden_block_count_x
      - .offset:         60
        .size:           4
        .value_kind:     hidden_block_count_y
      - .offset:         64
        .size:           4
        .value_kind:     hidden_block_count_z
      - .offset:         68
        .size:           2
        .value_kind:     hidden_group_size_x
      - .offset:         70
        .size:           2
        .value_kind:     hidden_group_size_y
      - .offset:         72
        .size:           2
        .value_kind:     hidden_group_size_z
      - .offset:         74
        .size:           2
        .value_kind:     hidden_remainder_x
      - .offset:         76
        .size:           2
        .value_kind:     hidden_remainder_y
      - .offset:         78
        .size:           2
        .value_kind:     hidden_remainder_z
      - .offset:         96
        .size:           8
        .value_kind:     hidden_global_offset_x
      - .offset:         104
        .size:           8
        .value_kind:     hidden_global_offset_y
      - .offset:         112
        .size:           8
        .value_kind:     hidden_global_offset_z
      - .offset:         120
        .size:           2
        .value_kind:     hidden_grid_dims
    .group_segment_fixed_size: 0
    .kernarg_segment_align: 8
    .kernarg_segment_size: 312
    .language:       OpenCL C
    .language_version:
      - 2
      - 0
    .max_flat_workgroup_size: 64
    .name:           _ZN7rocprim17ROCPRIM_400000_NS6detail17trampoline_kernelINS0_14default_configENS1_25transform_config_selectorItLb0EEEZNS1_14transform_implILb0ES3_S5_NS0_18transform_iteratorINS0_17counting_iteratorImlEEZNS1_24adjacent_difference_implIS3_Lb1ELb0EPtN6thrust23THRUST_200600_302600_NS16discard_iteratorINSD_11use_defaultEEENSD_5minusItEEEE10hipError_tPvRmT2_T3_mT4_P12ihipStream_tbEUlmE_tEESB_NS0_8identityIvEEEESJ_SM_SN_mSO_SQ_bEUlT_E_NS1_11comp_targetILNS1_3genE4ELNS1_11target_archE910ELNS1_3gpuE8ELNS1_3repE0EEENS1_30default_config_static_selectorELNS0_4arch9wavefront6targetE1EEEvT1_
    .private_segment_fixed_size: 0
    .sgpr_count:     34
    .sgpr_spill_count: 0
    .symbol:         _ZN7rocprim17ROCPRIM_400000_NS6detail17trampoline_kernelINS0_14default_configENS1_25transform_config_selectorItLb0EEEZNS1_14transform_implILb0ES3_S5_NS0_18transform_iteratorINS0_17counting_iteratorImlEEZNS1_24adjacent_difference_implIS3_Lb1ELb0EPtN6thrust23THRUST_200600_302600_NS16discard_iteratorINSD_11use_defaultEEENSD_5minusItEEEE10hipError_tPvRmT2_T3_mT4_P12ihipStream_tbEUlmE_tEESB_NS0_8identityIvEEEESJ_SM_SN_mSO_SQ_bEUlT_E_NS1_11comp_targetILNS1_3genE4ELNS1_11target_archE910ELNS1_3gpuE8ELNS1_3repE0EEENS1_30default_config_static_selectorELNS0_4arch9wavefront6targetE1EEEvT1_.kd
    .uniform_work_group_size: 1
    .uses_dynamic_stack: false
    .vgpr_count:     18
    .vgpr_spill_count: 0
    .wavefront_size: 64
  - .agpr_count:     0
    .args:
      - .offset:         0
        .size:           56
        .value_kind:     by_value
    .group_segment_fixed_size: 0
    .kernarg_segment_align: 8
    .kernarg_segment_size: 56
    .language:       OpenCL C
    .language_version:
      - 2
      - 0
    .max_flat_workgroup_size: 128
    .name:           _ZN7rocprim17ROCPRIM_400000_NS6detail17trampoline_kernelINS0_14default_configENS1_25transform_config_selectorItLb0EEEZNS1_14transform_implILb0ES3_S5_NS0_18transform_iteratorINS0_17counting_iteratorImlEEZNS1_24adjacent_difference_implIS3_Lb1ELb0EPtN6thrust23THRUST_200600_302600_NS16discard_iteratorINSD_11use_defaultEEENSD_5minusItEEEE10hipError_tPvRmT2_T3_mT4_P12ihipStream_tbEUlmE_tEESB_NS0_8identityIvEEEESJ_SM_SN_mSO_SQ_bEUlT_E_NS1_11comp_targetILNS1_3genE3ELNS1_11target_archE908ELNS1_3gpuE7ELNS1_3repE0EEENS1_30default_config_static_selectorELNS0_4arch9wavefront6targetE1EEEvT1_
    .private_segment_fixed_size: 0
    .sgpr_count:     4
    .sgpr_spill_count: 0
    .symbol:         _ZN7rocprim17ROCPRIM_400000_NS6detail17trampoline_kernelINS0_14default_configENS1_25transform_config_selectorItLb0EEEZNS1_14transform_implILb0ES3_S5_NS0_18transform_iteratorINS0_17counting_iteratorImlEEZNS1_24adjacent_difference_implIS3_Lb1ELb0EPtN6thrust23THRUST_200600_302600_NS16discard_iteratorINSD_11use_defaultEEENSD_5minusItEEEE10hipError_tPvRmT2_T3_mT4_P12ihipStream_tbEUlmE_tEESB_NS0_8identityIvEEEESJ_SM_SN_mSO_SQ_bEUlT_E_NS1_11comp_targetILNS1_3genE3ELNS1_11target_archE908ELNS1_3gpuE7ELNS1_3repE0EEENS1_30default_config_static_selectorELNS0_4arch9wavefront6targetE1EEEvT1_.kd
    .uniform_work_group_size: 1
    .uses_dynamic_stack: false
    .vgpr_count:     0
    .vgpr_spill_count: 0
    .wavefront_size: 64
  - .agpr_count:     0
    .args:
      - .offset:         0
        .size:           56
        .value_kind:     by_value
    .group_segment_fixed_size: 0
    .kernarg_segment_align: 8
    .kernarg_segment_size: 56
    .language:       OpenCL C
    .language_version:
      - 2
      - 0
    .max_flat_workgroup_size: 512
    .name:           _ZN7rocprim17ROCPRIM_400000_NS6detail17trampoline_kernelINS0_14default_configENS1_25transform_config_selectorItLb0EEEZNS1_14transform_implILb0ES3_S5_NS0_18transform_iteratorINS0_17counting_iteratorImlEEZNS1_24adjacent_difference_implIS3_Lb1ELb0EPtN6thrust23THRUST_200600_302600_NS16discard_iteratorINSD_11use_defaultEEENSD_5minusItEEEE10hipError_tPvRmT2_T3_mT4_P12ihipStream_tbEUlmE_tEESB_NS0_8identityIvEEEESJ_SM_SN_mSO_SQ_bEUlT_E_NS1_11comp_targetILNS1_3genE2ELNS1_11target_archE906ELNS1_3gpuE6ELNS1_3repE0EEENS1_30default_config_static_selectorELNS0_4arch9wavefront6targetE1EEEvT1_
    .private_segment_fixed_size: 0
    .sgpr_count:     4
    .sgpr_spill_count: 0
    .symbol:         _ZN7rocprim17ROCPRIM_400000_NS6detail17trampoline_kernelINS0_14default_configENS1_25transform_config_selectorItLb0EEEZNS1_14transform_implILb0ES3_S5_NS0_18transform_iteratorINS0_17counting_iteratorImlEEZNS1_24adjacent_difference_implIS3_Lb1ELb0EPtN6thrust23THRUST_200600_302600_NS16discard_iteratorINSD_11use_defaultEEENSD_5minusItEEEE10hipError_tPvRmT2_T3_mT4_P12ihipStream_tbEUlmE_tEESB_NS0_8identityIvEEEESJ_SM_SN_mSO_SQ_bEUlT_E_NS1_11comp_targetILNS1_3genE2ELNS1_11target_archE906ELNS1_3gpuE6ELNS1_3repE0EEENS1_30default_config_static_selectorELNS0_4arch9wavefront6targetE1EEEvT1_.kd
    .uniform_work_group_size: 1
    .uses_dynamic_stack: false
    .vgpr_count:     0
    .vgpr_spill_count: 0
    .wavefront_size: 64
  - .agpr_count:     0
    .args:
      - .offset:         0
        .size:           56
        .value_kind:     by_value
    .group_segment_fixed_size: 0
    .kernarg_segment_align: 8
    .kernarg_segment_size: 56
    .language:       OpenCL C
    .language_version:
      - 2
      - 0
    .max_flat_workgroup_size: 1024
    .name:           _ZN7rocprim17ROCPRIM_400000_NS6detail17trampoline_kernelINS0_14default_configENS1_25transform_config_selectorItLb0EEEZNS1_14transform_implILb0ES3_S5_NS0_18transform_iteratorINS0_17counting_iteratorImlEEZNS1_24adjacent_difference_implIS3_Lb1ELb0EPtN6thrust23THRUST_200600_302600_NS16discard_iteratorINSD_11use_defaultEEENSD_5minusItEEEE10hipError_tPvRmT2_T3_mT4_P12ihipStream_tbEUlmE_tEESB_NS0_8identityIvEEEESJ_SM_SN_mSO_SQ_bEUlT_E_NS1_11comp_targetILNS1_3genE10ELNS1_11target_archE1201ELNS1_3gpuE5ELNS1_3repE0EEENS1_30default_config_static_selectorELNS0_4arch9wavefront6targetE1EEEvT1_
    .private_segment_fixed_size: 0
    .sgpr_count:     4
    .sgpr_spill_count: 0
    .symbol:         _ZN7rocprim17ROCPRIM_400000_NS6detail17trampoline_kernelINS0_14default_configENS1_25transform_config_selectorItLb0EEEZNS1_14transform_implILb0ES3_S5_NS0_18transform_iteratorINS0_17counting_iteratorImlEEZNS1_24adjacent_difference_implIS3_Lb1ELb0EPtN6thrust23THRUST_200600_302600_NS16discard_iteratorINSD_11use_defaultEEENSD_5minusItEEEE10hipError_tPvRmT2_T3_mT4_P12ihipStream_tbEUlmE_tEESB_NS0_8identityIvEEEESJ_SM_SN_mSO_SQ_bEUlT_E_NS1_11comp_targetILNS1_3genE10ELNS1_11target_archE1201ELNS1_3gpuE5ELNS1_3repE0EEENS1_30default_config_static_selectorELNS0_4arch9wavefront6targetE1EEEvT1_.kd
    .uniform_work_group_size: 1
    .uses_dynamic_stack: false
    .vgpr_count:     0
    .vgpr_spill_count: 0
    .wavefront_size: 64
  - .agpr_count:     0
    .args:
      - .offset:         0
        .size:           56
        .value_kind:     by_value
    .group_segment_fixed_size: 0
    .kernarg_segment_align: 8
    .kernarg_segment_size: 56
    .language:       OpenCL C
    .language_version:
      - 2
      - 0
    .max_flat_workgroup_size: 512
    .name:           _ZN7rocprim17ROCPRIM_400000_NS6detail17trampoline_kernelINS0_14default_configENS1_25transform_config_selectorItLb0EEEZNS1_14transform_implILb0ES3_S5_NS0_18transform_iteratorINS0_17counting_iteratorImlEEZNS1_24adjacent_difference_implIS3_Lb1ELb0EPtN6thrust23THRUST_200600_302600_NS16discard_iteratorINSD_11use_defaultEEENSD_5minusItEEEE10hipError_tPvRmT2_T3_mT4_P12ihipStream_tbEUlmE_tEESB_NS0_8identityIvEEEESJ_SM_SN_mSO_SQ_bEUlT_E_NS1_11comp_targetILNS1_3genE10ELNS1_11target_archE1200ELNS1_3gpuE4ELNS1_3repE0EEENS1_30default_config_static_selectorELNS0_4arch9wavefront6targetE1EEEvT1_
    .private_segment_fixed_size: 0
    .sgpr_count:     4
    .sgpr_spill_count: 0
    .symbol:         _ZN7rocprim17ROCPRIM_400000_NS6detail17trampoline_kernelINS0_14default_configENS1_25transform_config_selectorItLb0EEEZNS1_14transform_implILb0ES3_S5_NS0_18transform_iteratorINS0_17counting_iteratorImlEEZNS1_24adjacent_difference_implIS3_Lb1ELb0EPtN6thrust23THRUST_200600_302600_NS16discard_iteratorINSD_11use_defaultEEENSD_5minusItEEEE10hipError_tPvRmT2_T3_mT4_P12ihipStream_tbEUlmE_tEESB_NS0_8identityIvEEEESJ_SM_SN_mSO_SQ_bEUlT_E_NS1_11comp_targetILNS1_3genE10ELNS1_11target_archE1200ELNS1_3gpuE4ELNS1_3repE0EEENS1_30default_config_static_selectorELNS0_4arch9wavefront6targetE1EEEvT1_.kd
    .uniform_work_group_size: 1
    .uses_dynamic_stack: false
    .vgpr_count:     0
    .vgpr_spill_count: 0
    .wavefront_size: 64
  - .agpr_count:     0
    .args:
      - .offset:         0
        .size:           56
        .value_kind:     by_value
    .group_segment_fixed_size: 0
    .kernarg_segment_align: 8
    .kernarg_segment_size: 56
    .language:       OpenCL C
    .language_version:
      - 2
      - 0
    .max_flat_workgroup_size: 1024
    .name:           _ZN7rocprim17ROCPRIM_400000_NS6detail17trampoline_kernelINS0_14default_configENS1_25transform_config_selectorItLb0EEEZNS1_14transform_implILb0ES3_S5_NS0_18transform_iteratorINS0_17counting_iteratorImlEEZNS1_24adjacent_difference_implIS3_Lb1ELb0EPtN6thrust23THRUST_200600_302600_NS16discard_iteratorINSD_11use_defaultEEENSD_5minusItEEEE10hipError_tPvRmT2_T3_mT4_P12ihipStream_tbEUlmE_tEESB_NS0_8identityIvEEEESJ_SM_SN_mSO_SQ_bEUlT_E_NS1_11comp_targetILNS1_3genE9ELNS1_11target_archE1100ELNS1_3gpuE3ELNS1_3repE0EEENS1_30default_config_static_selectorELNS0_4arch9wavefront6targetE1EEEvT1_
    .private_segment_fixed_size: 0
    .sgpr_count:     4
    .sgpr_spill_count: 0
    .symbol:         _ZN7rocprim17ROCPRIM_400000_NS6detail17trampoline_kernelINS0_14default_configENS1_25transform_config_selectorItLb0EEEZNS1_14transform_implILb0ES3_S5_NS0_18transform_iteratorINS0_17counting_iteratorImlEEZNS1_24adjacent_difference_implIS3_Lb1ELb0EPtN6thrust23THRUST_200600_302600_NS16discard_iteratorINSD_11use_defaultEEENSD_5minusItEEEE10hipError_tPvRmT2_T3_mT4_P12ihipStream_tbEUlmE_tEESB_NS0_8identityIvEEEESJ_SM_SN_mSO_SQ_bEUlT_E_NS1_11comp_targetILNS1_3genE9ELNS1_11target_archE1100ELNS1_3gpuE3ELNS1_3repE0EEENS1_30default_config_static_selectorELNS0_4arch9wavefront6targetE1EEEvT1_.kd
    .uniform_work_group_size: 1
    .uses_dynamic_stack: false
    .vgpr_count:     0
    .vgpr_spill_count: 0
    .wavefront_size: 64
  - .agpr_count:     0
    .args:
      - .offset:         0
        .size:           56
        .value_kind:     by_value
    .group_segment_fixed_size: 0
    .kernarg_segment_align: 8
    .kernarg_segment_size: 56
    .language:       OpenCL C
    .language_version:
      - 2
      - 0
    .max_flat_workgroup_size: 1024
    .name:           _ZN7rocprim17ROCPRIM_400000_NS6detail17trampoline_kernelINS0_14default_configENS1_25transform_config_selectorItLb0EEEZNS1_14transform_implILb0ES3_S5_NS0_18transform_iteratorINS0_17counting_iteratorImlEEZNS1_24adjacent_difference_implIS3_Lb1ELb0EPtN6thrust23THRUST_200600_302600_NS16discard_iteratorINSD_11use_defaultEEENSD_5minusItEEEE10hipError_tPvRmT2_T3_mT4_P12ihipStream_tbEUlmE_tEESB_NS0_8identityIvEEEESJ_SM_SN_mSO_SQ_bEUlT_E_NS1_11comp_targetILNS1_3genE8ELNS1_11target_archE1030ELNS1_3gpuE2ELNS1_3repE0EEENS1_30default_config_static_selectorELNS0_4arch9wavefront6targetE1EEEvT1_
    .private_segment_fixed_size: 0
    .sgpr_count:     4
    .sgpr_spill_count: 0
    .symbol:         _ZN7rocprim17ROCPRIM_400000_NS6detail17trampoline_kernelINS0_14default_configENS1_25transform_config_selectorItLb0EEEZNS1_14transform_implILb0ES3_S5_NS0_18transform_iteratorINS0_17counting_iteratorImlEEZNS1_24adjacent_difference_implIS3_Lb1ELb0EPtN6thrust23THRUST_200600_302600_NS16discard_iteratorINSD_11use_defaultEEENSD_5minusItEEEE10hipError_tPvRmT2_T3_mT4_P12ihipStream_tbEUlmE_tEESB_NS0_8identityIvEEEESJ_SM_SN_mSO_SQ_bEUlT_E_NS1_11comp_targetILNS1_3genE8ELNS1_11target_archE1030ELNS1_3gpuE2ELNS1_3repE0EEENS1_30default_config_static_selectorELNS0_4arch9wavefront6targetE1EEEvT1_.kd
    .uniform_work_group_size: 1
    .uses_dynamic_stack: false
    .vgpr_count:     0
    .vgpr_spill_count: 0
    .wavefront_size: 64
  - .agpr_count:     0
    .args:
      - .offset:         0
        .size:           64
        .value_kind:     by_value
    .group_segment_fixed_size: 0
    .kernarg_segment_align: 8
    .kernarg_segment_size: 64
    .language:       OpenCL C
    .language_version:
      - 2
      - 0
    .max_flat_workgroup_size: 32
    .name:           _ZN7rocprim17ROCPRIM_400000_NS6detail17trampoline_kernelINS0_14default_configENS1_35adjacent_difference_config_selectorILb1EtEEZNS1_24adjacent_difference_implIS3_Lb1ELb0EPtN6thrust23THRUST_200600_302600_NS16discard_iteratorINS9_11use_defaultEEENS9_5minusItEEEE10hipError_tPvRmT2_T3_mT4_P12ihipStream_tbEUlT_E_NS1_11comp_targetILNS1_3genE0ELNS1_11target_archE4294967295ELNS1_3gpuE0ELNS1_3repE0EEENS1_30default_config_static_selectorELNS0_4arch9wavefront6targetE1EEEvT1_
    .private_segment_fixed_size: 0
    .sgpr_count:     4
    .sgpr_spill_count: 0
    .symbol:         _ZN7rocprim17ROCPRIM_400000_NS6detail17trampoline_kernelINS0_14default_configENS1_35adjacent_difference_config_selectorILb1EtEEZNS1_24adjacent_difference_implIS3_Lb1ELb0EPtN6thrust23THRUST_200600_302600_NS16discard_iteratorINS9_11use_defaultEEENS9_5minusItEEEE10hipError_tPvRmT2_T3_mT4_P12ihipStream_tbEUlT_E_NS1_11comp_targetILNS1_3genE0ELNS1_11target_archE4294967295ELNS1_3gpuE0ELNS1_3repE0EEENS1_30default_config_static_selectorELNS0_4arch9wavefront6targetE1EEEvT1_.kd
    .uniform_work_group_size: 1
    .uses_dynamic_stack: false
    .vgpr_count:     0
    .vgpr_spill_count: 0
    .wavefront_size: 64
  - .agpr_count:     0
    .args:
      - .offset:         0
        .size:           64
        .value_kind:     by_value
    .group_segment_fixed_size: 0
    .kernarg_segment_align: 8
    .kernarg_segment_size: 64
    .language:       OpenCL C
    .language_version:
      - 2
      - 0
    .max_flat_workgroup_size: 512
    .name:           _ZN7rocprim17ROCPRIM_400000_NS6detail17trampoline_kernelINS0_14default_configENS1_35adjacent_difference_config_selectorILb1EtEEZNS1_24adjacent_difference_implIS3_Lb1ELb0EPtN6thrust23THRUST_200600_302600_NS16discard_iteratorINS9_11use_defaultEEENS9_5minusItEEEE10hipError_tPvRmT2_T3_mT4_P12ihipStream_tbEUlT_E_NS1_11comp_targetILNS1_3genE10ELNS1_11target_archE1201ELNS1_3gpuE5ELNS1_3repE0EEENS1_30default_config_static_selectorELNS0_4arch9wavefront6targetE1EEEvT1_
    .private_segment_fixed_size: 0
    .sgpr_count:     4
    .sgpr_spill_count: 0
    .symbol:         _ZN7rocprim17ROCPRIM_400000_NS6detail17trampoline_kernelINS0_14default_configENS1_35adjacent_difference_config_selectorILb1EtEEZNS1_24adjacent_difference_implIS3_Lb1ELb0EPtN6thrust23THRUST_200600_302600_NS16discard_iteratorINS9_11use_defaultEEENS9_5minusItEEEE10hipError_tPvRmT2_T3_mT4_P12ihipStream_tbEUlT_E_NS1_11comp_targetILNS1_3genE10ELNS1_11target_archE1201ELNS1_3gpuE5ELNS1_3repE0EEENS1_30default_config_static_selectorELNS0_4arch9wavefront6targetE1EEEvT1_.kd
    .uniform_work_group_size: 1
    .uses_dynamic_stack: false
    .vgpr_count:     0
    .vgpr_spill_count: 0
    .wavefront_size: 64
  - .agpr_count:     0
    .args:
      - .offset:         0
        .size:           64
        .value_kind:     by_value
    .group_segment_fixed_size: 0
    .kernarg_segment_align: 8
    .kernarg_segment_size: 64
    .language:       OpenCL C
    .language_version:
      - 2
      - 0
    .max_flat_workgroup_size: 64
    .name:           _ZN7rocprim17ROCPRIM_400000_NS6detail17trampoline_kernelINS0_14default_configENS1_35adjacent_difference_config_selectorILb1EtEEZNS1_24adjacent_difference_implIS3_Lb1ELb0EPtN6thrust23THRUST_200600_302600_NS16discard_iteratorINS9_11use_defaultEEENS9_5minusItEEEE10hipError_tPvRmT2_T3_mT4_P12ihipStream_tbEUlT_E_NS1_11comp_targetILNS1_3genE5ELNS1_11target_archE942ELNS1_3gpuE9ELNS1_3repE0EEENS1_30default_config_static_selectorELNS0_4arch9wavefront6targetE1EEEvT1_
    .private_segment_fixed_size: 0
    .sgpr_count:     4
    .sgpr_spill_count: 0
    .symbol:         _ZN7rocprim17ROCPRIM_400000_NS6detail17trampoline_kernelINS0_14default_configENS1_35adjacent_difference_config_selectorILb1EtEEZNS1_24adjacent_difference_implIS3_Lb1ELb0EPtN6thrust23THRUST_200600_302600_NS16discard_iteratorINS9_11use_defaultEEENS9_5minusItEEEE10hipError_tPvRmT2_T3_mT4_P12ihipStream_tbEUlT_E_NS1_11comp_targetILNS1_3genE5ELNS1_11target_archE942ELNS1_3gpuE9ELNS1_3repE0EEENS1_30default_config_static_selectorELNS0_4arch9wavefront6targetE1EEEvT1_.kd
    .uniform_work_group_size: 1
    .uses_dynamic_stack: false
    .vgpr_count:     0
    .vgpr_spill_count: 0
    .wavefront_size: 64
  - .agpr_count:     0
    .args:
      - .offset:         0
        .size:           64
        .value_kind:     by_value
    .group_segment_fixed_size: 2176
    .kernarg_segment_align: 8
    .kernarg_segment_size: 64
    .language:       OpenCL C
    .language_version:
      - 2
      - 0
    .max_flat_workgroup_size: 64
    .name:           _ZN7rocprim17ROCPRIM_400000_NS6detail17trampoline_kernelINS0_14default_configENS1_35adjacent_difference_config_selectorILb1EtEEZNS1_24adjacent_difference_implIS3_Lb1ELb0EPtN6thrust23THRUST_200600_302600_NS16discard_iteratorINS9_11use_defaultEEENS9_5minusItEEEE10hipError_tPvRmT2_T3_mT4_P12ihipStream_tbEUlT_E_NS1_11comp_targetILNS1_3genE4ELNS1_11target_archE910ELNS1_3gpuE8ELNS1_3repE0EEENS1_30default_config_static_selectorELNS0_4arch9wavefront6targetE1EEEvT1_
    .private_segment_fixed_size: 0
    .sgpr_count:     25
    .sgpr_spill_count: 0
    .symbol:         _ZN7rocprim17ROCPRIM_400000_NS6detail17trampoline_kernelINS0_14default_configENS1_35adjacent_difference_config_selectorILb1EtEEZNS1_24adjacent_difference_implIS3_Lb1ELb0EPtN6thrust23THRUST_200600_302600_NS16discard_iteratorINS9_11use_defaultEEENS9_5minusItEEEE10hipError_tPvRmT2_T3_mT4_P12ihipStream_tbEUlT_E_NS1_11comp_targetILNS1_3genE4ELNS1_11target_archE910ELNS1_3gpuE8ELNS1_3repE0EEENS1_30default_config_static_selectorELNS0_4arch9wavefront6targetE1EEEvT1_.kd
    .uniform_work_group_size: 1
    .uses_dynamic_stack: false
    .vgpr_count:     32
    .vgpr_spill_count: 0
    .wavefront_size: 64
  - .agpr_count:     0
    .args:
      - .offset:         0
        .size:           64
        .value_kind:     by_value
    .group_segment_fixed_size: 0
    .kernarg_segment_align: 8
    .kernarg_segment_size: 64
    .language:       OpenCL C
    .language_version:
      - 2
      - 0
    .max_flat_workgroup_size: 32
    .name:           _ZN7rocprim17ROCPRIM_400000_NS6detail17trampoline_kernelINS0_14default_configENS1_35adjacent_difference_config_selectorILb1EtEEZNS1_24adjacent_difference_implIS3_Lb1ELb0EPtN6thrust23THRUST_200600_302600_NS16discard_iteratorINS9_11use_defaultEEENS9_5minusItEEEE10hipError_tPvRmT2_T3_mT4_P12ihipStream_tbEUlT_E_NS1_11comp_targetILNS1_3genE3ELNS1_11target_archE908ELNS1_3gpuE7ELNS1_3repE0EEENS1_30default_config_static_selectorELNS0_4arch9wavefront6targetE1EEEvT1_
    .private_segment_fixed_size: 0
    .sgpr_count:     4
    .sgpr_spill_count: 0
    .symbol:         _ZN7rocprim17ROCPRIM_400000_NS6detail17trampoline_kernelINS0_14default_configENS1_35adjacent_difference_config_selectorILb1EtEEZNS1_24adjacent_difference_implIS3_Lb1ELb0EPtN6thrust23THRUST_200600_302600_NS16discard_iteratorINS9_11use_defaultEEENS9_5minusItEEEE10hipError_tPvRmT2_T3_mT4_P12ihipStream_tbEUlT_E_NS1_11comp_targetILNS1_3genE3ELNS1_11target_archE908ELNS1_3gpuE7ELNS1_3repE0EEENS1_30default_config_static_selectorELNS0_4arch9wavefront6targetE1EEEvT1_.kd
    .uniform_work_group_size: 1
    .uses_dynamic_stack: false
    .vgpr_count:     0
    .vgpr_spill_count: 0
    .wavefront_size: 64
  - .agpr_count:     0
    .args:
      - .offset:         0
        .size:           64
        .value_kind:     by_value
    .group_segment_fixed_size: 0
    .kernarg_segment_align: 8
    .kernarg_segment_size: 64
    .language:       OpenCL C
    .language_version:
      - 2
      - 0
    .max_flat_workgroup_size: 64
    .name:           _ZN7rocprim17ROCPRIM_400000_NS6detail17trampoline_kernelINS0_14default_configENS1_35adjacent_difference_config_selectorILb1EtEEZNS1_24adjacent_difference_implIS3_Lb1ELb0EPtN6thrust23THRUST_200600_302600_NS16discard_iteratorINS9_11use_defaultEEENS9_5minusItEEEE10hipError_tPvRmT2_T3_mT4_P12ihipStream_tbEUlT_E_NS1_11comp_targetILNS1_3genE2ELNS1_11target_archE906ELNS1_3gpuE6ELNS1_3repE0EEENS1_30default_config_static_selectorELNS0_4arch9wavefront6targetE1EEEvT1_
    .private_segment_fixed_size: 0
    .sgpr_count:     4
    .sgpr_spill_count: 0
    .symbol:         _ZN7rocprim17ROCPRIM_400000_NS6detail17trampoline_kernelINS0_14default_configENS1_35adjacent_difference_config_selectorILb1EtEEZNS1_24adjacent_difference_implIS3_Lb1ELb0EPtN6thrust23THRUST_200600_302600_NS16discard_iteratorINS9_11use_defaultEEENS9_5minusItEEEE10hipError_tPvRmT2_T3_mT4_P12ihipStream_tbEUlT_E_NS1_11comp_targetILNS1_3genE2ELNS1_11target_archE906ELNS1_3gpuE6ELNS1_3repE0EEENS1_30default_config_static_selectorELNS0_4arch9wavefront6targetE1EEEvT1_.kd
    .uniform_work_group_size: 1
    .uses_dynamic_stack: false
    .vgpr_count:     0
    .vgpr_spill_count: 0
    .wavefront_size: 64
  - .agpr_count:     0
    .args:
      - .offset:         0
        .size:           64
        .value_kind:     by_value
    .group_segment_fixed_size: 0
    .kernarg_segment_align: 8
    .kernarg_segment_size: 64
    .language:       OpenCL C
    .language_version:
      - 2
      - 0
    .max_flat_workgroup_size: 128
    .name:           _ZN7rocprim17ROCPRIM_400000_NS6detail17trampoline_kernelINS0_14default_configENS1_35adjacent_difference_config_selectorILb1EtEEZNS1_24adjacent_difference_implIS3_Lb1ELb0EPtN6thrust23THRUST_200600_302600_NS16discard_iteratorINS9_11use_defaultEEENS9_5minusItEEEE10hipError_tPvRmT2_T3_mT4_P12ihipStream_tbEUlT_E_NS1_11comp_targetILNS1_3genE9ELNS1_11target_archE1100ELNS1_3gpuE3ELNS1_3repE0EEENS1_30default_config_static_selectorELNS0_4arch9wavefront6targetE1EEEvT1_
    .private_segment_fixed_size: 0
    .sgpr_count:     4
    .sgpr_spill_count: 0
    .symbol:         _ZN7rocprim17ROCPRIM_400000_NS6detail17trampoline_kernelINS0_14default_configENS1_35adjacent_difference_config_selectorILb1EtEEZNS1_24adjacent_difference_implIS3_Lb1ELb0EPtN6thrust23THRUST_200600_302600_NS16discard_iteratorINS9_11use_defaultEEENS9_5minusItEEEE10hipError_tPvRmT2_T3_mT4_P12ihipStream_tbEUlT_E_NS1_11comp_targetILNS1_3genE9ELNS1_11target_archE1100ELNS1_3gpuE3ELNS1_3repE0EEENS1_30default_config_static_selectorELNS0_4arch9wavefront6targetE1EEEvT1_.kd
    .uniform_work_group_size: 1
    .uses_dynamic_stack: false
    .vgpr_count:     0
    .vgpr_spill_count: 0
    .wavefront_size: 64
  - .agpr_count:     0
    .args:
      - .offset:         0
        .size:           64
        .value_kind:     by_value
    .group_segment_fixed_size: 0
    .kernarg_segment_align: 8
    .kernarg_segment_size: 64
    .language:       OpenCL C
    .language_version:
      - 2
      - 0
    .max_flat_workgroup_size: 512
    .name:           _ZN7rocprim17ROCPRIM_400000_NS6detail17trampoline_kernelINS0_14default_configENS1_35adjacent_difference_config_selectorILb1EtEEZNS1_24adjacent_difference_implIS3_Lb1ELb0EPtN6thrust23THRUST_200600_302600_NS16discard_iteratorINS9_11use_defaultEEENS9_5minusItEEEE10hipError_tPvRmT2_T3_mT4_P12ihipStream_tbEUlT_E_NS1_11comp_targetILNS1_3genE8ELNS1_11target_archE1030ELNS1_3gpuE2ELNS1_3repE0EEENS1_30default_config_static_selectorELNS0_4arch9wavefront6targetE1EEEvT1_
    .private_segment_fixed_size: 0
    .sgpr_count:     4
    .sgpr_spill_count: 0
    .symbol:         _ZN7rocprim17ROCPRIM_400000_NS6detail17trampoline_kernelINS0_14default_configENS1_35adjacent_difference_config_selectorILb1EtEEZNS1_24adjacent_difference_implIS3_Lb1ELb0EPtN6thrust23THRUST_200600_302600_NS16discard_iteratorINS9_11use_defaultEEENS9_5minusItEEEE10hipError_tPvRmT2_T3_mT4_P12ihipStream_tbEUlT_E_NS1_11comp_targetILNS1_3genE8ELNS1_11target_archE1030ELNS1_3gpuE2ELNS1_3repE0EEENS1_30default_config_static_selectorELNS0_4arch9wavefront6targetE1EEEvT1_.kd
    .uniform_work_group_size: 1
    .uses_dynamic_stack: false
    .vgpr_count:     0
    .vgpr_spill_count: 0
    .wavefront_size: 64
  - .agpr_count:     0
    .args:
      - .offset:         0
        .size:           56
        .value_kind:     by_value
    .group_segment_fixed_size: 0
    .kernarg_segment_align: 8
    .kernarg_segment_size: 56
    .language:       OpenCL C
    .language_version:
      - 2
      - 0
    .max_flat_workgroup_size: 128
    .name:           _ZN7rocprim17ROCPRIM_400000_NS6detail17trampoline_kernelINS0_14default_configENS1_25transform_config_selectorIiLb0EEEZNS1_14transform_implILb0ES3_S5_NS0_18transform_iteratorINS0_17counting_iteratorImlEEZNS1_24adjacent_difference_implIS3_Lb1ELb0EPiN6thrust23THRUST_200600_302600_NS16discard_iteratorINSD_11use_defaultEEENSD_5minusIiEEEE10hipError_tPvRmT2_T3_mT4_P12ihipStream_tbEUlmE_iEESB_NS0_8identityIvEEEESJ_SM_SN_mSO_SQ_bEUlT_E_NS1_11comp_targetILNS1_3genE0ELNS1_11target_archE4294967295ELNS1_3gpuE0ELNS1_3repE0EEENS1_30default_config_static_selectorELNS0_4arch9wavefront6targetE1EEEvT1_
    .private_segment_fixed_size: 0
    .sgpr_count:     4
    .sgpr_spill_count: 0
    .symbol:         _ZN7rocprim17ROCPRIM_400000_NS6detail17trampoline_kernelINS0_14default_configENS1_25transform_config_selectorIiLb0EEEZNS1_14transform_implILb0ES3_S5_NS0_18transform_iteratorINS0_17counting_iteratorImlEEZNS1_24adjacent_difference_implIS3_Lb1ELb0EPiN6thrust23THRUST_200600_302600_NS16discard_iteratorINSD_11use_defaultEEENSD_5minusIiEEEE10hipError_tPvRmT2_T3_mT4_P12ihipStream_tbEUlmE_iEESB_NS0_8identityIvEEEESJ_SM_SN_mSO_SQ_bEUlT_E_NS1_11comp_targetILNS1_3genE0ELNS1_11target_archE4294967295ELNS1_3gpuE0ELNS1_3repE0EEENS1_30default_config_static_selectorELNS0_4arch9wavefront6targetE1EEEvT1_.kd
    .uniform_work_group_size: 1
    .uses_dynamic_stack: false
    .vgpr_count:     0
    .vgpr_spill_count: 0
    .wavefront_size: 64
  - .agpr_count:     0
    .args:
      - .offset:         0
        .size:           56
        .value_kind:     by_value
    .group_segment_fixed_size: 0
    .kernarg_segment_align: 8
    .kernarg_segment_size: 56
    .language:       OpenCL C
    .language_version:
      - 2
      - 0
    .max_flat_workgroup_size: 512
    .name:           _ZN7rocprim17ROCPRIM_400000_NS6detail17trampoline_kernelINS0_14default_configENS1_25transform_config_selectorIiLb0EEEZNS1_14transform_implILb0ES3_S5_NS0_18transform_iteratorINS0_17counting_iteratorImlEEZNS1_24adjacent_difference_implIS3_Lb1ELb0EPiN6thrust23THRUST_200600_302600_NS16discard_iteratorINSD_11use_defaultEEENSD_5minusIiEEEE10hipError_tPvRmT2_T3_mT4_P12ihipStream_tbEUlmE_iEESB_NS0_8identityIvEEEESJ_SM_SN_mSO_SQ_bEUlT_E_NS1_11comp_targetILNS1_3genE5ELNS1_11target_archE942ELNS1_3gpuE9ELNS1_3repE0EEENS1_30default_config_static_selectorELNS0_4arch9wavefront6targetE1EEEvT1_
    .private_segment_fixed_size: 0
    .sgpr_count:     4
    .sgpr_spill_count: 0
    .symbol:         _ZN7rocprim17ROCPRIM_400000_NS6detail17trampoline_kernelINS0_14default_configENS1_25transform_config_selectorIiLb0EEEZNS1_14transform_implILb0ES3_S5_NS0_18transform_iteratorINS0_17counting_iteratorImlEEZNS1_24adjacent_difference_implIS3_Lb1ELb0EPiN6thrust23THRUST_200600_302600_NS16discard_iteratorINSD_11use_defaultEEENSD_5minusIiEEEE10hipError_tPvRmT2_T3_mT4_P12ihipStream_tbEUlmE_iEESB_NS0_8identityIvEEEESJ_SM_SN_mSO_SQ_bEUlT_E_NS1_11comp_targetILNS1_3genE5ELNS1_11target_archE942ELNS1_3gpuE9ELNS1_3repE0EEENS1_30default_config_static_selectorELNS0_4arch9wavefront6targetE1EEEvT1_.kd
    .uniform_work_group_size: 1
    .uses_dynamic_stack: false
    .vgpr_count:     0
    .vgpr_spill_count: 0
    .wavefront_size: 64
  - .agpr_count:     0
    .args:
      - .offset:         0
        .size:           56
        .value_kind:     by_value
      - .offset:         56
        .size:           4
        .value_kind:     hidden_block_count_x
      - .offset:         60
        .size:           4
        .value_kind:     hidden_block_count_y
      - .offset:         64
        .size:           4
        .value_kind:     hidden_block_count_z
      - .offset:         68
        .size:           2
        .value_kind:     hidden_group_size_x
      - .offset:         70
        .size:           2
        .value_kind:     hidden_group_size_y
      - .offset:         72
        .size:           2
        .value_kind:     hidden_group_size_z
      - .offset:         74
        .size:           2
        .value_kind:     hidden_remainder_x
      - .offset:         76
        .size:           2
        .value_kind:     hidden_remainder_y
      - .offset:         78
        .size:           2
        .value_kind:     hidden_remainder_z
      - .offset:         96
        .size:           8
        .value_kind:     hidden_global_offset_x
      - .offset:         104
        .size:           8
        .value_kind:     hidden_global_offset_y
      - .offset:         112
        .size:           8
        .value_kind:     hidden_global_offset_z
      - .offset:         120
        .size:           2
        .value_kind:     hidden_grid_dims
    .group_segment_fixed_size: 0
    .kernarg_segment_align: 8
    .kernarg_segment_size: 312
    .language:       OpenCL C
    .language_version:
      - 2
      - 0
    .max_flat_workgroup_size: 1024
    .name:           _ZN7rocprim17ROCPRIM_400000_NS6detail17trampoline_kernelINS0_14default_configENS1_25transform_config_selectorIiLb0EEEZNS1_14transform_implILb0ES3_S5_NS0_18transform_iteratorINS0_17counting_iteratorImlEEZNS1_24adjacent_difference_implIS3_Lb1ELb0EPiN6thrust23THRUST_200600_302600_NS16discard_iteratorINSD_11use_defaultEEENSD_5minusIiEEEE10hipError_tPvRmT2_T3_mT4_P12ihipStream_tbEUlmE_iEESB_NS0_8identityIvEEEESJ_SM_SN_mSO_SQ_bEUlT_E_NS1_11comp_targetILNS1_3genE4ELNS1_11target_archE910ELNS1_3gpuE8ELNS1_3repE0EEENS1_30default_config_static_selectorELNS0_4arch9wavefront6targetE1EEEvT1_
    .private_segment_fixed_size: 0
    .sgpr_count:     22
    .sgpr_spill_count: 0
    .symbol:         _ZN7rocprim17ROCPRIM_400000_NS6detail17trampoline_kernelINS0_14default_configENS1_25transform_config_selectorIiLb0EEEZNS1_14transform_implILb0ES3_S5_NS0_18transform_iteratorINS0_17counting_iteratorImlEEZNS1_24adjacent_difference_implIS3_Lb1ELb0EPiN6thrust23THRUST_200600_302600_NS16discard_iteratorINSD_11use_defaultEEENSD_5minusIiEEEE10hipError_tPvRmT2_T3_mT4_P12ihipStream_tbEUlmE_iEESB_NS0_8identityIvEEEESJ_SM_SN_mSO_SQ_bEUlT_E_NS1_11comp_targetILNS1_3genE4ELNS1_11target_archE910ELNS1_3gpuE8ELNS1_3repE0EEENS1_30default_config_static_selectorELNS0_4arch9wavefront6targetE1EEEvT1_.kd
    .uniform_work_group_size: 1
    .uses_dynamic_stack: false
    .vgpr_count:     8
    .vgpr_spill_count: 0
    .wavefront_size: 64
  - .agpr_count:     0
    .args:
      - .offset:         0
        .size:           56
        .value_kind:     by_value
    .group_segment_fixed_size: 0
    .kernarg_segment_align: 8
    .kernarg_segment_size: 56
    .language:       OpenCL C
    .language_version:
      - 2
      - 0
    .max_flat_workgroup_size: 128
    .name:           _ZN7rocprim17ROCPRIM_400000_NS6detail17trampoline_kernelINS0_14default_configENS1_25transform_config_selectorIiLb0EEEZNS1_14transform_implILb0ES3_S5_NS0_18transform_iteratorINS0_17counting_iteratorImlEEZNS1_24adjacent_difference_implIS3_Lb1ELb0EPiN6thrust23THRUST_200600_302600_NS16discard_iteratorINSD_11use_defaultEEENSD_5minusIiEEEE10hipError_tPvRmT2_T3_mT4_P12ihipStream_tbEUlmE_iEESB_NS0_8identityIvEEEESJ_SM_SN_mSO_SQ_bEUlT_E_NS1_11comp_targetILNS1_3genE3ELNS1_11target_archE908ELNS1_3gpuE7ELNS1_3repE0EEENS1_30default_config_static_selectorELNS0_4arch9wavefront6targetE1EEEvT1_
    .private_segment_fixed_size: 0
    .sgpr_count:     4
    .sgpr_spill_count: 0
    .symbol:         _ZN7rocprim17ROCPRIM_400000_NS6detail17trampoline_kernelINS0_14default_configENS1_25transform_config_selectorIiLb0EEEZNS1_14transform_implILb0ES3_S5_NS0_18transform_iteratorINS0_17counting_iteratorImlEEZNS1_24adjacent_difference_implIS3_Lb1ELb0EPiN6thrust23THRUST_200600_302600_NS16discard_iteratorINSD_11use_defaultEEENSD_5minusIiEEEE10hipError_tPvRmT2_T3_mT4_P12ihipStream_tbEUlmE_iEESB_NS0_8identityIvEEEESJ_SM_SN_mSO_SQ_bEUlT_E_NS1_11comp_targetILNS1_3genE3ELNS1_11target_archE908ELNS1_3gpuE7ELNS1_3repE0EEENS1_30default_config_static_selectorELNS0_4arch9wavefront6targetE1EEEvT1_.kd
    .uniform_work_group_size: 1
    .uses_dynamic_stack: false
    .vgpr_count:     0
    .vgpr_spill_count: 0
    .wavefront_size: 64
  - .agpr_count:     0
    .args:
      - .offset:         0
        .size:           56
        .value_kind:     by_value
    .group_segment_fixed_size: 0
    .kernarg_segment_align: 8
    .kernarg_segment_size: 56
    .language:       OpenCL C
    .language_version:
      - 2
      - 0
    .max_flat_workgroup_size: 1024
    .name:           _ZN7rocprim17ROCPRIM_400000_NS6detail17trampoline_kernelINS0_14default_configENS1_25transform_config_selectorIiLb0EEEZNS1_14transform_implILb0ES3_S5_NS0_18transform_iteratorINS0_17counting_iteratorImlEEZNS1_24adjacent_difference_implIS3_Lb1ELb0EPiN6thrust23THRUST_200600_302600_NS16discard_iteratorINSD_11use_defaultEEENSD_5minusIiEEEE10hipError_tPvRmT2_T3_mT4_P12ihipStream_tbEUlmE_iEESB_NS0_8identityIvEEEESJ_SM_SN_mSO_SQ_bEUlT_E_NS1_11comp_targetILNS1_3genE2ELNS1_11target_archE906ELNS1_3gpuE6ELNS1_3repE0EEENS1_30default_config_static_selectorELNS0_4arch9wavefront6targetE1EEEvT1_
    .private_segment_fixed_size: 0
    .sgpr_count:     4
    .sgpr_spill_count: 0
    .symbol:         _ZN7rocprim17ROCPRIM_400000_NS6detail17trampoline_kernelINS0_14default_configENS1_25transform_config_selectorIiLb0EEEZNS1_14transform_implILb0ES3_S5_NS0_18transform_iteratorINS0_17counting_iteratorImlEEZNS1_24adjacent_difference_implIS3_Lb1ELb0EPiN6thrust23THRUST_200600_302600_NS16discard_iteratorINSD_11use_defaultEEENSD_5minusIiEEEE10hipError_tPvRmT2_T3_mT4_P12ihipStream_tbEUlmE_iEESB_NS0_8identityIvEEEESJ_SM_SN_mSO_SQ_bEUlT_E_NS1_11comp_targetILNS1_3genE2ELNS1_11target_archE906ELNS1_3gpuE6ELNS1_3repE0EEENS1_30default_config_static_selectorELNS0_4arch9wavefront6targetE1EEEvT1_.kd
    .uniform_work_group_size: 1
    .uses_dynamic_stack: false
    .vgpr_count:     0
    .vgpr_spill_count: 0
    .wavefront_size: 64
  - .agpr_count:     0
    .args:
      - .offset:         0
        .size:           56
        .value_kind:     by_value
    .group_segment_fixed_size: 0
    .kernarg_segment_align: 8
    .kernarg_segment_size: 56
    .language:       OpenCL C
    .language_version:
      - 2
      - 0
    .max_flat_workgroup_size: 1024
    .name:           _ZN7rocprim17ROCPRIM_400000_NS6detail17trampoline_kernelINS0_14default_configENS1_25transform_config_selectorIiLb0EEEZNS1_14transform_implILb0ES3_S5_NS0_18transform_iteratorINS0_17counting_iteratorImlEEZNS1_24adjacent_difference_implIS3_Lb1ELb0EPiN6thrust23THRUST_200600_302600_NS16discard_iteratorINSD_11use_defaultEEENSD_5minusIiEEEE10hipError_tPvRmT2_T3_mT4_P12ihipStream_tbEUlmE_iEESB_NS0_8identityIvEEEESJ_SM_SN_mSO_SQ_bEUlT_E_NS1_11comp_targetILNS1_3genE10ELNS1_11target_archE1201ELNS1_3gpuE5ELNS1_3repE0EEENS1_30default_config_static_selectorELNS0_4arch9wavefront6targetE1EEEvT1_
    .private_segment_fixed_size: 0
    .sgpr_count:     4
    .sgpr_spill_count: 0
    .symbol:         _ZN7rocprim17ROCPRIM_400000_NS6detail17trampoline_kernelINS0_14default_configENS1_25transform_config_selectorIiLb0EEEZNS1_14transform_implILb0ES3_S5_NS0_18transform_iteratorINS0_17counting_iteratorImlEEZNS1_24adjacent_difference_implIS3_Lb1ELb0EPiN6thrust23THRUST_200600_302600_NS16discard_iteratorINSD_11use_defaultEEENSD_5minusIiEEEE10hipError_tPvRmT2_T3_mT4_P12ihipStream_tbEUlmE_iEESB_NS0_8identityIvEEEESJ_SM_SN_mSO_SQ_bEUlT_E_NS1_11comp_targetILNS1_3genE10ELNS1_11target_archE1201ELNS1_3gpuE5ELNS1_3repE0EEENS1_30default_config_static_selectorELNS0_4arch9wavefront6targetE1EEEvT1_.kd
    .uniform_work_group_size: 1
    .uses_dynamic_stack: false
    .vgpr_count:     0
    .vgpr_spill_count: 0
    .wavefront_size: 64
  - .agpr_count:     0
    .args:
      - .offset:         0
        .size:           56
        .value_kind:     by_value
    .group_segment_fixed_size: 0
    .kernarg_segment_align: 8
    .kernarg_segment_size: 56
    .language:       OpenCL C
    .language_version:
      - 2
      - 0
    .max_flat_workgroup_size: 512
    .name:           _ZN7rocprim17ROCPRIM_400000_NS6detail17trampoline_kernelINS0_14default_configENS1_25transform_config_selectorIiLb0EEEZNS1_14transform_implILb0ES3_S5_NS0_18transform_iteratorINS0_17counting_iteratorImlEEZNS1_24adjacent_difference_implIS3_Lb1ELb0EPiN6thrust23THRUST_200600_302600_NS16discard_iteratorINSD_11use_defaultEEENSD_5minusIiEEEE10hipError_tPvRmT2_T3_mT4_P12ihipStream_tbEUlmE_iEESB_NS0_8identityIvEEEESJ_SM_SN_mSO_SQ_bEUlT_E_NS1_11comp_targetILNS1_3genE10ELNS1_11target_archE1200ELNS1_3gpuE4ELNS1_3repE0EEENS1_30default_config_static_selectorELNS0_4arch9wavefront6targetE1EEEvT1_
    .private_segment_fixed_size: 0
    .sgpr_count:     4
    .sgpr_spill_count: 0
    .symbol:         _ZN7rocprim17ROCPRIM_400000_NS6detail17trampoline_kernelINS0_14default_configENS1_25transform_config_selectorIiLb0EEEZNS1_14transform_implILb0ES3_S5_NS0_18transform_iteratorINS0_17counting_iteratorImlEEZNS1_24adjacent_difference_implIS3_Lb1ELb0EPiN6thrust23THRUST_200600_302600_NS16discard_iteratorINSD_11use_defaultEEENSD_5minusIiEEEE10hipError_tPvRmT2_T3_mT4_P12ihipStream_tbEUlmE_iEESB_NS0_8identityIvEEEESJ_SM_SN_mSO_SQ_bEUlT_E_NS1_11comp_targetILNS1_3genE10ELNS1_11target_archE1200ELNS1_3gpuE4ELNS1_3repE0EEENS1_30default_config_static_selectorELNS0_4arch9wavefront6targetE1EEEvT1_.kd
    .uniform_work_group_size: 1
    .uses_dynamic_stack: false
    .vgpr_count:     0
    .vgpr_spill_count: 0
    .wavefront_size: 64
  - .agpr_count:     0
    .args:
      - .offset:         0
        .size:           56
        .value_kind:     by_value
    .group_segment_fixed_size: 0
    .kernarg_segment_align: 8
    .kernarg_segment_size: 56
    .language:       OpenCL C
    .language_version:
      - 2
      - 0
    .max_flat_workgroup_size: 64
    .name:           _ZN7rocprim17ROCPRIM_400000_NS6detail17trampoline_kernelINS0_14default_configENS1_25transform_config_selectorIiLb0EEEZNS1_14transform_implILb0ES3_S5_NS0_18transform_iteratorINS0_17counting_iteratorImlEEZNS1_24adjacent_difference_implIS3_Lb1ELb0EPiN6thrust23THRUST_200600_302600_NS16discard_iteratorINSD_11use_defaultEEENSD_5minusIiEEEE10hipError_tPvRmT2_T3_mT4_P12ihipStream_tbEUlmE_iEESB_NS0_8identityIvEEEESJ_SM_SN_mSO_SQ_bEUlT_E_NS1_11comp_targetILNS1_3genE9ELNS1_11target_archE1100ELNS1_3gpuE3ELNS1_3repE0EEENS1_30default_config_static_selectorELNS0_4arch9wavefront6targetE1EEEvT1_
    .private_segment_fixed_size: 0
    .sgpr_count:     4
    .sgpr_spill_count: 0
    .symbol:         _ZN7rocprim17ROCPRIM_400000_NS6detail17trampoline_kernelINS0_14default_configENS1_25transform_config_selectorIiLb0EEEZNS1_14transform_implILb0ES3_S5_NS0_18transform_iteratorINS0_17counting_iteratorImlEEZNS1_24adjacent_difference_implIS3_Lb1ELb0EPiN6thrust23THRUST_200600_302600_NS16discard_iteratorINSD_11use_defaultEEENSD_5minusIiEEEE10hipError_tPvRmT2_T3_mT4_P12ihipStream_tbEUlmE_iEESB_NS0_8identityIvEEEESJ_SM_SN_mSO_SQ_bEUlT_E_NS1_11comp_targetILNS1_3genE9ELNS1_11target_archE1100ELNS1_3gpuE3ELNS1_3repE0EEENS1_30default_config_static_selectorELNS0_4arch9wavefront6targetE1EEEvT1_.kd
    .uniform_work_group_size: 1
    .uses_dynamic_stack: false
    .vgpr_count:     0
    .vgpr_spill_count: 0
    .wavefront_size: 64
  - .agpr_count:     0
    .args:
      - .offset:         0
        .size:           56
        .value_kind:     by_value
    .group_segment_fixed_size: 0
    .kernarg_segment_align: 8
    .kernarg_segment_size: 56
    .language:       OpenCL C
    .language_version:
      - 2
      - 0
    .max_flat_workgroup_size: 256
    .name:           _ZN7rocprim17ROCPRIM_400000_NS6detail17trampoline_kernelINS0_14default_configENS1_25transform_config_selectorIiLb0EEEZNS1_14transform_implILb0ES3_S5_NS0_18transform_iteratorINS0_17counting_iteratorImlEEZNS1_24adjacent_difference_implIS3_Lb1ELb0EPiN6thrust23THRUST_200600_302600_NS16discard_iteratorINSD_11use_defaultEEENSD_5minusIiEEEE10hipError_tPvRmT2_T3_mT4_P12ihipStream_tbEUlmE_iEESB_NS0_8identityIvEEEESJ_SM_SN_mSO_SQ_bEUlT_E_NS1_11comp_targetILNS1_3genE8ELNS1_11target_archE1030ELNS1_3gpuE2ELNS1_3repE0EEENS1_30default_config_static_selectorELNS0_4arch9wavefront6targetE1EEEvT1_
    .private_segment_fixed_size: 0
    .sgpr_count:     4
    .sgpr_spill_count: 0
    .symbol:         _ZN7rocprim17ROCPRIM_400000_NS6detail17trampoline_kernelINS0_14default_configENS1_25transform_config_selectorIiLb0EEEZNS1_14transform_implILb0ES3_S5_NS0_18transform_iteratorINS0_17counting_iteratorImlEEZNS1_24adjacent_difference_implIS3_Lb1ELb0EPiN6thrust23THRUST_200600_302600_NS16discard_iteratorINSD_11use_defaultEEENSD_5minusIiEEEE10hipError_tPvRmT2_T3_mT4_P12ihipStream_tbEUlmE_iEESB_NS0_8identityIvEEEESJ_SM_SN_mSO_SQ_bEUlT_E_NS1_11comp_targetILNS1_3genE8ELNS1_11target_archE1030ELNS1_3gpuE2ELNS1_3repE0EEENS1_30default_config_static_selectorELNS0_4arch9wavefront6targetE1EEEvT1_.kd
    .uniform_work_group_size: 1
    .uses_dynamic_stack: false
    .vgpr_count:     0
    .vgpr_spill_count: 0
    .wavefront_size: 64
  - .agpr_count:     0
    .args:
      - .offset:         0
        .size:           64
        .value_kind:     by_value
    .group_segment_fixed_size: 0
    .kernarg_segment_align: 8
    .kernarg_segment_size: 64
    .language:       OpenCL C
    .language_version:
      - 2
      - 0
    .max_flat_workgroup_size: 1024
    .name:           _ZN7rocprim17ROCPRIM_400000_NS6detail17trampoline_kernelINS0_14default_configENS1_35adjacent_difference_config_selectorILb1EiEEZNS1_24adjacent_difference_implIS3_Lb1ELb0EPiN6thrust23THRUST_200600_302600_NS16discard_iteratorINS9_11use_defaultEEENS9_5minusIiEEEE10hipError_tPvRmT2_T3_mT4_P12ihipStream_tbEUlT_E_NS1_11comp_targetILNS1_3genE0ELNS1_11target_archE4294967295ELNS1_3gpuE0ELNS1_3repE0EEENS1_30default_config_static_selectorELNS0_4arch9wavefront6targetE1EEEvT1_
    .private_segment_fixed_size: 0
    .sgpr_count:     4
    .sgpr_spill_count: 0
    .symbol:         _ZN7rocprim17ROCPRIM_400000_NS6detail17trampoline_kernelINS0_14default_configENS1_35adjacent_difference_config_selectorILb1EiEEZNS1_24adjacent_difference_implIS3_Lb1ELb0EPiN6thrust23THRUST_200600_302600_NS16discard_iteratorINS9_11use_defaultEEENS9_5minusIiEEEE10hipError_tPvRmT2_T3_mT4_P12ihipStream_tbEUlT_E_NS1_11comp_targetILNS1_3genE0ELNS1_11target_archE4294967295ELNS1_3gpuE0ELNS1_3repE0EEENS1_30default_config_static_selectorELNS0_4arch9wavefront6targetE1EEEvT1_.kd
    .uniform_work_group_size: 1
    .uses_dynamic_stack: false
    .vgpr_count:     0
    .vgpr_spill_count: 0
    .wavefront_size: 64
  - .agpr_count:     0
    .args:
      - .offset:         0
        .size:           64
        .value_kind:     by_value
    .group_segment_fixed_size: 0
    .kernarg_segment_align: 8
    .kernarg_segment_size: 64
    .language:       OpenCL C
    .language_version:
      - 2
      - 0
    .max_flat_workgroup_size: 32
    .name:           _ZN7rocprim17ROCPRIM_400000_NS6detail17trampoline_kernelINS0_14default_configENS1_35adjacent_difference_config_selectorILb1EiEEZNS1_24adjacent_difference_implIS3_Lb1ELb0EPiN6thrust23THRUST_200600_302600_NS16discard_iteratorINS9_11use_defaultEEENS9_5minusIiEEEE10hipError_tPvRmT2_T3_mT4_P12ihipStream_tbEUlT_E_NS1_11comp_targetILNS1_3genE10ELNS1_11target_archE1201ELNS1_3gpuE5ELNS1_3repE0EEENS1_30default_config_static_selectorELNS0_4arch9wavefront6targetE1EEEvT1_
    .private_segment_fixed_size: 0
    .sgpr_count:     4
    .sgpr_spill_count: 0
    .symbol:         _ZN7rocprim17ROCPRIM_400000_NS6detail17trampoline_kernelINS0_14default_configENS1_35adjacent_difference_config_selectorILb1EiEEZNS1_24adjacent_difference_implIS3_Lb1ELb0EPiN6thrust23THRUST_200600_302600_NS16discard_iteratorINS9_11use_defaultEEENS9_5minusIiEEEE10hipError_tPvRmT2_T3_mT4_P12ihipStream_tbEUlT_E_NS1_11comp_targetILNS1_3genE10ELNS1_11target_archE1201ELNS1_3gpuE5ELNS1_3repE0EEENS1_30default_config_static_selectorELNS0_4arch9wavefront6targetE1EEEvT1_.kd
    .uniform_work_group_size: 1
    .uses_dynamic_stack: false
    .vgpr_count:     0
    .vgpr_spill_count: 0
    .wavefront_size: 64
  - .agpr_count:     0
    .args:
      - .offset:         0
        .size:           64
        .value_kind:     by_value
    .group_segment_fixed_size: 0
    .kernarg_segment_align: 8
    .kernarg_segment_size: 64
    .language:       OpenCL C
    .language_version:
      - 2
      - 0
    .max_flat_workgroup_size: 512
    .name:           _ZN7rocprim17ROCPRIM_400000_NS6detail17trampoline_kernelINS0_14default_configENS1_35adjacent_difference_config_selectorILb1EiEEZNS1_24adjacent_difference_implIS3_Lb1ELb0EPiN6thrust23THRUST_200600_302600_NS16discard_iteratorINS9_11use_defaultEEENS9_5minusIiEEEE10hipError_tPvRmT2_T3_mT4_P12ihipStream_tbEUlT_E_NS1_11comp_targetILNS1_3genE5ELNS1_11target_archE942ELNS1_3gpuE9ELNS1_3repE0EEENS1_30default_config_static_selectorELNS0_4arch9wavefront6targetE1EEEvT1_
    .private_segment_fixed_size: 0
    .sgpr_count:     4
    .sgpr_spill_count: 0
    .symbol:         _ZN7rocprim17ROCPRIM_400000_NS6detail17trampoline_kernelINS0_14default_configENS1_35adjacent_difference_config_selectorILb1EiEEZNS1_24adjacent_difference_implIS3_Lb1ELb0EPiN6thrust23THRUST_200600_302600_NS16discard_iteratorINS9_11use_defaultEEENS9_5minusIiEEEE10hipError_tPvRmT2_T3_mT4_P12ihipStream_tbEUlT_E_NS1_11comp_targetILNS1_3genE5ELNS1_11target_archE942ELNS1_3gpuE9ELNS1_3repE0EEENS1_30default_config_static_selectorELNS0_4arch9wavefront6targetE1EEEvT1_.kd
    .uniform_work_group_size: 1
    .uses_dynamic_stack: false
    .vgpr_count:     0
    .vgpr_spill_count: 0
    .wavefront_size: 64
  - .agpr_count:     0
    .args:
      - .offset:         0
        .size:           64
        .value_kind:     by_value
    .group_segment_fixed_size: 10240
    .kernarg_segment_align: 8
    .kernarg_segment_size: 64
    .language:       OpenCL C
    .language_version:
      - 2
      - 0
    .max_flat_workgroup_size: 512
    .name:           _ZN7rocprim17ROCPRIM_400000_NS6detail17trampoline_kernelINS0_14default_configENS1_35adjacent_difference_config_selectorILb1EiEEZNS1_24adjacent_difference_implIS3_Lb1ELb0EPiN6thrust23THRUST_200600_302600_NS16discard_iteratorINS9_11use_defaultEEENS9_5minusIiEEEE10hipError_tPvRmT2_T3_mT4_P12ihipStream_tbEUlT_E_NS1_11comp_targetILNS1_3genE4ELNS1_11target_archE910ELNS1_3gpuE8ELNS1_3repE0EEENS1_30default_config_static_selectorELNS0_4arch9wavefront6targetE1EEEvT1_
    .private_segment_fixed_size: 0
    .sgpr_count:     25
    .sgpr_spill_count: 0
    .symbol:         _ZN7rocprim17ROCPRIM_400000_NS6detail17trampoline_kernelINS0_14default_configENS1_35adjacent_difference_config_selectorILb1EiEEZNS1_24adjacent_difference_implIS3_Lb1ELb0EPiN6thrust23THRUST_200600_302600_NS16discard_iteratorINS9_11use_defaultEEENS9_5minusIiEEEE10hipError_tPvRmT2_T3_mT4_P12ihipStream_tbEUlT_E_NS1_11comp_targetILNS1_3genE4ELNS1_11target_archE910ELNS1_3gpuE8ELNS1_3repE0EEENS1_30default_config_static_selectorELNS0_4arch9wavefront6targetE1EEEvT1_.kd
    .uniform_work_group_size: 1
    .uses_dynamic_stack: false
    .vgpr_count:     16
    .vgpr_spill_count: 0
    .wavefront_size: 64
  - .agpr_count:     0
    .args:
      - .offset:         0
        .size:           64
        .value_kind:     by_value
    .group_segment_fixed_size: 0
    .kernarg_segment_align: 8
    .kernarg_segment_size: 64
    .language:       OpenCL C
    .language_version:
      - 2
      - 0
    .max_flat_workgroup_size: 1024
    .name:           _ZN7rocprim17ROCPRIM_400000_NS6detail17trampoline_kernelINS0_14default_configENS1_35adjacent_difference_config_selectorILb1EiEEZNS1_24adjacent_difference_implIS3_Lb1ELb0EPiN6thrust23THRUST_200600_302600_NS16discard_iteratorINS9_11use_defaultEEENS9_5minusIiEEEE10hipError_tPvRmT2_T3_mT4_P12ihipStream_tbEUlT_E_NS1_11comp_targetILNS1_3genE3ELNS1_11target_archE908ELNS1_3gpuE7ELNS1_3repE0EEENS1_30default_config_static_selectorELNS0_4arch9wavefront6targetE1EEEvT1_
    .private_segment_fixed_size: 0
    .sgpr_count:     4
    .sgpr_spill_count: 0
    .symbol:         _ZN7rocprim17ROCPRIM_400000_NS6detail17trampoline_kernelINS0_14default_configENS1_35adjacent_difference_config_selectorILb1EiEEZNS1_24adjacent_difference_implIS3_Lb1ELb0EPiN6thrust23THRUST_200600_302600_NS16discard_iteratorINS9_11use_defaultEEENS9_5minusIiEEEE10hipError_tPvRmT2_T3_mT4_P12ihipStream_tbEUlT_E_NS1_11comp_targetILNS1_3genE3ELNS1_11target_archE908ELNS1_3gpuE7ELNS1_3repE0EEENS1_30default_config_static_selectorELNS0_4arch9wavefront6targetE1EEEvT1_.kd
    .uniform_work_group_size: 1
    .uses_dynamic_stack: false
    .vgpr_count:     0
    .vgpr_spill_count: 0
    .wavefront_size: 64
  - .agpr_count:     0
    .args:
      - .offset:         0
        .size:           64
        .value_kind:     by_value
    .group_segment_fixed_size: 0
    .kernarg_segment_align: 8
    .kernarg_segment_size: 64
    .language:       OpenCL C
    .language_version:
      - 2
      - 0
    .max_flat_workgroup_size: 256
    .name:           _ZN7rocprim17ROCPRIM_400000_NS6detail17trampoline_kernelINS0_14default_configENS1_35adjacent_difference_config_selectorILb1EiEEZNS1_24adjacent_difference_implIS3_Lb1ELb0EPiN6thrust23THRUST_200600_302600_NS16discard_iteratorINS9_11use_defaultEEENS9_5minusIiEEEE10hipError_tPvRmT2_T3_mT4_P12ihipStream_tbEUlT_E_NS1_11comp_targetILNS1_3genE2ELNS1_11target_archE906ELNS1_3gpuE6ELNS1_3repE0EEENS1_30default_config_static_selectorELNS0_4arch9wavefront6targetE1EEEvT1_
    .private_segment_fixed_size: 0
    .sgpr_count:     4
    .sgpr_spill_count: 0
    .symbol:         _ZN7rocprim17ROCPRIM_400000_NS6detail17trampoline_kernelINS0_14default_configENS1_35adjacent_difference_config_selectorILb1EiEEZNS1_24adjacent_difference_implIS3_Lb1ELb0EPiN6thrust23THRUST_200600_302600_NS16discard_iteratorINS9_11use_defaultEEENS9_5minusIiEEEE10hipError_tPvRmT2_T3_mT4_P12ihipStream_tbEUlT_E_NS1_11comp_targetILNS1_3genE2ELNS1_11target_archE906ELNS1_3gpuE6ELNS1_3repE0EEENS1_30default_config_static_selectorELNS0_4arch9wavefront6targetE1EEEvT1_.kd
    .uniform_work_group_size: 1
    .uses_dynamic_stack: false
    .vgpr_count:     0
    .vgpr_spill_count: 0
    .wavefront_size: 64
  - .agpr_count:     0
    .args:
      - .offset:         0
        .size:           64
        .value_kind:     by_value
    .group_segment_fixed_size: 0
    .kernarg_segment_align: 8
    .kernarg_segment_size: 64
    .language:       OpenCL C
    .language_version:
      - 2
      - 0
    .max_flat_workgroup_size: 128
    .name:           _ZN7rocprim17ROCPRIM_400000_NS6detail17trampoline_kernelINS0_14default_configENS1_35adjacent_difference_config_selectorILb1EiEEZNS1_24adjacent_difference_implIS3_Lb1ELb0EPiN6thrust23THRUST_200600_302600_NS16discard_iteratorINS9_11use_defaultEEENS9_5minusIiEEEE10hipError_tPvRmT2_T3_mT4_P12ihipStream_tbEUlT_E_NS1_11comp_targetILNS1_3genE9ELNS1_11target_archE1100ELNS1_3gpuE3ELNS1_3repE0EEENS1_30default_config_static_selectorELNS0_4arch9wavefront6targetE1EEEvT1_
    .private_segment_fixed_size: 0
    .sgpr_count:     4
    .sgpr_spill_count: 0
    .symbol:         _ZN7rocprim17ROCPRIM_400000_NS6detail17trampoline_kernelINS0_14default_configENS1_35adjacent_difference_config_selectorILb1EiEEZNS1_24adjacent_difference_implIS3_Lb1ELb0EPiN6thrust23THRUST_200600_302600_NS16discard_iteratorINS9_11use_defaultEEENS9_5minusIiEEEE10hipError_tPvRmT2_T3_mT4_P12ihipStream_tbEUlT_E_NS1_11comp_targetILNS1_3genE9ELNS1_11target_archE1100ELNS1_3gpuE3ELNS1_3repE0EEENS1_30default_config_static_selectorELNS0_4arch9wavefront6targetE1EEEvT1_.kd
    .uniform_work_group_size: 1
    .uses_dynamic_stack: false
    .vgpr_count:     0
    .vgpr_spill_count: 0
    .wavefront_size: 64
  - .agpr_count:     0
    .args:
      - .offset:         0
        .size:           64
        .value_kind:     by_value
    .group_segment_fixed_size: 0
    .kernarg_segment_align: 8
    .kernarg_segment_size: 64
    .language:       OpenCL C
    .language_version:
      - 2
      - 0
    .max_flat_workgroup_size: 32
    .name:           _ZN7rocprim17ROCPRIM_400000_NS6detail17trampoline_kernelINS0_14default_configENS1_35adjacent_difference_config_selectorILb1EiEEZNS1_24adjacent_difference_implIS3_Lb1ELb0EPiN6thrust23THRUST_200600_302600_NS16discard_iteratorINS9_11use_defaultEEENS9_5minusIiEEEE10hipError_tPvRmT2_T3_mT4_P12ihipStream_tbEUlT_E_NS1_11comp_targetILNS1_3genE8ELNS1_11target_archE1030ELNS1_3gpuE2ELNS1_3repE0EEENS1_30default_config_static_selectorELNS0_4arch9wavefront6targetE1EEEvT1_
    .private_segment_fixed_size: 0
    .sgpr_count:     4
    .sgpr_spill_count: 0
    .symbol:         _ZN7rocprim17ROCPRIM_400000_NS6detail17trampoline_kernelINS0_14default_configENS1_35adjacent_difference_config_selectorILb1EiEEZNS1_24adjacent_difference_implIS3_Lb1ELb0EPiN6thrust23THRUST_200600_302600_NS16discard_iteratorINS9_11use_defaultEEENS9_5minusIiEEEE10hipError_tPvRmT2_T3_mT4_P12ihipStream_tbEUlT_E_NS1_11comp_targetILNS1_3genE8ELNS1_11target_archE1030ELNS1_3gpuE2ELNS1_3repE0EEENS1_30default_config_static_selectorELNS0_4arch9wavefront6targetE1EEEvT1_.kd
    .uniform_work_group_size: 1
    .uses_dynamic_stack: false
    .vgpr_count:     0
    .vgpr_spill_count: 0
    .wavefront_size: 64
  - .agpr_count:     0
    .args:
      - .offset:         0
        .size:           56
        .value_kind:     by_value
    .group_segment_fixed_size: 0
    .kernarg_segment_align: 8
    .kernarg_segment_size: 56
    .language:       OpenCL C
    .language_version:
      - 2
      - 0
    .max_flat_workgroup_size: 128
    .name:           _ZN7rocprim17ROCPRIM_400000_NS6detail17trampoline_kernelINS0_14default_configENS1_25transform_config_selectorIjLb0EEEZNS1_14transform_implILb0ES3_S5_NS0_18transform_iteratorINS0_17counting_iteratorImlEEZNS1_24adjacent_difference_implIS3_Lb1ELb0EPjN6thrust23THRUST_200600_302600_NS16discard_iteratorINSD_11use_defaultEEENSD_5minusIjEEEE10hipError_tPvRmT2_T3_mT4_P12ihipStream_tbEUlmE_jEESB_NS0_8identityIvEEEESJ_SM_SN_mSO_SQ_bEUlT_E_NS1_11comp_targetILNS1_3genE0ELNS1_11target_archE4294967295ELNS1_3gpuE0ELNS1_3repE0EEENS1_30default_config_static_selectorELNS0_4arch9wavefront6targetE1EEEvT1_
    .private_segment_fixed_size: 0
    .sgpr_count:     4
    .sgpr_spill_count: 0
    .symbol:         _ZN7rocprim17ROCPRIM_400000_NS6detail17trampoline_kernelINS0_14default_configENS1_25transform_config_selectorIjLb0EEEZNS1_14transform_implILb0ES3_S5_NS0_18transform_iteratorINS0_17counting_iteratorImlEEZNS1_24adjacent_difference_implIS3_Lb1ELb0EPjN6thrust23THRUST_200600_302600_NS16discard_iteratorINSD_11use_defaultEEENSD_5minusIjEEEE10hipError_tPvRmT2_T3_mT4_P12ihipStream_tbEUlmE_jEESB_NS0_8identityIvEEEESJ_SM_SN_mSO_SQ_bEUlT_E_NS1_11comp_targetILNS1_3genE0ELNS1_11target_archE4294967295ELNS1_3gpuE0ELNS1_3repE0EEENS1_30default_config_static_selectorELNS0_4arch9wavefront6targetE1EEEvT1_.kd
    .uniform_work_group_size: 1
    .uses_dynamic_stack: false
    .vgpr_count:     0
    .vgpr_spill_count: 0
    .wavefront_size: 64
  - .agpr_count:     0
    .args:
      - .offset:         0
        .size:           56
        .value_kind:     by_value
    .group_segment_fixed_size: 0
    .kernarg_segment_align: 8
    .kernarg_segment_size: 56
    .language:       OpenCL C
    .language_version:
      - 2
      - 0
    .max_flat_workgroup_size: 512
    .name:           _ZN7rocprim17ROCPRIM_400000_NS6detail17trampoline_kernelINS0_14default_configENS1_25transform_config_selectorIjLb0EEEZNS1_14transform_implILb0ES3_S5_NS0_18transform_iteratorINS0_17counting_iteratorImlEEZNS1_24adjacent_difference_implIS3_Lb1ELb0EPjN6thrust23THRUST_200600_302600_NS16discard_iteratorINSD_11use_defaultEEENSD_5minusIjEEEE10hipError_tPvRmT2_T3_mT4_P12ihipStream_tbEUlmE_jEESB_NS0_8identityIvEEEESJ_SM_SN_mSO_SQ_bEUlT_E_NS1_11comp_targetILNS1_3genE5ELNS1_11target_archE942ELNS1_3gpuE9ELNS1_3repE0EEENS1_30default_config_static_selectorELNS0_4arch9wavefront6targetE1EEEvT1_
    .private_segment_fixed_size: 0
    .sgpr_count:     4
    .sgpr_spill_count: 0
    .symbol:         _ZN7rocprim17ROCPRIM_400000_NS6detail17trampoline_kernelINS0_14default_configENS1_25transform_config_selectorIjLb0EEEZNS1_14transform_implILb0ES3_S5_NS0_18transform_iteratorINS0_17counting_iteratorImlEEZNS1_24adjacent_difference_implIS3_Lb1ELb0EPjN6thrust23THRUST_200600_302600_NS16discard_iteratorINSD_11use_defaultEEENSD_5minusIjEEEE10hipError_tPvRmT2_T3_mT4_P12ihipStream_tbEUlmE_jEESB_NS0_8identityIvEEEESJ_SM_SN_mSO_SQ_bEUlT_E_NS1_11comp_targetILNS1_3genE5ELNS1_11target_archE942ELNS1_3gpuE9ELNS1_3repE0EEENS1_30default_config_static_selectorELNS0_4arch9wavefront6targetE1EEEvT1_.kd
    .uniform_work_group_size: 1
    .uses_dynamic_stack: false
    .vgpr_count:     0
    .vgpr_spill_count: 0
    .wavefront_size: 64
  - .agpr_count:     0
    .args:
      - .offset:         0
        .size:           56
        .value_kind:     by_value
      - .offset:         56
        .size:           4
        .value_kind:     hidden_block_count_x
      - .offset:         60
        .size:           4
        .value_kind:     hidden_block_count_y
      - .offset:         64
        .size:           4
        .value_kind:     hidden_block_count_z
      - .offset:         68
        .size:           2
        .value_kind:     hidden_group_size_x
      - .offset:         70
        .size:           2
        .value_kind:     hidden_group_size_y
      - .offset:         72
        .size:           2
        .value_kind:     hidden_group_size_z
      - .offset:         74
        .size:           2
        .value_kind:     hidden_remainder_x
      - .offset:         76
        .size:           2
        .value_kind:     hidden_remainder_y
      - .offset:         78
        .size:           2
        .value_kind:     hidden_remainder_z
      - .offset:         96
        .size:           8
        .value_kind:     hidden_global_offset_x
      - .offset:         104
        .size:           8
        .value_kind:     hidden_global_offset_y
      - .offset:         112
        .size:           8
        .value_kind:     hidden_global_offset_z
      - .offset:         120
        .size:           2
        .value_kind:     hidden_grid_dims
    .group_segment_fixed_size: 0
    .kernarg_segment_align: 8
    .kernarg_segment_size: 312
    .language:       OpenCL C
    .language_version:
      - 2
      - 0
    .max_flat_workgroup_size: 1024
    .name:           _ZN7rocprim17ROCPRIM_400000_NS6detail17trampoline_kernelINS0_14default_configENS1_25transform_config_selectorIjLb0EEEZNS1_14transform_implILb0ES3_S5_NS0_18transform_iteratorINS0_17counting_iteratorImlEEZNS1_24adjacent_difference_implIS3_Lb1ELb0EPjN6thrust23THRUST_200600_302600_NS16discard_iteratorINSD_11use_defaultEEENSD_5minusIjEEEE10hipError_tPvRmT2_T3_mT4_P12ihipStream_tbEUlmE_jEESB_NS0_8identityIvEEEESJ_SM_SN_mSO_SQ_bEUlT_E_NS1_11comp_targetILNS1_3genE4ELNS1_11target_archE910ELNS1_3gpuE8ELNS1_3repE0EEENS1_30default_config_static_selectorELNS0_4arch9wavefront6targetE1EEEvT1_
    .private_segment_fixed_size: 0
    .sgpr_count:     22
    .sgpr_spill_count: 0
    .symbol:         _ZN7rocprim17ROCPRIM_400000_NS6detail17trampoline_kernelINS0_14default_configENS1_25transform_config_selectorIjLb0EEEZNS1_14transform_implILb0ES3_S5_NS0_18transform_iteratorINS0_17counting_iteratorImlEEZNS1_24adjacent_difference_implIS3_Lb1ELb0EPjN6thrust23THRUST_200600_302600_NS16discard_iteratorINSD_11use_defaultEEENSD_5minusIjEEEE10hipError_tPvRmT2_T3_mT4_P12ihipStream_tbEUlmE_jEESB_NS0_8identityIvEEEESJ_SM_SN_mSO_SQ_bEUlT_E_NS1_11comp_targetILNS1_3genE4ELNS1_11target_archE910ELNS1_3gpuE8ELNS1_3repE0EEENS1_30default_config_static_selectorELNS0_4arch9wavefront6targetE1EEEvT1_.kd
    .uniform_work_group_size: 1
    .uses_dynamic_stack: false
    .vgpr_count:     8
    .vgpr_spill_count: 0
    .wavefront_size: 64
  - .agpr_count:     0
    .args:
      - .offset:         0
        .size:           56
        .value_kind:     by_value
    .group_segment_fixed_size: 0
    .kernarg_segment_align: 8
    .kernarg_segment_size: 56
    .language:       OpenCL C
    .language_version:
      - 2
      - 0
    .max_flat_workgroup_size: 128
    .name:           _ZN7rocprim17ROCPRIM_400000_NS6detail17trampoline_kernelINS0_14default_configENS1_25transform_config_selectorIjLb0EEEZNS1_14transform_implILb0ES3_S5_NS0_18transform_iteratorINS0_17counting_iteratorImlEEZNS1_24adjacent_difference_implIS3_Lb1ELb0EPjN6thrust23THRUST_200600_302600_NS16discard_iteratorINSD_11use_defaultEEENSD_5minusIjEEEE10hipError_tPvRmT2_T3_mT4_P12ihipStream_tbEUlmE_jEESB_NS0_8identityIvEEEESJ_SM_SN_mSO_SQ_bEUlT_E_NS1_11comp_targetILNS1_3genE3ELNS1_11target_archE908ELNS1_3gpuE7ELNS1_3repE0EEENS1_30default_config_static_selectorELNS0_4arch9wavefront6targetE1EEEvT1_
    .private_segment_fixed_size: 0
    .sgpr_count:     4
    .sgpr_spill_count: 0
    .symbol:         _ZN7rocprim17ROCPRIM_400000_NS6detail17trampoline_kernelINS0_14default_configENS1_25transform_config_selectorIjLb0EEEZNS1_14transform_implILb0ES3_S5_NS0_18transform_iteratorINS0_17counting_iteratorImlEEZNS1_24adjacent_difference_implIS3_Lb1ELb0EPjN6thrust23THRUST_200600_302600_NS16discard_iteratorINSD_11use_defaultEEENSD_5minusIjEEEE10hipError_tPvRmT2_T3_mT4_P12ihipStream_tbEUlmE_jEESB_NS0_8identityIvEEEESJ_SM_SN_mSO_SQ_bEUlT_E_NS1_11comp_targetILNS1_3genE3ELNS1_11target_archE908ELNS1_3gpuE7ELNS1_3repE0EEENS1_30default_config_static_selectorELNS0_4arch9wavefront6targetE1EEEvT1_.kd
    .uniform_work_group_size: 1
    .uses_dynamic_stack: false
    .vgpr_count:     0
    .vgpr_spill_count: 0
    .wavefront_size: 64
  - .agpr_count:     0
    .args:
      - .offset:         0
        .size:           56
        .value_kind:     by_value
    .group_segment_fixed_size: 0
    .kernarg_segment_align: 8
    .kernarg_segment_size: 56
    .language:       OpenCL C
    .language_version:
      - 2
      - 0
    .max_flat_workgroup_size: 1024
    .name:           _ZN7rocprim17ROCPRIM_400000_NS6detail17trampoline_kernelINS0_14default_configENS1_25transform_config_selectorIjLb0EEEZNS1_14transform_implILb0ES3_S5_NS0_18transform_iteratorINS0_17counting_iteratorImlEEZNS1_24adjacent_difference_implIS3_Lb1ELb0EPjN6thrust23THRUST_200600_302600_NS16discard_iteratorINSD_11use_defaultEEENSD_5minusIjEEEE10hipError_tPvRmT2_T3_mT4_P12ihipStream_tbEUlmE_jEESB_NS0_8identityIvEEEESJ_SM_SN_mSO_SQ_bEUlT_E_NS1_11comp_targetILNS1_3genE2ELNS1_11target_archE906ELNS1_3gpuE6ELNS1_3repE0EEENS1_30default_config_static_selectorELNS0_4arch9wavefront6targetE1EEEvT1_
    .private_segment_fixed_size: 0
    .sgpr_count:     4
    .sgpr_spill_count: 0
    .symbol:         _ZN7rocprim17ROCPRIM_400000_NS6detail17trampoline_kernelINS0_14default_configENS1_25transform_config_selectorIjLb0EEEZNS1_14transform_implILb0ES3_S5_NS0_18transform_iteratorINS0_17counting_iteratorImlEEZNS1_24adjacent_difference_implIS3_Lb1ELb0EPjN6thrust23THRUST_200600_302600_NS16discard_iteratorINSD_11use_defaultEEENSD_5minusIjEEEE10hipError_tPvRmT2_T3_mT4_P12ihipStream_tbEUlmE_jEESB_NS0_8identityIvEEEESJ_SM_SN_mSO_SQ_bEUlT_E_NS1_11comp_targetILNS1_3genE2ELNS1_11target_archE906ELNS1_3gpuE6ELNS1_3repE0EEENS1_30default_config_static_selectorELNS0_4arch9wavefront6targetE1EEEvT1_.kd
    .uniform_work_group_size: 1
    .uses_dynamic_stack: false
    .vgpr_count:     0
    .vgpr_spill_count: 0
    .wavefront_size: 64
  - .agpr_count:     0
    .args:
      - .offset:         0
        .size:           56
        .value_kind:     by_value
    .group_segment_fixed_size: 0
    .kernarg_segment_align: 8
    .kernarg_segment_size: 56
    .language:       OpenCL C
    .language_version:
      - 2
      - 0
    .max_flat_workgroup_size: 1024
    .name:           _ZN7rocprim17ROCPRIM_400000_NS6detail17trampoline_kernelINS0_14default_configENS1_25transform_config_selectorIjLb0EEEZNS1_14transform_implILb0ES3_S5_NS0_18transform_iteratorINS0_17counting_iteratorImlEEZNS1_24adjacent_difference_implIS3_Lb1ELb0EPjN6thrust23THRUST_200600_302600_NS16discard_iteratorINSD_11use_defaultEEENSD_5minusIjEEEE10hipError_tPvRmT2_T3_mT4_P12ihipStream_tbEUlmE_jEESB_NS0_8identityIvEEEESJ_SM_SN_mSO_SQ_bEUlT_E_NS1_11comp_targetILNS1_3genE10ELNS1_11target_archE1201ELNS1_3gpuE5ELNS1_3repE0EEENS1_30default_config_static_selectorELNS0_4arch9wavefront6targetE1EEEvT1_
    .private_segment_fixed_size: 0
    .sgpr_count:     4
    .sgpr_spill_count: 0
    .symbol:         _ZN7rocprim17ROCPRIM_400000_NS6detail17trampoline_kernelINS0_14default_configENS1_25transform_config_selectorIjLb0EEEZNS1_14transform_implILb0ES3_S5_NS0_18transform_iteratorINS0_17counting_iteratorImlEEZNS1_24adjacent_difference_implIS3_Lb1ELb0EPjN6thrust23THRUST_200600_302600_NS16discard_iteratorINSD_11use_defaultEEENSD_5minusIjEEEE10hipError_tPvRmT2_T3_mT4_P12ihipStream_tbEUlmE_jEESB_NS0_8identityIvEEEESJ_SM_SN_mSO_SQ_bEUlT_E_NS1_11comp_targetILNS1_3genE10ELNS1_11target_archE1201ELNS1_3gpuE5ELNS1_3repE0EEENS1_30default_config_static_selectorELNS0_4arch9wavefront6targetE1EEEvT1_.kd
    .uniform_work_group_size: 1
    .uses_dynamic_stack: false
    .vgpr_count:     0
    .vgpr_spill_count: 0
    .wavefront_size: 64
  - .agpr_count:     0
    .args:
      - .offset:         0
        .size:           56
        .value_kind:     by_value
    .group_segment_fixed_size: 0
    .kernarg_segment_align: 8
    .kernarg_segment_size: 56
    .language:       OpenCL C
    .language_version:
      - 2
      - 0
    .max_flat_workgroup_size: 512
    .name:           _ZN7rocprim17ROCPRIM_400000_NS6detail17trampoline_kernelINS0_14default_configENS1_25transform_config_selectorIjLb0EEEZNS1_14transform_implILb0ES3_S5_NS0_18transform_iteratorINS0_17counting_iteratorImlEEZNS1_24adjacent_difference_implIS3_Lb1ELb0EPjN6thrust23THRUST_200600_302600_NS16discard_iteratorINSD_11use_defaultEEENSD_5minusIjEEEE10hipError_tPvRmT2_T3_mT4_P12ihipStream_tbEUlmE_jEESB_NS0_8identityIvEEEESJ_SM_SN_mSO_SQ_bEUlT_E_NS1_11comp_targetILNS1_3genE10ELNS1_11target_archE1200ELNS1_3gpuE4ELNS1_3repE0EEENS1_30default_config_static_selectorELNS0_4arch9wavefront6targetE1EEEvT1_
    .private_segment_fixed_size: 0
    .sgpr_count:     4
    .sgpr_spill_count: 0
    .symbol:         _ZN7rocprim17ROCPRIM_400000_NS6detail17trampoline_kernelINS0_14default_configENS1_25transform_config_selectorIjLb0EEEZNS1_14transform_implILb0ES3_S5_NS0_18transform_iteratorINS0_17counting_iteratorImlEEZNS1_24adjacent_difference_implIS3_Lb1ELb0EPjN6thrust23THRUST_200600_302600_NS16discard_iteratorINSD_11use_defaultEEENSD_5minusIjEEEE10hipError_tPvRmT2_T3_mT4_P12ihipStream_tbEUlmE_jEESB_NS0_8identityIvEEEESJ_SM_SN_mSO_SQ_bEUlT_E_NS1_11comp_targetILNS1_3genE10ELNS1_11target_archE1200ELNS1_3gpuE4ELNS1_3repE0EEENS1_30default_config_static_selectorELNS0_4arch9wavefront6targetE1EEEvT1_.kd
    .uniform_work_group_size: 1
    .uses_dynamic_stack: false
    .vgpr_count:     0
    .vgpr_spill_count: 0
    .wavefront_size: 64
  - .agpr_count:     0
    .args:
      - .offset:         0
        .size:           56
        .value_kind:     by_value
    .group_segment_fixed_size: 0
    .kernarg_segment_align: 8
    .kernarg_segment_size: 56
    .language:       OpenCL C
    .language_version:
      - 2
      - 0
    .max_flat_workgroup_size: 64
    .name:           _ZN7rocprim17ROCPRIM_400000_NS6detail17trampoline_kernelINS0_14default_configENS1_25transform_config_selectorIjLb0EEEZNS1_14transform_implILb0ES3_S5_NS0_18transform_iteratorINS0_17counting_iteratorImlEEZNS1_24adjacent_difference_implIS3_Lb1ELb0EPjN6thrust23THRUST_200600_302600_NS16discard_iteratorINSD_11use_defaultEEENSD_5minusIjEEEE10hipError_tPvRmT2_T3_mT4_P12ihipStream_tbEUlmE_jEESB_NS0_8identityIvEEEESJ_SM_SN_mSO_SQ_bEUlT_E_NS1_11comp_targetILNS1_3genE9ELNS1_11target_archE1100ELNS1_3gpuE3ELNS1_3repE0EEENS1_30default_config_static_selectorELNS0_4arch9wavefront6targetE1EEEvT1_
    .private_segment_fixed_size: 0
    .sgpr_count:     4
    .sgpr_spill_count: 0
    .symbol:         _ZN7rocprim17ROCPRIM_400000_NS6detail17trampoline_kernelINS0_14default_configENS1_25transform_config_selectorIjLb0EEEZNS1_14transform_implILb0ES3_S5_NS0_18transform_iteratorINS0_17counting_iteratorImlEEZNS1_24adjacent_difference_implIS3_Lb1ELb0EPjN6thrust23THRUST_200600_302600_NS16discard_iteratorINSD_11use_defaultEEENSD_5minusIjEEEE10hipError_tPvRmT2_T3_mT4_P12ihipStream_tbEUlmE_jEESB_NS0_8identityIvEEEESJ_SM_SN_mSO_SQ_bEUlT_E_NS1_11comp_targetILNS1_3genE9ELNS1_11target_archE1100ELNS1_3gpuE3ELNS1_3repE0EEENS1_30default_config_static_selectorELNS0_4arch9wavefront6targetE1EEEvT1_.kd
    .uniform_work_group_size: 1
    .uses_dynamic_stack: false
    .vgpr_count:     0
    .vgpr_spill_count: 0
    .wavefront_size: 64
  - .agpr_count:     0
    .args:
      - .offset:         0
        .size:           56
        .value_kind:     by_value
    .group_segment_fixed_size: 0
    .kernarg_segment_align: 8
    .kernarg_segment_size: 56
    .language:       OpenCL C
    .language_version:
      - 2
      - 0
    .max_flat_workgroup_size: 256
    .name:           _ZN7rocprim17ROCPRIM_400000_NS6detail17trampoline_kernelINS0_14default_configENS1_25transform_config_selectorIjLb0EEEZNS1_14transform_implILb0ES3_S5_NS0_18transform_iteratorINS0_17counting_iteratorImlEEZNS1_24adjacent_difference_implIS3_Lb1ELb0EPjN6thrust23THRUST_200600_302600_NS16discard_iteratorINSD_11use_defaultEEENSD_5minusIjEEEE10hipError_tPvRmT2_T3_mT4_P12ihipStream_tbEUlmE_jEESB_NS0_8identityIvEEEESJ_SM_SN_mSO_SQ_bEUlT_E_NS1_11comp_targetILNS1_3genE8ELNS1_11target_archE1030ELNS1_3gpuE2ELNS1_3repE0EEENS1_30default_config_static_selectorELNS0_4arch9wavefront6targetE1EEEvT1_
    .private_segment_fixed_size: 0
    .sgpr_count:     4
    .sgpr_spill_count: 0
    .symbol:         _ZN7rocprim17ROCPRIM_400000_NS6detail17trampoline_kernelINS0_14default_configENS1_25transform_config_selectorIjLb0EEEZNS1_14transform_implILb0ES3_S5_NS0_18transform_iteratorINS0_17counting_iteratorImlEEZNS1_24adjacent_difference_implIS3_Lb1ELb0EPjN6thrust23THRUST_200600_302600_NS16discard_iteratorINSD_11use_defaultEEENSD_5minusIjEEEE10hipError_tPvRmT2_T3_mT4_P12ihipStream_tbEUlmE_jEESB_NS0_8identityIvEEEESJ_SM_SN_mSO_SQ_bEUlT_E_NS1_11comp_targetILNS1_3genE8ELNS1_11target_archE1030ELNS1_3gpuE2ELNS1_3repE0EEENS1_30default_config_static_selectorELNS0_4arch9wavefront6targetE1EEEvT1_.kd
    .uniform_work_group_size: 1
    .uses_dynamic_stack: false
    .vgpr_count:     0
    .vgpr_spill_count: 0
    .wavefront_size: 64
  - .agpr_count:     0
    .args:
      - .offset:         0
        .size:           64
        .value_kind:     by_value
    .group_segment_fixed_size: 0
    .kernarg_segment_align: 8
    .kernarg_segment_size: 64
    .language:       OpenCL C
    .language_version:
      - 2
      - 0
    .max_flat_workgroup_size: 1024
    .name:           _ZN7rocprim17ROCPRIM_400000_NS6detail17trampoline_kernelINS0_14default_configENS1_35adjacent_difference_config_selectorILb1EjEEZNS1_24adjacent_difference_implIS3_Lb1ELb0EPjN6thrust23THRUST_200600_302600_NS16discard_iteratorINS9_11use_defaultEEENS9_5minusIjEEEE10hipError_tPvRmT2_T3_mT4_P12ihipStream_tbEUlT_E_NS1_11comp_targetILNS1_3genE0ELNS1_11target_archE4294967295ELNS1_3gpuE0ELNS1_3repE0EEENS1_30default_config_static_selectorELNS0_4arch9wavefront6targetE1EEEvT1_
    .private_segment_fixed_size: 0
    .sgpr_count:     4
    .sgpr_spill_count: 0
    .symbol:         _ZN7rocprim17ROCPRIM_400000_NS6detail17trampoline_kernelINS0_14default_configENS1_35adjacent_difference_config_selectorILb1EjEEZNS1_24adjacent_difference_implIS3_Lb1ELb0EPjN6thrust23THRUST_200600_302600_NS16discard_iteratorINS9_11use_defaultEEENS9_5minusIjEEEE10hipError_tPvRmT2_T3_mT4_P12ihipStream_tbEUlT_E_NS1_11comp_targetILNS1_3genE0ELNS1_11target_archE4294967295ELNS1_3gpuE0ELNS1_3repE0EEENS1_30default_config_static_selectorELNS0_4arch9wavefront6targetE1EEEvT1_.kd
    .uniform_work_group_size: 1
    .uses_dynamic_stack: false
    .vgpr_count:     0
    .vgpr_spill_count: 0
    .wavefront_size: 64
  - .agpr_count:     0
    .args:
      - .offset:         0
        .size:           64
        .value_kind:     by_value
    .group_segment_fixed_size: 0
    .kernarg_segment_align: 8
    .kernarg_segment_size: 64
    .language:       OpenCL C
    .language_version:
      - 2
      - 0
    .max_flat_workgroup_size: 32
    .name:           _ZN7rocprim17ROCPRIM_400000_NS6detail17trampoline_kernelINS0_14default_configENS1_35adjacent_difference_config_selectorILb1EjEEZNS1_24adjacent_difference_implIS3_Lb1ELb0EPjN6thrust23THRUST_200600_302600_NS16discard_iteratorINS9_11use_defaultEEENS9_5minusIjEEEE10hipError_tPvRmT2_T3_mT4_P12ihipStream_tbEUlT_E_NS1_11comp_targetILNS1_3genE10ELNS1_11target_archE1201ELNS1_3gpuE5ELNS1_3repE0EEENS1_30default_config_static_selectorELNS0_4arch9wavefront6targetE1EEEvT1_
    .private_segment_fixed_size: 0
    .sgpr_count:     4
    .sgpr_spill_count: 0
    .symbol:         _ZN7rocprim17ROCPRIM_400000_NS6detail17trampoline_kernelINS0_14default_configENS1_35adjacent_difference_config_selectorILb1EjEEZNS1_24adjacent_difference_implIS3_Lb1ELb0EPjN6thrust23THRUST_200600_302600_NS16discard_iteratorINS9_11use_defaultEEENS9_5minusIjEEEE10hipError_tPvRmT2_T3_mT4_P12ihipStream_tbEUlT_E_NS1_11comp_targetILNS1_3genE10ELNS1_11target_archE1201ELNS1_3gpuE5ELNS1_3repE0EEENS1_30default_config_static_selectorELNS0_4arch9wavefront6targetE1EEEvT1_.kd
    .uniform_work_group_size: 1
    .uses_dynamic_stack: false
    .vgpr_count:     0
    .vgpr_spill_count: 0
    .wavefront_size: 64
  - .agpr_count:     0
    .args:
      - .offset:         0
        .size:           64
        .value_kind:     by_value
    .group_segment_fixed_size: 0
    .kernarg_segment_align: 8
    .kernarg_segment_size: 64
    .language:       OpenCL C
    .language_version:
      - 2
      - 0
    .max_flat_workgroup_size: 512
    .name:           _ZN7rocprim17ROCPRIM_400000_NS6detail17trampoline_kernelINS0_14default_configENS1_35adjacent_difference_config_selectorILb1EjEEZNS1_24adjacent_difference_implIS3_Lb1ELb0EPjN6thrust23THRUST_200600_302600_NS16discard_iteratorINS9_11use_defaultEEENS9_5minusIjEEEE10hipError_tPvRmT2_T3_mT4_P12ihipStream_tbEUlT_E_NS1_11comp_targetILNS1_3genE5ELNS1_11target_archE942ELNS1_3gpuE9ELNS1_3repE0EEENS1_30default_config_static_selectorELNS0_4arch9wavefront6targetE1EEEvT1_
    .private_segment_fixed_size: 0
    .sgpr_count:     4
    .sgpr_spill_count: 0
    .symbol:         _ZN7rocprim17ROCPRIM_400000_NS6detail17trampoline_kernelINS0_14default_configENS1_35adjacent_difference_config_selectorILb1EjEEZNS1_24adjacent_difference_implIS3_Lb1ELb0EPjN6thrust23THRUST_200600_302600_NS16discard_iteratorINS9_11use_defaultEEENS9_5minusIjEEEE10hipError_tPvRmT2_T3_mT4_P12ihipStream_tbEUlT_E_NS1_11comp_targetILNS1_3genE5ELNS1_11target_archE942ELNS1_3gpuE9ELNS1_3repE0EEENS1_30default_config_static_selectorELNS0_4arch9wavefront6targetE1EEEvT1_.kd
    .uniform_work_group_size: 1
    .uses_dynamic_stack: false
    .vgpr_count:     0
    .vgpr_spill_count: 0
    .wavefront_size: 64
  - .agpr_count:     0
    .args:
      - .offset:         0
        .size:           64
        .value_kind:     by_value
    .group_segment_fixed_size: 10240
    .kernarg_segment_align: 8
    .kernarg_segment_size: 64
    .language:       OpenCL C
    .language_version:
      - 2
      - 0
    .max_flat_workgroup_size: 512
    .name:           _ZN7rocprim17ROCPRIM_400000_NS6detail17trampoline_kernelINS0_14default_configENS1_35adjacent_difference_config_selectorILb1EjEEZNS1_24adjacent_difference_implIS3_Lb1ELb0EPjN6thrust23THRUST_200600_302600_NS16discard_iteratorINS9_11use_defaultEEENS9_5minusIjEEEE10hipError_tPvRmT2_T3_mT4_P12ihipStream_tbEUlT_E_NS1_11comp_targetILNS1_3genE4ELNS1_11target_archE910ELNS1_3gpuE8ELNS1_3repE0EEENS1_30default_config_static_selectorELNS0_4arch9wavefront6targetE1EEEvT1_
    .private_segment_fixed_size: 0
    .sgpr_count:     25
    .sgpr_spill_count: 0
    .symbol:         _ZN7rocprim17ROCPRIM_400000_NS6detail17trampoline_kernelINS0_14default_configENS1_35adjacent_difference_config_selectorILb1EjEEZNS1_24adjacent_difference_implIS3_Lb1ELb0EPjN6thrust23THRUST_200600_302600_NS16discard_iteratorINS9_11use_defaultEEENS9_5minusIjEEEE10hipError_tPvRmT2_T3_mT4_P12ihipStream_tbEUlT_E_NS1_11comp_targetILNS1_3genE4ELNS1_11target_archE910ELNS1_3gpuE8ELNS1_3repE0EEENS1_30default_config_static_selectorELNS0_4arch9wavefront6targetE1EEEvT1_.kd
    .uniform_work_group_size: 1
    .uses_dynamic_stack: false
    .vgpr_count:     16
    .vgpr_spill_count: 0
    .wavefront_size: 64
  - .agpr_count:     0
    .args:
      - .offset:         0
        .size:           64
        .value_kind:     by_value
    .group_segment_fixed_size: 0
    .kernarg_segment_align: 8
    .kernarg_segment_size: 64
    .language:       OpenCL C
    .language_version:
      - 2
      - 0
    .max_flat_workgroup_size: 1024
    .name:           _ZN7rocprim17ROCPRIM_400000_NS6detail17trampoline_kernelINS0_14default_configENS1_35adjacent_difference_config_selectorILb1EjEEZNS1_24adjacent_difference_implIS3_Lb1ELb0EPjN6thrust23THRUST_200600_302600_NS16discard_iteratorINS9_11use_defaultEEENS9_5minusIjEEEE10hipError_tPvRmT2_T3_mT4_P12ihipStream_tbEUlT_E_NS1_11comp_targetILNS1_3genE3ELNS1_11target_archE908ELNS1_3gpuE7ELNS1_3repE0EEENS1_30default_config_static_selectorELNS0_4arch9wavefront6targetE1EEEvT1_
    .private_segment_fixed_size: 0
    .sgpr_count:     4
    .sgpr_spill_count: 0
    .symbol:         _ZN7rocprim17ROCPRIM_400000_NS6detail17trampoline_kernelINS0_14default_configENS1_35adjacent_difference_config_selectorILb1EjEEZNS1_24adjacent_difference_implIS3_Lb1ELb0EPjN6thrust23THRUST_200600_302600_NS16discard_iteratorINS9_11use_defaultEEENS9_5minusIjEEEE10hipError_tPvRmT2_T3_mT4_P12ihipStream_tbEUlT_E_NS1_11comp_targetILNS1_3genE3ELNS1_11target_archE908ELNS1_3gpuE7ELNS1_3repE0EEENS1_30default_config_static_selectorELNS0_4arch9wavefront6targetE1EEEvT1_.kd
    .uniform_work_group_size: 1
    .uses_dynamic_stack: false
    .vgpr_count:     0
    .vgpr_spill_count: 0
    .wavefront_size: 64
  - .agpr_count:     0
    .args:
      - .offset:         0
        .size:           64
        .value_kind:     by_value
    .group_segment_fixed_size: 0
    .kernarg_segment_align: 8
    .kernarg_segment_size: 64
    .language:       OpenCL C
    .language_version:
      - 2
      - 0
    .max_flat_workgroup_size: 256
    .name:           _ZN7rocprim17ROCPRIM_400000_NS6detail17trampoline_kernelINS0_14default_configENS1_35adjacent_difference_config_selectorILb1EjEEZNS1_24adjacent_difference_implIS3_Lb1ELb0EPjN6thrust23THRUST_200600_302600_NS16discard_iteratorINS9_11use_defaultEEENS9_5minusIjEEEE10hipError_tPvRmT2_T3_mT4_P12ihipStream_tbEUlT_E_NS1_11comp_targetILNS1_3genE2ELNS1_11target_archE906ELNS1_3gpuE6ELNS1_3repE0EEENS1_30default_config_static_selectorELNS0_4arch9wavefront6targetE1EEEvT1_
    .private_segment_fixed_size: 0
    .sgpr_count:     4
    .sgpr_spill_count: 0
    .symbol:         _ZN7rocprim17ROCPRIM_400000_NS6detail17trampoline_kernelINS0_14default_configENS1_35adjacent_difference_config_selectorILb1EjEEZNS1_24adjacent_difference_implIS3_Lb1ELb0EPjN6thrust23THRUST_200600_302600_NS16discard_iteratorINS9_11use_defaultEEENS9_5minusIjEEEE10hipError_tPvRmT2_T3_mT4_P12ihipStream_tbEUlT_E_NS1_11comp_targetILNS1_3genE2ELNS1_11target_archE906ELNS1_3gpuE6ELNS1_3repE0EEENS1_30default_config_static_selectorELNS0_4arch9wavefront6targetE1EEEvT1_.kd
    .uniform_work_group_size: 1
    .uses_dynamic_stack: false
    .vgpr_count:     0
    .vgpr_spill_count: 0
    .wavefront_size: 64
  - .agpr_count:     0
    .args:
      - .offset:         0
        .size:           64
        .value_kind:     by_value
    .group_segment_fixed_size: 0
    .kernarg_segment_align: 8
    .kernarg_segment_size: 64
    .language:       OpenCL C
    .language_version:
      - 2
      - 0
    .max_flat_workgroup_size: 128
    .name:           _ZN7rocprim17ROCPRIM_400000_NS6detail17trampoline_kernelINS0_14default_configENS1_35adjacent_difference_config_selectorILb1EjEEZNS1_24adjacent_difference_implIS3_Lb1ELb0EPjN6thrust23THRUST_200600_302600_NS16discard_iteratorINS9_11use_defaultEEENS9_5minusIjEEEE10hipError_tPvRmT2_T3_mT4_P12ihipStream_tbEUlT_E_NS1_11comp_targetILNS1_3genE9ELNS1_11target_archE1100ELNS1_3gpuE3ELNS1_3repE0EEENS1_30default_config_static_selectorELNS0_4arch9wavefront6targetE1EEEvT1_
    .private_segment_fixed_size: 0
    .sgpr_count:     4
    .sgpr_spill_count: 0
    .symbol:         _ZN7rocprim17ROCPRIM_400000_NS6detail17trampoline_kernelINS0_14default_configENS1_35adjacent_difference_config_selectorILb1EjEEZNS1_24adjacent_difference_implIS3_Lb1ELb0EPjN6thrust23THRUST_200600_302600_NS16discard_iteratorINS9_11use_defaultEEENS9_5minusIjEEEE10hipError_tPvRmT2_T3_mT4_P12ihipStream_tbEUlT_E_NS1_11comp_targetILNS1_3genE9ELNS1_11target_archE1100ELNS1_3gpuE3ELNS1_3repE0EEENS1_30default_config_static_selectorELNS0_4arch9wavefront6targetE1EEEvT1_.kd
    .uniform_work_group_size: 1
    .uses_dynamic_stack: false
    .vgpr_count:     0
    .vgpr_spill_count: 0
    .wavefront_size: 64
  - .agpr_count:     0
    .args:
      - .offset:         0
        .size:           64
        .value_kind:     by_value
    .group_segment_fixed_size: 0
    .kernarg_segment_align: 8
    .kernarg_segment_size: 64
    .language:       OpenCL C
    .language_version:
      - 2
      - 0
    .max_flat_workgroup_size: 32
    .name:           _ZN7rocprim17ROCPRIM_400000_NS6detail17trampoline_kernelINS0_14default_configENS1_35adjacent_difference_config_selectorILb1EjEEZNS1_24adjacent_difference_implIS3_Lb1ELb0EPjN6thrust23THRUST_200600_302600_NS16discard_iteratorINS9_11use_defaultEEENS9_5minusIjEEEE10hipError_tPvRmT2_T3_mT4_P12ihipStream_tbEUlT_E_NS1_11comp_targetILNS1_3genE8ELNS1_11target_archE1030ELNS1_3gpuE2ELNS1_3repE0EEENS1_30default_config_static_selectorELNS0_4arch9wavefront6targetE1EEEvT1_
    .private_segment_fixed_size: 0
    .sgpr_count:     4
    .sgpr_spill_count: 0
    .symbol:         _ZN7rocprim17ROCPRIM_400000_NS6detail17trampoline_kernelINS0_14default_configENS1_35adjacent_difference_config_selectorILb1EjEEZNS1_24adjacent_difference_implIS3_Lb1ELb0EPjN6thrust23THRUST_200600_302600_NS16discard_iteratorINS9_11use_defaultEEENS9_5minusIjEEEE10hipError_tPvRmT2_T3_mT4_P12ihipStream_tbEUlT_E_NS1_11comp_targetILNS1_3genE8ELNS1_11target_archE1030ELNS1_3gpuE2ELNS1_3repE0EEENS1_30default_config_static_selectorELNS0_4arch9wavefront6targetE1EEEvT1_.kd
    .uniform_work_group_size: 1
    .uses_dynamic_stack: false
    .vgpr_count:     0
    .vgpr_spill_count: 0
    .wavefront_size: 64
  - .agpr_count:     0
    .args:
      - .offset:         0
        .size:           56
        .value_kind:     by_value
    .group_segment_fixed_size: 0
    .kernarg_segment_align: 8
    .kernarg_segment_size: 56
    .language:       OpenCL C
    .language_version:
      - 2
      - 0
    .max_flat_workgroup_size: 128
    .name:           _ZN7rocprim17ROCPRIM_400000_NS6detail17trampoline_kernelINS0_14default_configENS1_25transform_config_selectorIfLb0EEEZNS1_14transform_implILb0ES3_S5_NS0_18transform_iteratorINS0_17counting_iteratorImlEEZNS1_24adjacent_difference_implIS3_Lb1ELb0EPfN6thrust23THRUST_200600_302600_NS16discard_iteratorINSD_11use_defaultEEENSD_5minusIfEEEE10hipError_tPvRmT2_T3_mT4_P12ihipStream_tbEUlmE_fEESB_NS0_8identityIvEEEESJ_SM_SN_mSO_SQ_bEUlT_E_NS1_11comp_targetILNS1_3genE0ELNS1_11target_archE4294967295ELNS1_3gpuE0ELNS1_3repE0EEENS1_30default_config_static_selectorELNS0_4arch9wavefront6targetE1EEEvT1_
    .private_segment_fixed_size: 0
    .sgpr_count:     4
    .sgpr_spill_count: 0
    .symbol:         _ZN7rocprim17ROCPRIM_400000_NS6detail17trampoline_kernelINS0_14default_configENS1_25transform_config_selectorIfLb0EEEZNS1_14transform_implILb0ES3_S5_NS0_18transform_iteratorINS0_17counting_iteratorImlEEZNS1_24adjacent_difference_implIS3_Lb1ELb0EPfN6thrust23THRUST_200600_302600_NS16discard_iteratorINSD_11use_defaultEEENSD_5minusIfEEEE10hipError_tPvRmT2_T3_mT4_P12ihipStream_tbEUlmE_fEESB_NS0_8identityIvEEEESJ_SM_SN_mSO_SQ_bEUlT_E_NS1_11comp_targetILNS1_3genE0ELNS1_11target_archE4294967295ELNS1_3gpuE0ELNS1_3repE0EEENS1_30default_config_static_selectorELNS0_4arch9wavefront6targetE1EEEvT1_.kd
    .uniform_work_group_size: 1
    .uses_dynamic_stack: false
    .vgpr_count:     0
    .vgpr_spill_count: 0
    .wavefront_size: 64
  - .agpr_count:     0
    .args:
      - .offset:         0
        .size:           56
        .value_kind:     by_value
    .group_segment_fixed_size: 0
    .kernarg_segment_align: 8
    .kernarg_segment_size: 56
    .language:       OpenCL C
    .language_version:
      - 2
      - 0
    .max_flat_workgroup_size: 256
    .name:           _ZN7rocprim17ROCPRIM_400000_NS6detail17trampoline_kernelINS0_14default_configENS1_25transform_config_selectorIfLb0EEEZNS1_14transform_implILb0ES3_S5_NS0_18transform_iteratorINS0_17counting_iteratorImlEEZNS1_24adjacent_difference_implIS3_Lb1ELb0EPfN6thrust23THRUST_200600_302600_NS16discard_iteratorINSD_11use_defaultEEENSD_5minusIfEEEE10hipError_tPvRmT2_T3_mT4_P12ihipStream_tbEUlmE_fEESB_NS0_8identityIvEEEESJ_SM_SN_mSO_SQ_bEUlT_E_NS1_11comp_targetILNS1_3genE5ELNS1_11target_archE942ELNS1_3gpuE9ELNS1_3repE0EEENS1_30default_config_static_selectorELNS0_4arch9wavefront6targetE1EEEvT1_
    .private_segment_fixed_size: 0
    .sgpr_count:     4
    .sgpr_spill_count: 0
    .symbol:         _ZN7rocprim17ROCPRIM_400000_NS6detail17trampoline_kernelINS0_14default_configENS1_25transform_config_selectorIfLb0EEEZNS1_14transform_implILb0ES3_S5_NS0_18transform_iteratorINS0_17counting_iteratorImlEEZNS1_24adjacent_difference_implIS3_Lb1ELb0EPfN6thrust23THRUST_200600_302600_NS16discard_iteratorINSD_11use_defaultEEENSD_5minusIfEEEE10hipError_tPvRmT2_T3_mT4_P12ihipStream_tbEUlmE_fEESB_NS0_8identityIvEEEESJ_SM_SN_mSO_SQ_bEUlT_E_NS1_11comp_targetILNS1_3genE5ELNS1_11target_archE942ELNS1_3gpuE9ELNS1_3repE0EEENS1_30default_config_static_selectorELNS0_4arch9wavefront6targetE1EEEvT1_.kd
    .uniform_work_group_size: 1
    .uses_dynamic_stack: false
    .vgpr_count:     0
    .vgpr_spill_count: 0
    .wavefront_size: 64
  - .agpr_count:     0
    .args:
      - .offset:         0
        .size:           56
        .value_kind:     by_value
      - .offset:         56
        .size:           4
        .value_kind:     hidden_block_count_x
      - .offset:         60
        .size:           4
        .value_kind:     hidden_block_count_y
      - .offset:         64
        .size:           4
        .value_kind:     hidden_block_count_z
      - .offset:         68
        .size:           2
        .value_kind:     hidden_group_size_x
      - .offset:         70
        .size:           2
        .value_kind:     hidden_group_size_y
      - .offset:         72
        .size:           2
        .value_kind:     hidden_group_size_z
      - .offset:         74
        .size:           2
        .value_kind:     hidden_remainder_x
      - .offset:         76
        .size:           2
        .value_kind:     hidden_remainder_y
      - .offset:         78
        .size:           2
        .value_kind:     hidden_remainder_z
      - .offset:         96
        .size:           8
        .value_kind:     hidden_global_offset_x
      - .offset:         104
        .size:           8
        .value_kind:     hidden_global_offset_y
      - .offset:         112
        .size:           8
        .value_kind:     hidden_global_offset_z
      - .offset:         120
        .size:           2
        .value_kind:     hidden_grid_dims
    .group_segment_fixed_size: 0
    .kernarg_segment_align: 8
    .kernarg_segment_size: 312
    .language:       OpenCL C
    .language_version:
      - 2
      - 0
    .max_flat_workgroup_size: 1024
    .name:           _ZN7rocprim17ROCPRIM_400000_NS6detail17trampoline_kernelINS0_14default_configENS1_25transform_config_selectorIfLb0EEEZNS1_14transform_implILb0ES3_S5_NS0_18transform_iteratorINS0_17counting_iteratorImlEEZNS1_24adjacent_difference_implIS3_Lb1ELb0EPfN6thrust23THRUST_200600_302600_NS16discard_iteratorINSD_11use_defaultEEENSD_5minusIfEEEE10hipError_tPvRmT2_T3_mT4_P12ihipStream_tbEUlmE_fEESB_NS0_8identityIvEEEESJ_SM_SN_mSO_SQ_bEUlT_E_NS1_11comp_targetILNS1_3genE4ELNS1_11target_archE910ELNS1_3gpuE8ELNS1_3repE0EEENS1_30default_config_static_selectorELNS0_4arch9wavefront6targetE1EEEvT1_
    .private_segment_fixed_size: 0
    .sgpr_count:     22
    .sgpr_spill_count: 0
    .symbol:         _ZN7rocprim17ROCPRIM_400000_NS6detail17trampoline_kernelINS0_14default_configENS1_25transform_config_selectorIfLb0EEEZNS1_14transform_implILb0ES3_S5_NS0_18transform_iteratorINS0_17counting_iteratorImlEEZNS1_24adjacent_difference_implIS3_Lb1ELb0EPfN6thrust23THRUST_200600_302600_NS16discard_iteratorINSD_11use_defaultEEENSD_5minusIfEEEE10hipError_tPvRmT2_T3_mT4_P12ihipStream_tbEUlmE_fEESB_NS0_8identityIvEEEESJ_SM_SN_mSO_SQ_bEUlT_E_NS1_11comp_targetILNS1_3genE4ELNS1_11target_archE910ELNS1_3gpuE8ELNS1_3repE0EEENS1_30default_config_static_selectorELNS0_4arch9wavefront6targetE1EEEvT1_.kd
    .uniform_work_group_size: 1
    .uses_dynamic_stack: false
    .vgpr_count:     8
    .vgpr_spill_count: 0
    .wavefront_size: 64
  - .agpr_count:     0
    .args:
      - .offset:         0
        .size:           56
        .value_kind:     by_value
    .group_segment_fixed_size: 0
    .kernarg_segment_align: 8
    .kernarg_segment_size: 56
    .language:       OpenCL C
    .language_version:
      - 2
      - 0
    .max_flat_workgroup_size: 128
    .name:           _ZN7rocprim17ROCPRIM_400000_NS6detail17trampoline_kernelINS0_14default_configENS1_25transform_config_selectorIfLb0EEEZNS1_14transform_implILb0ES3_S5_NS0_18transform_iteratorINS0_17counting_iteratorImlEEZNS1_24adjacent_difference_implIS3_Lb1ELb0EPfN6thrust23THRUST_200600_302600_NS16discard_iteratorINSD_11use_defaultEEENSD_5minusIfEEEE10hipError_tPvRmT2_T3_mT4_P12ihipStream_tbEUlmE_fEESB_NS0_8identityIvEEEESJ_SM_SN_mSO_SQ_bEUlT_E_NS1_11comp_targetILNS1_3genE3ELNS1_11target_archE908ELNS1_3gpuE7ELNS1_3repE0EEENS1_30default_config_static_selectorELNS0_4arch9wavefront6targetE1EEEvT1_
    .private_segment_fixed_size: 0
    .sgpr_count:     4
    .sgpr_spill_count: 0
    .symbol:         _ZN7rocprim17ROCPRIM_400000_NS6detail17trampoline_kernelINS0_14default_configENS1_25transform_config_selectorIfLb0EEEZNS1_14transform_implILb0ES3_S5_NS0_18transform_iteratorINS0_17counting_iteratorImlEEZNS1_24adjacent_difference_implIS3_Lb1ELb0EPfN6thrust23THRUST_200600_302600_NS16discard_iteratorINSD_11use_defaultEEENSD_5minusIfEEEE10hipError_tPvRmT2_T3_mT4_P12ihipStream_tbEUlmE_fEESB_NS0_8identityIvEEEESJ_SM_SN_mSO_SQ_bEUlT_E_NS1_11comp_targetILNS1_3genE3ELNS1_11target_archE908ELNS1_3gpuE7ELNS1_3repE0EEENS1_30default_config_static_selectorELNS0_4arch9wavefront6targetE1EEEvT1_.kd
    .uniform_work_group_size: 1
    .uses_dynamic_stack: false
    .vgpr_count:     0
    .vgpr_spill_count: 0
    .wavefront_size: 64
  - .agpr_count:     0
    .args:
      - .offset:         0
        .size:           56
        .value_kind:     by_value
    .group_segment_fixed_size: 0
    .kernarg_segment_align: 8
    .kernarg_segment_size: 56
    .language:       OpenCL C
    .language_version:
      - 2
      - 0
    .max_flat_workgroup_size: 1024
    .name:           _ZN7rocprim17ROCPRIM_400000_NS6detail17trampoline_kernelINS0_14default_configENS1_25transform_config_selectorIfLb0EEEZNS1_14transform_implILb0ES3_S5_NS0_18transform_iteratorINS0_17counting_iteratorImlEEZNS1_24adjacent_difference_implIS3_Lb1ELb0EPfN6thrust23THRUST_200600_302600_NS16discard_iteratorINSD_11use_defaultEEENSD_5minusIfEEEE10hipError_tPvRmT2_T3_mT4_P12ihipStream_tbEUlmE_fEESB_NS0_8identityIvEEEESJ_SM_SN_mSO_SQ_bEUlT_E_NS1_11comp_targetILNS1_3genE2ELNS1_11target_archE906ELNS1_3gpuE6ELNS1_3repE0EEENS1_30default_config_static_selectorELNS0_4arch9wavefront6targetE1EEEvT1_
    .private_segment_fixed_size: 0
    .sgpr_count:     4
    .sgpr_spill_count: 0
    .symbol:         _ZN7rocprim17ROCPRIM_400000_NS6detail17trampoline_kernelINS0_14default_configENS1_25transform_config_selectorIfLb0EEEZNS1_14transform_implILb0ES3_S5_NS0_18transform_iteratorINS0_17counting_iteratorImlEEZNS1_24adjacent_difference_implIS3_Lb1ELb0EPfN6thrust23THRUST_200600_302600_NS16discard_iteratorINSD_11use_defaultEEENSD_5minusIfEEEE10hipError_tPvRmT2_T3_mT4_P12ihipStream_tbEUlmE_fEESB_NS0_8identityIvEEEESJ_SM_SN_mSO_SQ_bEUlT_E_NS1_11comp_targetILNS1_3genE2ELNS1_11target_archE906ELNS1_3gpuE6ELNS1_3repE0EEENS1_30default_config_static_selectorELNS0_4arch9wavefront6targetE1EEEvT1_.kd
    .uniform_work_group_size: 1
    .uses_dynamic_stack: false
    .vgpr_count:     0
    .vgpr_spill_count: 0
    .wavefront_size: 64
  - .agpr_count:     0
    .args:
      - .offset:         0
        .size:           56
        .value_kind:     by_value
    .group_segment_fixed_size: 0
    .kernarg_segment_align: 8
    .kernarg_segment_size: 56
    .language:       OpenCL C
    .language_version:
      - 2
      - 0
    .max_flat_workgroup_size: 512
    .name:           _ZN7rocprim17ROCPRIM_400000_NS6detail17trampoline_kernelINS0_14default_configENS1_25transform_config_selectorIfLb0EEEZNS1_14transform_implILb0ES3_S5_NS0_18transform_iteratorINS0_17counting_iteratorImlEEZNS1_24adjacent_difference_implIS3_Lb1ELb0EPfN6thrust23THRUST_200600_302600_NS16discard_iteratorINSD_11use_defaultEEENSD_5minusIfEEEE10hipError_tPvRmT2_T3_mT4_P12ihipStream_tbEUlmE_fEESB_NS0_8identityIvEEEESJ_SM_SN_mSO_SQ_bEUlT_E_NS1_11comp_targetILNS1_3genE10ELNS1_11target_archE1201ELNS1_3gpuE5ELNS1_3repE0EEENS1_30default_config_static_selectorELNS0_4arch9wavefront6targetE1EEEvT1_
    .private_segment_fixed_size: 0
    .sgpr_count:     4
    .sgpr_spill_count: 0
    .symbol:         _ZN7rocprim17ROCPRIM_400000_NS6detail17trampoline_kernelINS0_14default_configENS1_25transform_config_selectorIfLb0EEEZNS1_14transform_implILb0ES3_S5_NS0_18transform_iteratorINS0_17counting_iteratorImlEEZNS1_24adjacent_difference_implIS3_Lb1ELb0EPfN6thrust23THRUST_200600_302600_NS16discard_iteratorINSD_11use_defaultEEENSD_5minusIfEEEE10hipError_tPvRmT2_T3_mT4_P12ihipStream_tbEUlmE_fEESB_NS0_8identityIvEEEESJ_SM_SN_mSO_SQ_bEUlT_E_NS1_11comp_targetILNS1_3genE10ELNS1_11target_archE1201ELNS1_3gpuE5ELNS1_3repE0EEENS1_30default_config_static_selectorELNS0_4arch9wavefront6targetE1EEEvT1_.kd
    .uniform_work_group_size: 1
    .uses_dynamic_stack: false
    .vgpr_count:     0
    .vgpr_spill_count: 0
    .wavefront_size: 64
  - .agpr_count:     0
    .args:
      - .offset:         0
        .size:           56
        .value_kind:     by_value
    .group_segment_fixed_size: 0
    .kernarg_segment_align: 8
    .kernarg_segment_size: 56
    .language:       OpenCL C
    .language_version:
      - 2
      - 0
    .max_flat_workgroup_size: 512
    .name:           _ZN7rocprim17ROCPRIM_400000_NS6detail17trampoline_kernelINS0_14default_configENS1_25transform_config_selectorIfLb0EEEZNS1_14transform_implILb0ES3_S5_NS0_18transform_iteratorINS0_17counting_iteratorImlEEZNS1_24adjacent_difference_implIS3_Lb1ELb0EPfN6thrust23THRUST_200600_302600_NS16discard_iteratorINSD_11use_defaultEEENSD_5minusIfEEEE10hipError_tPvRmT2_T3_mT4_P12ihipStream_tbEUlmE_fEESB_NS0_8identityIvEEEESJ_SM_SN_mSO_SQ_bEUlT_E_NS1_11comp_targetILNS1_3genE10ELNS1_11target_archE1200ELNS1_3gpuE4ELNS1_3repE0EEENS1_30default_config_static_selectorELNS0_4arch9wavefront6targetE1EEEvT1_
    .private_segment_fixed_size: 0
    .sgpr_count:     4
    .sgpr_spill_count: 0
    .symbol:         _ZN7rocprim17ROCPRIM_400000_NS6detail17trampoline_kernelINS0_14default_configENS1_25transform_config_selectorIfLb0EEEZNS1_14transform_implILb0ES3_S5_NS0_18transform_iteratorINS0_17counting_iteratorImlEEZNS1_24adjacent_difference_implIS3_Lb1ELb0EPfN6thrust23THRUST_200600_302600_NS16discard_iteratorINSD_11use_defaultEEENSD_5minusIfEEEE10hipError_tPvRmT2_T3_mT4_P12ihipStream_tbEUlmE_fEESB_NS0_8identityIvEEEESJ_SM_SN_mSO_SQ_bEUlT_E_NS1_11comp_targetILNS1_3genE10ELNS1_11target_archE1200ELNS1_3gpuE4ELNS1_3repE0EEENS1_30default_config_static_selectorELNS0_4arch9wavefront6targetE1EEEvT1_.kd
    .uniform_work_group_size: 1
    .uses_dynamic_stack: false
    .vgpr_count:     0
    .vgpr_spill_count: 0
    .wavefront_size: 64
  - .agpr_count:     0
    .args:
      - .offset:         0
        .size:           56
        .value_kind:     by_value
    .group_segment_fixed_size: 0
    .kernarg_segment_align: 8
    .kernarg_segment_size: 56
    .language:       OpenCL C
    .language_version:
      - 2
      - 0
    .max_flat_workgroup_size: 1024
    .name:           _ZN7rocprim17ROCPRIM_400000_NS6detail17trampoline_kernelINS0_14default_configENS1_25transform_config_selectorIfLb0EEEZNS1_14transform_implILb0ES3_S5_NS0_18transform_iteratorINS0_17counting_iteratorImlEEZNS1_24adjacent_difference_implIS3_Lb1ELb0EPfN6thrust23THRUST_200600_302600_NS16discard_iteratorINSD_11use_defaultEEENSD_5minusIfEEEE10hipError_tPvRmT2_T3_mT4_P12ihipStream_tbEUlmE_fEESB_NS0_8identityIvEEEESJ_SM_SN_mSO_SQ_bEUlT_E_NS1_11comp_targetILNS1_3genE9ELNS1_11target_archE1100ELNS1_3gpuE3ELNS1_3repE0EEENS1_30default_config_static_selectorELNS0_4arch9wavefront6targetE1EEEvT1_
    .private_segment_fixed_size: 0
    .sgpr_count:     4
    .sgpr_spill_count: 0
    .symbol:         _ZN7rocprim17ROCPRIM_400000_NS6detail17trampoline_kernelINS0_14default_configENS1_25transform_config_selectorIfLb0EEEZNS1_14transform_implILb0ES3_S5_NS0_18transform_iteratorINS0_17counting_iteratorImlEEZNS1_24adjacent_difference_implIS3_Lb1ELb0EPfN6thrust23THRUST_200600_302600_NS16discard_iteratorINSD_11use_defaultEEENSD_5minusIfEEEE10hipError_tPvRmT2_T3_mT4_P12ihipStream_tbEUlmE_fEESB_NS0_8identityIvEEEESJ_SM_SN_mSO_SQ_bEUlT_E_NS1_11comp_targetILNS1_3genE9ELNS1_11target_archE1100ELNS1_3gpuE3ELNS1_3repE0EEENS1_30default_config_static_selectorELNS0_4arch9wavefront6targetE1EEEvT1_.kd
    .uniform_work_group_size: 1
    .uses_dynamic_stack: false
    .vgpr_count:     0
    .vgpr_spill_count: 0
    .wavefront_size: 64
  - .agpr_count:     0
    .args:
      - .offset:         0
        .size:           56
        .value_kind:     by_value
    .group_segment_fixed_size: 0
    .kernarg_segment_align: 8
    .kernarg_segment_size: 56
    .language:       OpenCL C
    .language_version:
      - 2
      - 0
    .max_flat_workgroup_size: 256
    .name:           _ZN7rocprim17ROCPRIM_400000_NS6detail17trampoline_kernelINS0_14default_configENS1_25transform_config_selectorIfLb0EEEZNS1_14transform_implILb0ES3_S5_NS0_18transform_iteratorINS0_17counting_iteratorImlEEZNS1_24adjacent_difference_implIS3_Lb1ELb0EPfN6thrust23THRUST_200600_302600_NS16discard_iteratorINSD_11use_defaultEEENSD_5minusIfEEEE10hipError_tPvRmT2_T3_mT4_P12ihipStream_tbEUlmE_fEESB_NS0_8identityIvEEEESJ_SM_SN_mSO_SQ_bEUlT_E_NS1_11comp_targetILNS1_3genE8ELNS1_11target_archE1030ELNS1_3gpuE2ELNS1_3repE0EEENS1_30default_config_static_selectorELNS0_4arch9wavefront6targetE1EEEvT1_
    .private_segment_fixed_size: 0
    .sgpr_count:     4
    .sgpr_spill_count: 0
    .symbol:         _ZN7rocprim17ROCPRIM_400000_NS6detail17trampoline_kernelINS0_14default_configENS1_25transform_config_selectorIfLb0EEEZNS1_14transform_implILb0ES3_S5_NS0_18transform_iteratorINS0_17counting_iteratorImlEEZNS1_24adjacent_difference_implIS3_Lb1ELb0EPfN6thrust23THRUST_200600_302600_NS16discard_iteratorINSD_11use_defaultEEENSD_5minusIfEEEE10hipError_tPvRmT2_T3_mT4_P12ihipStream_tbEUlmE_fEESB_NS0_8identityIvEEEESJ_SM_SN_mSO_SQ_bEUlT_E_NS1_11comp_targetILNS1_3genE8ELNS1_11target_archE1030ELNS1_3gpuE2ELNS1_3repE0EEENS1_30default_config_static_selectorELNS0_4arch9wavefront6targetE1EEEvT1_.kd
    .uniform_work_group_size: 1
    .uses_dynamic_stack: false
    .vgpr_count:     0
    .vgpr_spill_count: 0
    .wavefront_size: 64
  - .agpr_count:     0
    .args:
      - .offset:         0
        .size:           64
        .value_kind:     by_value
    .group_segment_fixed_size: 0
    .kernarg_segment_align: 8
    .kernarg_segment_size: 64
    .language:       OpenCL C
    .language_version:
      - 2
      - 0
    .max_flat_workgroup_size: 1024
    .name:           _ZN7rocprim17ROCPRIM_400000_NS6detail17trampoline_kernelINS0_14default_configENS1_35adjacent_difference_config_selectorILb1EfEEZNS1_24adjacent_difference_implIS3_Lb1ELb0EPfN6thrust23THRUST_200600_302600_NS16discard_iteratorINS9_11use_defaultEEENS9_5minusIfEEEE10hipError_tPvRmT2_T3_mT4_P12ihipStream_tbEUlT_E_NS1_11comp_targetILNS1_3genE0ELNS1_11target_archE4294967295ELNS1_3gpuE0ELNS1_3repE0EEENS1_30default_config_static_selectorELNS0_4arch9wavefront6targetE1EEEvT1_
    .private_segment_fixed_size: 0
    .sgpr_count:     4
    .sgpr_spill_count: 0
    .symbol:         _ZN7rocprim17ROCPRIM_400000_NS6detail17trampoline_kernelINS0_14default_configENS1_35adjacent_difference_config_selectorILb1EfEEZNS1_24adjacent_difference_implIS3_Lb1ELb0EPfN6thrust23THRUST_200600_302600_NS16discard_iteratorINS9_11use_defaultEEENS9_5minusIfEEEE10hipError_tPvRmT2_T3_mT4_P12ihipStream_tbEUlT_E_NS1_11comp_targetILNS1_3genE0ELNS1_11target_archE4294967295ELNS1_3gpuE0ELNS1_3repE0EEENS1_30default_config_static_selectorELNS0_4arch9wavefront6targetE1EEEvT1_.kd
    .uniform_work_group_size: 1
    .uses_dynamic_stack: false
    .vgpr_count:     0
    .vgpr_spill_count: 0
    .wavefront_size: 64
  - .agpr_count:     0
    .args:
      - .offset:         0
        .size:           64
        .value_kind:     by_value
    .group_segment_fixed_size: 0
    .kernarg_segment_align: 8
    .kernarg_segment_size: 64
    .language:       OpenCL C
    .language_version:
      - 2
      - 0
    .max_flat_workgroup_size: 128
    .name:           _ZN7rocprim17ROCPRIM_400000_NS6detail17trampoline_kernelINS0_14default_configENS1_35adjacent_difference_config_selectorILb1EfEEZNS1_24adjacent_difference_implIS3_Lb1ELb0EPfN6thrust23THRUST_200600_302600_NS16discard_iteratorINS9_11use_defaultEEENS9_5minusIfEEEE10hipError_tPvRmT2_T3_mT4_P12ihipStream_tbEUlT_E_NS1_11comp_targetILNS1_3genE10ELNS1_11target_archE1201ELNS1_3gpuE5ELNS1_3repE0EEENS1_30default_config_static_selectorELNS0_4arch9wavefront6targetE1EEEvT1_
    .private_segment_fixed_size: 0
    .sgpr_count:     4
    .sgpr_spill_count: 0
    .symbol:         _ZN7rocprim17ROCPRIM_400000_NS6detail17trampoline_kernelINS0_14default_configENS1_35adjacent_difference_config_selectorILb1EfEEZNS1_24adjacent_difference_implIS3_Lb1ELb0EPfN6thrust23THRUST_200600_302600_NS16discard_iteratorINS9_11use_defaultEEENS9_5minusIfEEEE10hipError_tPvRmT2_T3_mT4_P12ihipStream_tbEUlT_E_NS1_11comp_targetILNS1_3genE10ELNS1_11target_archE1201ELNS1_3gpuE5ELNS1_3repE0EEENS1_30default_config_static_selectorELNS0_4arch9wavefront6targetE1EEEvT1_.kd
    .uniform_work_group_size: 1
    .uses_dynamic_stack: false
    .vgpr_count:     0
    .vgpr_spill_count: 0
    .wavefront_size: 64
  - .agpr_count:     0
    .args:
      - .offset:         0
        .size:           64
        .value_kind:     by_value
    .group_segment_fixed_size: 0
    .kernarg_segment_align: 8
    .kernarg_segment_size: 64
    .language:       OpenCL C
    .language_version:
      - 2
      - 0
    .max_flat_workgroup_size: 256
    .name:           _ZN7rocprim17ROCPRIM_400000_NS6detail17trampoline_kernelINS0_14default_configENS1_35adjacent_difference_config_selectorILb1EfEEZNS1_24adjacent_difference_implIS3_Lb1ELb0EPfN6thrust23THRUST_200600_302600_NS16discard_iteratorINS9_11use_defaultEEENS9_5minusIfEEEE10hipError_tPvRmT2_T3_mT4_P12ihipStream_tbEUlT_E_NS1_11comp_targetILNS1_3genE5ELNS1_11target_archE942ELNS1_3gpuE9ELNS1_3repE0EEENS1_30default_config_static_selectorELNS0_4arch9wavefront6targetE1EEEvT1_
    .private_segment_fixed_size: 0
    .sgpr_count:     4
    .sgpr_spill_count: 0
    .symbol:         _ZN7rocprim17ROCPRIM_400000_NS6detail17trampoline_kernelINS0_14default_configENS1_35adjacent_difference_config_selectorILb1EfEEZNS1_24adjacent_difference_implIS3_Lb1ELb0EPfN6thrust23THRUST_200600_302600_NS16discard_iteratorINS9_11use_defaultEEENS9_5minusIfEEEE10hipError_tPvRmT2_T3_mT4_P12ihipStream_tbEUlT_E_NS1_11comp_targetILNS1_3genE5ELNS1_11target_archE942ELNS1_3gpuE9ELNS1_3repE0EEENS1_30default_config_static_selectorELNS0_4arch9wavefront6targetE1EEEvT1_.kd
    .uniform_work_group_size: 1
    .uses_dynamic_stack: false
    .vgpr_count:     0
    .vgpr_spill_count: 0
    .wavefront_size: 64
  - .agpr_count:     0
    .args:
      - .offset:         0
        .size:           64
        .value_kind:     by_value
    .group_segment_fixed_size: 10240
    .kernarg_segment_align: 8
    .kernarg_segment_size: 64
    .language:       OpenCL C
    .language_version:
      - 2
      - 0
    .max_flat_workgroup_size: 512
    .name:           _ZN7rocprim17ROCPRIM_400000_NS6detail17trampoline_kernelINS0_14default_configENS1_35adjacent_difference_config_selectorILb1EfEEZNS1_24adjacent_difference_implIS3_Lb1ELb0EPfN6thrust23THRUST_200600_302600_NS16discard_iteratorINS9_11use_defaultEEENS9_5minusIfEEEE10hipError_tPvRmT2_T3_mT4_P12ihipStream_tbEUlT_E_NS1_11comp_targetILNS1_3genE4ELNS1_11target_archE910ELNS1_3gpuE8ELNS1_3repE0EEENS1_30default_config_static_selectorELNS0_4arch9wavefront6targetE1EEEvT1_
    .private_segment_fixed_size: 0
    .sgpr_count:     25
    .sgpr_spill_count: 0
    .symbol:         _ZN7rocprim17ROCPRIM_400000_NS6detail17trampoline_kernelINS0_14default_configENS1_35adjacent_difference_config_selectorILb1EfEEZNS1_24adjacent_difference_implIS3_Lb1ELb0EPfN6thrust23THRUST_200600_302600_NS16discard_iteratorINS9_11use_defaultEEENS9_5minusIfEEEE10hipError_tPvRmT2_T3_mT4_P12ihipStream_tbEUlT_E_NS1_11comp_targetILNS1_3genE4ELNS1_11target_archE910ELNS1_3gpuE8ELNS1_3repE0EEENS1_30default_config_static_selectorELNS0_4arch9wavefront6targetE1EEEvT1_.kd
    .uniform_work_group_size: 1
    .uses_dynamic_stack: false
    .vgpr_count:     18
    .vgpr_spill_count: 0
    .wavefront_size: 64
  - .agpr_count:     0
    .args:
      - .offset:         0
        .size:           64
        .value_kind:     by_value
    .group_segment_fixed_size: 0
    .kernarg_segment_align: 8
    .kernarg_segment_size: 64
    .language:       OpenCL C
    .language_version:
      - 2
      - 0
    .max_flat_workgroup_size: 1024
    .name:           _ZN7rocprim17ROCPRIM_400000_NS6detail17trampoline_kernelINS0_14default_configENS1_35adjacent_difference_config_selectorILb1EfEEZNS1_24adjacent_difference_implIS3_Lb1ELb0EPfN6thrust23THRUST_200600_302600_NS16discard_iteratorINS9_11use_defaultEEENS9_5minusIfEEEE10hipError_tPvRmT2_T3_mT4_P12ihipStream_tbEUlT_E_NS1_11comp_targetILNS1_3genE3ELNS1_11target_archE908ELNS1_3gpuE7ELNS1_3repE0EEENS1_30default_config_static_selectorELNS0_4arch9wavefront6targetE1EEEvT1_
    .private_segment_fixed_size: 0
    .sgpr_count:     4
    .sgpr_spill_count: 0
    .symbol:         _ZN7rocprim17ROCPRIM_400000_NS6detail17trampoline_kernelINS0_14default_configENS1_35adjacent_difference_config_selectorILb1EfEEZNS1_24adjacent_difference_implIS3_Lb1ELb0EPfN6thrust23THRUST_200600_302600_NS16discard_iteratorINS9_11use_defaultEEENS9_5minusIfEEEE10hipError_tPvRmT2_T3_mT4_P12ihipStream_tbEUlT_E_NS1_11comp_targetILNS1_3genE3ELNS1_11target_archE908ELNS1_3gpuE7ELNS1_3repE0EEENS1_30default_config_static_selectorELNS0_4arch9wavefront6targetE1EEEvT1_.kd
    .uniform_work_group_size: 1
    .uses_dynamic_stack: false
    .vgpr_count:     0
    .vgpr_spill_count: 0
    .wavefront_size: 64
  - .agpr_count:     0
    .args:
      - .offset:         0
        .size:           64
        .value_kind:     by_value
    .group_segment_fixed_size: 0
    .kernarg_segment_align: 8
    .kernarg_segment_size: 64
    .language:       OpenCL C
    .language_version:
      - 2
      - 0
    .max_flat_workgroup_size: 256
    .name:           _ZN7rocprim17ROCPRIM_400000_NS6detail17trampoline_kernelINS0_14default_configENS1_35adjacent_difference_config_selectorILb1EfEEZNS1_24adjacent_difference_implIS3_Lb1ELb0EPfN6thrust23THRUST_200600_302600_NS16discard_iteratorINS9_11use_defaultEEENS9_5minusIfEEEE10hipError_tPvRmT2_T3_mT4_P12ihipStream_tbEUlT_E_NS1_11comp_targetILNS1_3genE2ELNS1_11target_archE906ELNS1_3gpuE6ELNS1_3repE0EEENS1_30default_config_static_selectorELNS0_4arch9wavefront6targetE1EEEvT1_
    .private_segment_fixed_size: 0
    .sgpr_count:     4
    .sgpr_spill_count: 0
    .symbol:         _ZN7rocprim17ROCPRIM_400000_NS6detail17trampoline_kernelINS0_14default_configENS1_35adjacent_difference_config_selectorILb1EfEEZNS1_24adjacent_difference_implIS3_Lb1ELb0EPfN6thrust23THRUST_200600_302600_NS16discard_iteratorINS9_11use_defaultEEENS9_5minusIfEEEE10hipError_tPvRmT2_T3_mT4_P12ihipStream_tbEUlT_E_NS1_11comp_targetILNS1_3genE2ELNS1_11target_archE906ELNS1_3gpuE6ELNS1_3repE0EEENS1_30default_config_static_selectorELNS0_4arch9wavefront6targetE1EEEvT1_.kd
    .uniform_work_group_size: 1
    .uses_dynamic_stack: false
    .vgpr_count:     0
    .vgpr_spill_count: 0
    .wavefront_size: 64
  - .agpr_count:     0
    .args:
      - .offset:         0
        .size:           64
        .value_kind:     by_value
    .group_segment_fixed_size: 0
    .kernarg_segment_align: 8
    .kernarg_segment_size: 64
    .language:       OpenCL C
    .language_version:
      - 2
      - 0
    .max_flat_workgroup_size: 128
    .name:           _ZN7rocprim17ROCPRIM_400000_NS6detail17trampoline_kernelINS0_14default_configENS1_35adjacent_difference_config_selectorILb1EfEEZNS1_24adjacent_difference_implIS3_Lb1ELb0EPfN6thrust23THRUST_200600_302600_NS16discard_iteratorINS9_11use_defaultEEENS9_5minusIfEEEE10hipError_tPvRmT2_T3_mT4_P12ihipStream_tbEUlT_E_NS1_11comp_targetILNS1_3genE9ELNS1_11target_archE1100ELNS1_3gpuE3ELNS1_3repE0EEENS1_30default_config_static_selectorELNS0_4arch9wavefront6targetE1EEEvT1_
    .private_segment_fixed_size: 0
    .sgpr_count:     4
    .sgpr_spill_count: 0
    .symbol:         _ZN7rocprim17ROCPRIM_400000_NS6detail17trampoline_kernelINS0_14default_configENS1_35adjacent_difference_config_selectorILb1EfEEZNS1_24adjacent_difference_implIS3_Lb1ELb0EPfN6thrust23THRUST_200600_302600_NS16discard_iteratorINS9_11use_defaultEEENS9_5minusIfEEEE10hipError_tPvRmT2_T3_mT4_P12ihipStream_tbEUlT_E_NS1_11comp_targetILNS1_3genE9ELNS1_11target_archE1100ELNS1_3gpuE3ELNS1_3repE0EEENS1_30default_config_static_selectorELNS0_4arch9wavefront6targetE1EEEvT1_.kd
    .uniform_work_group_size: 1
    .uses_dynamic_stack: false
    .vgpr_count:     0
    .vgpr_spill_count: 0
    .wavefront_size: 64
  - .agpr_count:     0
    .args:
      - .offset:         0
        .size:           64
        .value_kind:     by_value
    .group_segment_fixed_size: 0
    .kernarg_segment_align: 8
    .kernarg_segment_size: 64
    .language:       OpenCL C
    .language_version:
      - 2
      - 0
    .max_flat_workgroup_size: 32
    .name:           _ZN7rocprim17ROCPRIM_400000_NS6detail17trampoline_kernelINS0_14default_configENS1_35adjacent_difference_config_selectorILb1EfEEZNS1_24adjacent_difference_implIS3_Lb1ELb0EPfN6thrust23THRUST_200600_302600_NS16discard_iteratorINS9_11use_defaultEEENS9_5minusIfEEEE10hipError_tPvRmT2_T3_mT4_P12ihipStream_tbEUlT_E_NS1_11comp_targetILNS1_3genE8ELNS1_11target_archE1030ELNS1_3gpuE2ELNS1_3repE0EEENS1_30default_config_static_selectorELNS0_4arch9wavefront6targetE1EEEvT1_
    .private_segment_fixed_size: 0
    .sgpr_count:     4
    .sgpr_spill_count: 0
    .symbol:         _ZN7rocprim17ROCPRIM_400000_NS6detail17trampoline_kernelINS0_14default_configENS1_35adjacent_difference_config_selectorILb1EfEEZNS1_24adjacent_difference_implIS3_Lb1ELb0EPfN6thrust23THRUST_200600_302600_NS16discard_iteratorINS9_11use_defaultEEENS9_5minusIfEEEE10hipError_tPvRmT2_T3_mT4_P12ihipStream_tbEUlT_E_NS1_11comp_targetILNS1_3genE8ELNS1_11target_archE1030ELNS1_3gpuE2ELNS1_3repE0EEENS1_30default_config_static_selectorELNS0_4arch9wavefront6targetE1EEEvT1_.kd
    .uniform_work_group_size: 1
    .uses_dynamic_stack: false
    .vgpr_count:     0
    .vgpr_spill_count: 0
    .wavefront_size: 64
  - .agpr_count:     0
    .args:
      - .offset:         0
        .size:           56
        .value_kind:     by_value
    .group_segment_fixed_size: 0
    .kernarg_segment_align: 8
    .kernarg_segment_size: 56
    .language:       OpenCL C
    .language_version:
      - 2
      - 0
    .max_flat_workgroup_size: 128
    .name:           _ZN7rocprim17ROCPRIM_400000_NS6detail17trampoline_kernelINS0_14default_configENS1_25transform_config_selectorIdLb0EEEZNS1_14transform_implILb0ES3_S5_NS0_18transform_iteratorINS0_17counting_iteratorImlEEZNS1_24adjacent_difference_implIS3_Lb1ELb0EPdN6thrust23THRUST_200600_302600_NS16discard_iteratorINSD_11use_defaultEEENSD_5minusIdEEEE10hipError_tPvRmT2_T3_mT4_P12ihipStream_tbEUlmE_dEESB_NS0_8identityIvEEEESJ_SM_SN_mSO_SQ_bEUlT_E_NS1_11comp_targetILNS1_3genE0ELNS1_11target_archE4294967295ELNS1_3gpuE0ELNS1_3repE0EEENS1_30default_config_static_selectorELNS0_4arch9wavefront6targetE1EEEvT1_
    .private_segment_fixed_size: 0
    .sgpr_count:     4
    .sgpr_spill_count: 0
    .symbol:         _ZN7rocprim17ROCPRIM_400000_NS6detail17trampoline_kernelINS0_14default_configENS1_25transform_config_selectorIdLb0EEEZNS1_14transform_implILb0ES3_S5_NS0_18transform_iteratorINS0_17counting_iteratorImlEEZNS1_24adjacent_difference_implIS3_Lb1ELb0EPdN6thrust23THRUST_200600_302600_NS16discard_iteratorINSD_11use_defaultEEENSD_5minusIdEEEE10hipError_tPvRmT2_T3_mT4_P12ihipStream_tbEUlmE_dEESB_NS0_8identityIvEEEESJ_SM_SN_mSO_SQ_bEUlT_E_NS1_11comp_targetILNS1_3genE0ELNS1_11target_archE4294967295ELNS1_3gpuE0ELNS1_3repE0EEENS1_30default_config_static_selectorELNS0_4arch9wavefront6targetE1EEEvT1_.kd
    .uniform_work_group_size: 1
    .uses_dynamic_stack: false
    .vgpr_count:     0
    .vgpr_spill_count: 0
    .wavefront_size: 64
  - .agpr_count:     0
    .args:
      - .offset:         0
        .size:           56
        .value_kind:     by_value
    .group_segment_fixed_size: 0
    .kernarg_segment_align: 8
    .kernarg_segment_size: 56
    .language:       OpenCL C
    .language_version:
      - 2
      - 0
    .max_flat_workgroup_size: 512
    .name:           _ZN7rocprim17ROCPRIM_400000_NS6detail17trampoline_kernelINS0_14default_configENS1_25transform_config_selectorIdLb0EEEZNS1_14transform_implILb0ES3_S5_NS0_18transform_iteratorINS0_17counting_iteratorImlEEZNS1_24adjacent_difference_implIS3_Lb1ELb0EPdN6thrust23THRUST_200600_302600_NS16discard_iteratorINSD_11use_defaultEEENSD_5minusIdEEEE10hipError_tPvRmT2_T3_mT4_P12ihipStream_tbEUlmE_dEESB_NS0_8identityIvEEEESJ_SM_SN_mSO_SQ_bEUlT_E_NS1_11comp_targetILNS1_3genE5ELNS1_11target_archE942ELNS1_3gpuE9ELNS1_3repE0EEENS1_30default_config_static_selectorELNS0_4arch9wavefront6targetE1EEEvT1_
    .private_segment_fixed_size: 0
    .sgpr_count:     4
    .sgpr_spill_count: 0
    .symbol:         _ZN7rocprim17ROCPRIM_400000_NS6detail17trampoline_kernelINS0_14default_configENS1_25transform_config_selectorIdLb0EEEZNS1_14transform_implILb0ES3_S5_NS0_18transform_iteratorINS0_17counting_iteratorImlEEZNS1_24adjacent_difference_implIS3_Lb1ELb0EPdN6thrust23THRUST_200600_302600_NS16discard_iteratorINSD_11use_defaultEEENSD_5minusIdEEEE10hipError_tPvRmT2_T3_mT4_P12ihipStream_tbEUlmE_dEESB_NS0_8identityIvEEEESJ_SM_SN_mSO_SQ_bEUlT_E_NS1_11comp_targetILNS1_3genE5ELNS1_11target_archE942ELNS1_3gpuE9ELNS1_3repE0EEENS1_30default_config_static_selectorELNS0_4arch9wavefront6targetE1EEEvT1_.kd
    .uniform_work_group_size: 1
    .uses_dynamic_stack: false
    .vgpr_count:     0
    .vgpr_spill_count: 0
    .wavefront_size: 64
  - .agpr_count:     0
    .args:
      - .offset:         0
        .size:           56
        .value_kind:     by_value
      - .offset:         56
        .size:           4
        .value_kind:     hidden_block_count_x
      - .offset:         60
        .size:           4
        .value_kind:     hidden_block_count_y
      - .offset:         64
        .size:           4
        .value_kind:     hidden_block_count_z
      - .offset:         68
        .size:           2
        .value_kind:     hidden_group_size_x
      - .offset:         70
        .size:           2
        .value_kind:     hidden_group_size_y
      - .offset:         72
        .size:           2
        .value_kind:     hidden_group_size_z
      - .offset:         74
        .size:           2
        .value_kind:     hidden_remainder_x
      - .offset:         76
        .size:           2
        .value_kind:     hidden_remainder_y
      - .offset:         78
        .size:           2
        .value_kind:     hidden_remainder_z
      - .offset:         96
        .size:           8
        .value_kind:     hidden_global_offset_x
      - .offset:         104
        .size:           8
        .value_kind:     hidden_global_offset_y
      - .offset:         112
        .size:           8
        .value_kind:     hidden_global_offset_z
      - .offset:         120
        .size:           2
        .value_kind:     hidden_grid_dims
    .group_segment_fixed_size: 0
    .kernarg_segment_align: 8
    .kernarg_segment_size: 312
    .language:       OpenCL C
    .language_version:
      - 2
      - 0
    .max_flat_workgroup_size: 256
    .name:           _ZN7rocprim17ROCPRIM_400000_NS6detail17trampoline_kernelINS0_14default_configENS1_25transform_config_selectorIdLb0EEEZNS1_14transform_implILb0ES3_S5_NS0_18transform_iteratorINS0_17counting_iteratorImlEEZNS1_24adjacent_difference_implIS3_Lb1ELb0EPdN6thrust23THRUST_200600_302600_NS16discard_iteratorINSD_11use_defaultEEENSD_5minusIdEEEE10hipError_tPvRmT2_T3_mT4_P12ihipStream_tbEUlmE_dEESB_NS0_8identityIvEEEESJ_SM_SN_mSO_SQ_bEUlT_E_NS1_11comp_targetILNS1_3genE4ELNS1_11target_archE910ELNS1_3gpuE8ELNS1_3repE0EEENS1_30default_config_static_selectorELNS0_4arch9wavefront6targetE1EEEvT1_
    .private_segment_fixed_size: 0
    .sgpr_count:     22
    .sgpr_spill_count: 0
    .symbol:         _ZN7rocprim17ROCPRIM_400000_NS6detail17trampoline_kernelINS0_14default_configENS1_25transform_config_selectorIdLb0EEEZNS1_14transform_implILb0ES3_S5_NS0_18transform_iteratorINS0_17counting_iteratorImlEEZNS1_24adjacent_difference_implIS3_Lb1ELb0EPdN6thrust23THRUST_200600_302600_NS16discard_iteratorINSD_11use_defaultEEENSD_5minusIdEEEE10hipError_tPvRmT2_T3_mT4_P12ihipStream_tbEUlmE_dEESB_NS0_8identityIvEEEESJ_SM_SN_mSO_SQ_bEUlT_E_NS1_11comp_targetILNS1_3genE4ELNS1_11target_archE910ELNS1_3gpuE8ELNS1_3repE0EEENS1_30default_config_static_selectorELNS0_4arch9wavefront6targetE1EEEvT1_.kd
    .uniform_work_group_size: 1
    .uses_dynamic_stack: false
    .vgpr_count:     10
    .vgpr_spill_count: 0
    .wavefront_size: 64
  - .agpr_count:     0
    .args:
      - .offset:         0
        .size:           56
        .value_kind:     by_value
    .group_segment_fixed_size: 0
    .kernarg_segment_align: 8
    .kernarg_segment_size: 56
    .language:       OpenCL C
    .language_version:
      - 2
      - 0
    .max_flat_workgroup_size: 128
    .name:           _ZN7rocprim17ROCPRIM_400000_NS6detail17trampoline_kernelINS0_14default_configENS1_25transform_config_selectorIdLb0EEEZNS1_14transform_implILb0ES3_S5_NS0_18transform_iteratorINS0_17counting_iteratorImlEEZNS1_24adjacent_difference_implIS3_Lb1ELb0EPdN6thrust23THRUST_200600_302600_NS16discard_iteratorINSD_11use_defaultEEENSD_5minusIdEEEE10hipError_tPvRmT2_T3_mT4_P12ihipStream_tbEUlmE_dEESB_NS0_8identityIvEEEESJ_SM_SN_mSO_SQ_bEUlT_E_NS1_11comp_targetILNS1_3genE3ELNS1_11target_archE908ELNS1_3gpuE7ELNS1_3repE0EEENS1_30default_config_static_selectorELNS0_4arch9wavefront6targetE1EEEvT1_
    .private_segment_fixed_size: 0
    .sgpr_count:     4
    .sgpr_spill_count: 0
    .symbol:         _ZN7rocprim17ROCPRIM_400000_NS6detail17trampoline_kernelINS0_14default_configENS1_25transform_config_selectorIdLb0EEEZNS1_14transform_implILb0ES3_S5_NS0_18transform_iteratorINS0_17counting_iteratorImlEEZNS1_24adjacent_difference_implIS3_Lb1ELb0EPdN6thrust23THRUST_200600_302600_NS16discard_iteratorINSD_11use_defaultEEENSD_5minusIdEEEE10hipError_tPvRmT2_T3_mT4_P12ihipStream_tbEUlmE_dEESB_NS0_8identityIvEEEESJ_SM_SN_mSO_SQ_bEUlT_E_NS1_11comp_targetILNS1_3genE3ELNS1_11target_archE908ELNS1_3gpuE7ELNS1_3repE0EEENS1_30default_config_static_selectorELNS0_4arch9wavefront6targetE1EEEvT1_.kd
    .uniform_work_group_size: 1
    .uses_dynamic_stack: false
    .vgpr_count:     0
    .vgpr_spill_count: 0
    .wavefront_size: 64
  - .agpr_count:     0
    .args:
      - .offset:         0
        .size:           56
        .value_kind:     by_value
    .group_segment_fixed_size: 0
    .kernarg_segment_align: 8
    .kernarg_segment_size: 56
    .language:       OpenCL C
    .language_version:
      - 2
      - 0
    .max_flat_workgroup_size: 1024
    .name:           _ZN7rocprim17ROCPRIM_400000_NS6detail17trampoline_kernelINS0_14default_configENS1_25transform_config_selectorIdLb0EEEZNS1_14transform_implILb0ES3_S5_NS0_18transform_iteratorINS0_17counting_iteratorImlEEZNS1_24adjacent_difference_implIS3_Lb1ELb0EPdN6thrust23THRUST_200600_302600_NS16discard_iteratorINSD_11use_defaultEEENSD_5minusIdEEEE10hipError_tPvRmT2_T3_mT4_P12ihipStream_tbEUlmE_dEESB_NS0_8identityIvEEEESJ_SM_SN_mSO_SQ_bEUlT_E_NS1_11comp_targetILNS1_3genE2ELNS1_11target_archE906ELNS1_3gpuE6ELNS1_3repE0EEENS1_30default_config_static_selectorELNS0_4arch9wavefront6targetE1EEEvT1_
    .private_segment_fixed_size: 0
    .sgpr_count:     4
    .sgpr_spill_count: 0
    .symbol:         _ZN7rocprim17ROCPRIM_400000_NS6detail17trampoline_kernelINS0_14default_configENS1_25transform_config_selectorIdLb0EEEZNS1_14transform_implILb0ES3_S5_NS0_18transform_iteratorINS0_17counting_iteratorImlEEZNS1_24adjacent_difference_implIS3_Lb1ELb0EPdN6thrust23THRUST_200600_302600_NS16discard_iteratorINSD_11use_defaultEEENSD_5minusIdEEEE10hipError_tPvRmT2_T3_mT4_P12ihipStream_tbEUlmE_dEESB_NS0_8identityIvEEEESJ_SM_SN_mSO_SQ_bEUlT_E_NS1_11comp_targetILNS1_3genE2ELNS1_11target_archE906ELNS1_3gpuE6ELNS1_3repE0EEENS1_30default_config_static_selectorELNS0_4arch9wavefront6targetE1EEEvT1_.kd
    .uniform_work_group_size: 1
    .uses_dynamic_stack: false
    .vgpr_count:     0
    .vgpr_spill_count: 0
    .wavefront_size: 64
  - .agpr_count:     0
    .args:
      - .offset:         0
        .size:           56
        .value_kind:     by_value
    .group_segment_fixed_size: 0
    .kernarg_segment_align: 8
    .kernarg_segment_size: 56
    .language:       OpenCL C
    .language_version:
      - 2
      - 0
    .max_flat_workgroup_size: 64
    .name:           _ZN7rocprim17ROCPRIM_400000_NS6detail17trampoline_kernelINS0_14default_configENS1_25transform_config_selectorIdLb0EEEZNS1_14transform_implILb0ES3_S5_NS0_18transform_iteratorINS0_17counting_iteratorImlEEZNS1_24adjacent_difference_implIS3_Lb1ELb0EPdN6thrust23THRUST_200600_302600_NS16discard_iteratorINSD_11use_defaultEEENSD_5minusIdEEEE10hipError_tPvRmT2_T3_mT4_P12ihipStream_tbEUlmE_dEESB_NS0_8identityIvEEEESJ_SM_SN_mSO_SQ_bEUlT_E_NS1_11comp_targetILNS1_3genE10ELNS1_11target_archE1201ELNS1_3gpuE5ELNS1_3repE0EEENS1_30default_config_static_selectorELNS0_4arch9wavefront6targetE1EEEvT1_
    .private_segment_fixed_size: 0
    .sgpr_count:     4
    .sgpr_spill_count: 0
    .symbol:         _ZN7rocprim17ROCPRIM_400000_NS6detail17trampoline_kernelINS0_14default_configENS1_25transform_config_selectorIdLb0EEEZNS1_14transform_implILb0ES3_S5_NS0_18transform_iteratorINS0_17counting_iteratorImlEEZNS1_24adjacent_difference_implIS3_Lb1ELb0EPdN6thrust23THRUST_200600_302600_NS16discard_iteratorINSD_11use_defaultEEENSD_5minusIdEEEE10hipError_tPvRmT2_T3_mT4_P12ihipStream_tbEUlmE_dEESB_NS0_8identityIvEEEESJ_SM_SN_mSO_SQ_bEUlT_E_NS1_11comp_targetILNS1_3genE10ELNS1_11target_archE1201ELNS1_3gpuE5ELNS1_3repE0EEENS1_30default_config_static_selectorELNS0_4arch9wavefront6targetE1EEEvT1_.kd
    .uniform_work_group_size: 1
    .uses_dynamic_stack: false
    .vgpr_count:     0
    .vgpr_spill_count: 0
    .wavefront_size: 64
  - .agpr_count:     0
    .args:
      - .offset:         0
        .size:           56
        .value_kind:     by_value
    .group_segment_fixed_size: 0
    .kernarg_segment_align: 8
    .kernarg_segment_size: 56
    .language:       OpenCL C
    .language_version:
      - 2
      - 0
    .max_flat_workgroup_size: 512
    .name:           _ZN7rocprim17ROCPRIM_400000_NS6detail17trampoline_kernelINS0_14default_configENS1_25transform_config_selectorIdLb0EEEZNS1_14transform_implILb0ES3_S5_NS0_18transform_iteratorINS0_17counting_iteratorImlEEZNS1_24adjacent_difference_implIS3_Lb1ELb0EPdN6thrust23THRUST_200600_302600_NS16discard_iteratorINSD_11use_defaultEEENSD_5minusIdEEEE10hipError_tPvRmT2_T3_mT4_P12ihipStream_tbEUlmE_dEESB_NS0_8identityIvEEEESJ_SM_SN_mSO_SQ_bEUlT_E_NS1_11comp_targetILNS1_3genE10ELNS1_11target_archE1200ELNS1_3gpuE4ELNS1_3repE0EEENS1_30default_config_static_selectorELNS0_4arch9wavefront6targetE1EEEvT1_
    .private_segment_fixed_size: 0
    .sgpr_count:     4
    .sgpr_spill_count: 0
    .symbol:         _ZN7rocprim17ROCPRIM_400000_NS6detail17trampoline_kernelINS0_14default_configENS1_25transform_config_selectorIdLb0EEEZNS1_14transform_implILb0ES3_S5_NS0_18transform_iteratorINS0_17counting_iteratorImlEEZNS1_24adjacent_difference_implIS3_Lb1ELb0EPdN6thrust23THRUST_200600_302600_NS16discard_iteratorINSD_11use_defaultEEENSD_5minusIdEEEE10hipError_tPvRmT2_T3_mT4_P12ihipStream_tbEUlmE_dEESB_NS0_8identityIvEEEESJ_SM_SN_mSO_SQ_bEUlT_E_NS1_11comp_targetILNS1_3genE10ELNS1_11target_archE1200ELNS1_3gpuE4ELNS1_3repE0EEENS1_30default_config_static_selectorELNS0_4arch9wavefront6targetE1EEEvT1_.kd
    .uniform_work_group_size: 1
    .uses_dynamic_stack: false
    .vgpr_count:     0
    .vgpr_spill_count: 0
    .wavefront_size: 64
  - .agpr_count:     0
    .args:
      - .offset:         0
        .size:           56
        .value_kind:     by_value
    .group_segment_fixed_size: 0
    .kernarg_segment_align: 8
    .kernarg_segment_size: 56
    .language:       OpenCL C
    .language_version:
      - 2
      - 0
    .max_flat_workgroup_size: 512
    .name:           _ZN7rocprim17ROCPRIM_400000_NS6detail17trampoline_kernelINS0_14default_configENS1_25transform_config_selectorIdLb0EEEZNS1_14transform_implILb0ES3_S5_NS0_18transform_iteratorINS0_17counting_iteratorImlEEZNS1_24adjacent_difference_implIS3_Lb1ELb0EPdN6thrust23THRUST_200600_302600_NS16discard_iteratorINSD_11use_defaultEEENSD_5minusIdEEEE10hipError_tPvRmT2_T3_mT4_P12ihipStream_tbEUlmE_dEESB_NS0_8identityIvEEEESJ_SM_SN_mSO_SQ_bEUlT_E_NS1_11comp_targetILNS1_3genE9ELNS1_11target_archE1100ELNS1_3gpuE3ELNS1_3repE0EEENS1_30default_config_static_selectorELNS0_4arch9wavefront6targetE1EEEvT1_
    .private_segment_fixed_size: 0
    .sgpr_count:     4
    .sgpr_spill_count: 0
    .symbol:         _ZN7rocprim17ROCPRIM_400000_NS6detail17trampoline_kernelINS0_14default_configENS1_25transform_config_selectorIdLb0EEEZNS1_14transform_implILb0ES3_S5_NS0_18transform_iteratorINS0_17counting_iteratorImlEEZNS1_24adjacent_difference_implIS3_Lb1ELb0EPdN6thrust23THRUST_200600_302600_NS16discard_iteratorINSD_11use_defaultEEENSD_5minusIdEEEE10hipError_tPvRmT2_T3_mT4_P12ihipStream_tbEUlmE_dEESB_NS0_8identityIvEEEESJ_SM_SN_mSO_SQ_bEUlT_E_NS1_11comp_targetILNS1_3genE9ELNS1_11target_archE1100ELNS1_3gpuE3ELNS1_3repE0EEENS1_30default_config_static_selectorELNS0_4arch9wavefront6targetE1EEEvT1_.kd
    .uniform_work_group_size: 1
    .uses_dynamic_stack: false
    .vgpr_count:     0
    .vgpr_spill_count: 0
    .wavefront_size: 64
  - .agpr_count:     0
    .args:
      - .offset:         0
        .size:           56
        .value_kind:     by_value
    .group_segment_fixed_size: 0
    .kernarg_segment_align: 8
    .kernarg_segment_size: 56
    .language:       OpenCL C
    .language_version:
      - 2
      - 0
    .max_flat_workgroup_size: 512
    .name:           _ZN7rocprim17ROCPRIM_400000_NS6detail17trampoline_kernelINS0_14default_configENS1_25transform_config_selectorIdLb0EEEZNS1_14transform_implILb0ES3_S5_NS0_18transform_iteratorINS0_17counting_iteratorImlEEZNS1_24adjacent_difference_implIS3_Lb1ELb0EPdN6thrust23THRUST_200600_302600_NS16discard_iteratorINSD_11use_defaultEEENSD_5minusIdEEEE10hipError_tPvRmT2_T3_mT4_P12ihipStream_tbEUlmE_dEESB_NS0_8identityIvEEEESJ_SM_SN_mSO_SQ_bEUlT_E_NS1_11comp_targetILNS1_3genE8ELNS1_11target_archE1030ELNS1_3gpuE2ELNS1_3repE0EEENS1_30default_config_static_selectorELNS0_4arch9wavefront6targetE1EEEvT1_
    .private_segment_fixed_size: 0
    .sgpr_count:     4
    .sgpr_spill_count: 0
    .symbol:         _ZN7rocprim17ROCPRIM_400000_NS6detail17trampoline_kernelINS0_14default_configENS1_25transform_config_selectorIdLb0EEEZNS1_14transform_implILb0ES3_S5_NS0_18transform_iteratorINS0_17counting_iteratorImlEEZNS1_24adjacent_difference_implIS3_Lb1ELb0EPdN6thrust23THRUST_200600_302600_NS16discard_iteratorINSD_11use_defaultEEENSD_5minusIdEEEE10hipError_tPvRmT2_T3_mT4_P12ihipStream_tbEUlmE_dEESB_NS0_8identityIvEEEESJ_SM_SN_mSO_SQ_bEUlT_E_NS1_11comp_targetILNS1_3genE8ELNS1_11target_archE1030ELNS1_3gpuE2ELNS1_3repE0EEENS1_30default_config_static_selectorELNS0_4arch9wavefront6targetE1EEEvT1_.kd
    .uniform_work_group_size: 1
    .uses_dynamic_stack: false
    .vgpr_count:     0
    .vgpr_spill_count: 0
    .wavefront_size: 64
  - .agpr_count:     0
    .args:
      - .offset:         0
        .size:           64
        .value_kind:     by_value
    .group_segment_fixed_size: 0
    .kernarg_segment_align: 8
    .kernarg_segment_size: 64
    .language:       OpenCL C
    .language_version:
      - 2
      - 0
    .max_flat_workgroup_size: 512
    .name:           _ZN7rocprim17ROCPRIM_400000_NS6detail17trampoline_kernelINS0_14default_configENS1_35adjacent_difference_config_selectorILb1EdEEZNS1_24adjacent_difference_implIS3_Lb1ELb0EPdN6thrust23THRUST_200600_302600_NS16discard_iteratorINS9_11use_defaultEEENS9_5minusIdEEEE10hipError_tPvRmT2_T3_mT4_P12ihipStream_tbEUlT_E_NS1_11comp_targetILNS1_3genE0ELNS1_11target_archE4294967295ELNS1_3gpuE0ELNS1_3repE0EEENS1_30default_config_static_selectorELNS0_4arch9wavefront6targetE1EEEvT1_
    .private_segment_fixed_size: 0
    .sgpr_count:     4
    .sgpr_spill_count: 0
    .symbol:         _ZN7rocprim17ROCPRIM_400000_NS6detail17trampoline_kernelINS0_14default_configENS1_35adjacent_difference_config_selectorILb1EdEEZNS1_24adjacent_difference_implIS3_Lb1ELb0EPdN6thrust23THRUST_200600_302600_NS16discard_iteratorINS9_11use_defaultEEENS9_5minusIdEEEE10hipError_tPvRmT2_T3_mT4_P12ihipStream_tbEUlT_E_NS1_11comp_targetILNS1_3genE0ELNS1_11target_archE4294967295ELNS1_3gpuE0ELNS1_3repE0EEENS1_30default_config_static_selectorELNS0_4arch9wavefront6targetE1EEEvT1_.kd
    .uniform_work_group_size: 1
    .uses_dynamic_stack: false
    .vgpr_count:     0
    .vgpr_spill_count: 0
    .wavefront_size: 64
  - .agpr_count:     0
    .args:
      - .offset:         0
        .size:           64
        .value_kind:     by_value
    .group_segment_fixed_size: 0
    .kernarg_segment_align: 8
    .kernarg_segment_size: 64
    .language:       OpenCL C
    .language_version:
      - 2
      - 0
    .max_flat_workgroup_size: 256
    .name:           _ZN7rocprim17ROCPRIM_400000_NS6detail17trampoline_kernelINS0_14default_configENS1_35adjacent_difference_config_selectorILb1EdEEZNS1_24adjacent_difference_implIS3_Lb1ELb0EPdN6thrust23THRUST_200600_302600_NS16discard_iteratorINS9_11use_defaultEEENS9_5minusIdEEEE10hipError_tPvRmT2_T3_mT4_P12ihipStream_tbEUlT_E_NS1_11comp_targetILNS1_3genE10ELNS1_11target_archE1201ELNS1_3gpuE5ELNS1_3repE0EEENS1_30default_config_static_selectorELNS0_4arch9wavefront6targetE1EEEvT1_
    .private_segment_fixed_size: 0
    .sgpr_count:     4
    .sgpr_spill_count: 0
    .symbol:         _ZN7rocprim17ROCPRIM_400000_NS6detail17trampoline_kernelINS0_14default_configENS1_35adjacent_difference_config_selectorILb1EdEEZNS1_24adjacent_difference_implIS3_Lb1ELb0EPdN6thrust23THRUST_200600_302600_NS16discard_iteratorINS9_11use_defaultEEENS9_5minusIdEEEE10hipError_tPvRmT2_T3_mT4_P12ihipStream_tbEUlT_E_NS1_11comp_targetILNS1_3genE10ELNS1_11target_archE1201ELNS1_3gpuE5ELNS1_3repE0EEENS1_30default_config_static_selectorELNS0_4arch9wavefront6targetE1EEEvT1_.kd
    .uniform_work_group_size: 1
    .uses_dynamic_stack: false
    .vgpr_count:     0
    .vgpr_spill_count: 0
    .wavefront_size: 64
  - .agpr_count:     0
    .args:
      - .offset:         0
        .size:           64
        .value_kind:     by_value
    .group_segment_fixed_size: 0
    .kernarg_segment_align: 8
    .kernarg_segment_size: 64
    .language:       OpenCL C
    .language_version:
      - 2
      - 0
    .max_flat_workgroup_size: 128
    .name:           _ZN7rocprim17ROCPRIM_400000_NS6detail17trampoline_kernelINS0_14default_configENS1_35adjacent_difference_config_selectorILb1EdEEZNS1_24adjacent_difference_implIS3_Lb1ELb0EPdN6thrust23THRUST_200600_302600_NS16discard_iteratorINS9_11use_defaultEEENS9_5minusIdEEEE10hipError_tPvRmT2_T3_mT4_P12ihipStream_tbEUlT_E_NS1_11comp_targetILNS1_3genE5ELNS1_11target_archE942ELNS1_3gpuE9ELNS1_3repE0EEENS1_30default_config_static_selectorELNS0_4arch9wavefront6targetE1EEEvT1_
    .private_segment_fixed_size: 0
    .sgpr_count:     4
    .sgpr_spill_count: 0
    .symbol:         _ZN7rocprim17ROCPRIM_400000_NS6detail17trampoline_kernelINS0_14default_configENS1_35adjacent_difference_config_selectorILb1EdEEZNS1_24adjacent_difference_implIS3_Lb1ELb0EPdN6thrust23THRUST_200600_302600_NS16discard_iteratorINS9_11use_defaultEEENS9_5minusIdEEEE10hipError_tPvRmT2_T3_mT4_P12ihipStream_tbEUlT_E_NS1_11comp_targetILNS1_3genE5ELNS1_11target_archE942ELNS1_3gpuE9ELNS1_3repE0EEENS1_30default_config_static_selectorELNS0_4arch9wavefront6targetE1EEEvT1_.kd
    .uniform_work_group_size: 1
    .uses_dynamic_stack: false
    .vgpr_count:     0
    .vgpr_spill_count: 0
    .wavefront_size: 64
  - .agpr_count:     0
    .args:
      - .offset:         0
        .size:           64
        .value_kind:     by_value
    .group_segment_fixed_size: 8448
    .kernarg_segment_align: 8
    .kernarg_segment_size: 64
    .language:       OpenCL C
    .language_version:
      - 2
      - 0
    .max_flat_workgroup_size: 512
    .name:           _ZN7rocprim17ROCPRIM_400000_NS6detail17trampoline_kernelINS0_14default_configENS1_35adjacent_difference_config_selectorILb1EdEEZNS1_24adjacent_difference_implIS3_Lb1ELb0EPdN6thrust23THRUST_200600_302600_NS16discard_iteratorINS9_11use_defaultEEENS9_5minusIdEEEE10hipError_tPvRmT2_T3_mT4_P12ihipStream_tbEUlT_E_NS1_11comp_targetILNS1_3genE4ELNS1_11target_archE910ELNS1_3gpuE8ELNS1_3repE0EEENS1_30default_config_static_selectorELNS0_4arch9wavefront6targetE1EEEvT1_
    .private_segment_fixed_size: 0
    .sgpr_count:     28
    .sgpr_spill_count: 0
    .symbol:         _ZN7rocprim17ROCPRIM_400000_NS6detail17trampoline_kernelINS0_14default_configENS1_35adjacent_difference_config_selectorILb1EdEEZNS1_24adjacent_difference_implIS3_Lb1ELb0EPdN6thrust23THRUST_200600_302600_NS16discard_iteratorINS9_11use_defaultEEENS9_5minusIdEEEE10hipError_tPvRmT2_T3_mT4_P12ihipStream_tbEUlT_E_NS1_11comp_targetILNS1_3genE4ELNS1_11target_archE910ELNS1_3gpuE8ELNS1_3repE0EEENS1_30default_config_static_selectorELNS0_4arch9wavefront6targetE1EEEvT1_.kd
    .uniform_work_group_size: 1
    .uses_dynamic_stack: false
    .vgpr_count:     13
    .vgpr_spill_count: 0
    .wavefront_size: 64
  - .agpr_count:     0
    .args:
      - .offset:         0
        .size:           64
        .value_kind:     by_value
    .group_segment_fixed_size: 0
    .kernarg_segment_align: 8
    .kernarg_segment_size: 64
    .language:       OpenCL C
    .language_version:
      - 2
      - 0
    .max_flat_workgroup_size: 512
    .name:           _ZN7rocprim17ROCPRIM_400000_NS6detail17trampoline_kernelINS0_14default_configENS1_35adjacent_difference_config_selectorILb1EdEEZNS1_24adjacent_difference_implIS3_Lb1ELb0EPdN6thrust23THRUST_200600_302600_NS16discard_iteratorINS9_11use_defaultEEENS9_5minusIdEEEE10hipError_tPvRmT2_T3_mT4_P12ihipStream_tbEUlT_E_NS1_11comp_targetILNS1_3genE3ELNS1_11target_archE908ELNS1_3gpuE7ELNS1_3repE0EEENS1_30default_config_static_selectorELNS0_4arch9wavefront6targetE1EEEvT1_
    .private_segment_fixed_size: 0
    .sgpr_count:     4
    .sgpr_spill_count: 0
    .symbol:         _ZN7rocprim17ROCPRIM_400000_NS6detail17trampoline_kernelINS0_14default_configENS1_35adjacent_difference_config_selectorILb1EdEEZNS1_24adjacent_difference_implIS3_Lb1ELb0EPdN6thrust23THRUST_200600_302600_NS16discard_iteratorINS9_11use_defaultEEENS9_5minusIdEEEE10hipError_tPvRmT2_T3_mT4_P12ihipStream_tbEUlT_E_NS1_11comp_targetILNS1_3genE3ELNS1_11target_archE908ELNS1_3gpuE7ELNS1_3repE0EEENS1_30default_config_static_selectorELNS0_4arch9wavefront6targetE1EEEvT1_.kd
    .uniform_work_group_size: 1
    .uses_dynamic_stack: false
    .vgpr_count:     0
    .vgpr_spill_count: 0
    .wavefront_size: 64
  - .agpr_count:     0
    .args:
      - .offset:         0
        .size:           64
        .value_kind:     by_value
    .group_segment_fixed_size: 0
    .kernarg_segment_align: 8
    .kernarg_segment_size: 64
    .language:       OpenCL C
    .language_version:
      - 2
      - 0
    .max_flat_workgroup_size: 128
    .name:           _ZN7rocprim17ROCPRIM_400000_NS6detail17trampoline_kernelINS0_14default_configENS1_35adjacent_difference_config_selectorILb1EdEEZNS1_24adjacent_difference_implIS3_Lb1ELb0EPdN6thrust23THRUST_200600_302600_NS16discard_iteratorINS9_11use_defaultEEENS9_5minusIdEEEE10hipError_tPvRmT2_T3_mT4_P12ihipStream_tbEUlT_E_NS1_11comp_targetILNS1_3genE2ELNS1_11target_archE906ELNS1_3gpuE6ELNS1_3repE0EEENS1_30default_config_static_selectorELNS0_4arch9wavefront6targetE1EEEvT1_
    .private_segment_fixed_size: 0
    .sgpr_count:     4
    .sgpr_spill_count: 0
    .symbol:         _ZN7rocprim17ROCPRIM_400000_NS6detail17trampoline_kernelINS0_14default_configENS1_35adjacent_difference_config_selectorILb1EdEEZNS1_24adjacent_difference_implIS3_Lb1ELb0EPdN6thrust23THRUST_200600_302600_NS16discard_iteratorINS9_11use_defaultEEENS9_5minusIdEEEE10hipError_tPvRmT2_T3_mT4_P12ihipStream_tbEUlT_E_NS1_11comp_targetILNS1_3genE2ELNS1_11target_archE906ELNS1_3gpuE6ELNS1_3repE0EEENS1_30default_config_static_selectorELNS0_4arch9wavefront6targetE1EEEvT1_.kd
    .uniform_work_group_size: 1
    .uses_dynamic_stack: false
    .vgpr_count:     0
    .vgpr_spill_count: 0
    .wavefront_size: 64
  - .agpr_count:     0
    .args:
      - .offset:         0
        .size:           64
        .value_kind:     by_value
    .group_segment_fixed_size: 0
    .kernarg_segment_align: 8
    .kernarg_segment_size: 64
    .language:       OpenCL C
    .language_version:
      - 2
      - 0
    .max_flat_workgroup_size: 128
    .name:           _ZN7rocprim17ROCPRIM_400000_NS6detail17trampoline_kernelINS0_14default_configENS1_35adjacent_difference_config_selectorILb1EdEEZNS1_24adjacent_difference_implIS3_Lb1ELb0EPdN6thrust23THRUST_200600_302600_NS16discard_iteratorINS9_11use_defaultEEENS9_5minusIdEEEE10hipError_tPvRmT2_T3_mT4_P12ihipStream_tbEUlT_E_NS1_11comp_targetILNS1_3genE9ELNS1_11target_archE1100ELNS1_3gpuE3ELNS1_3repE0EEENS1_30default_config_static_selectorELNS0_4arch9wavefront6targetE1EEEvT1_
    .private_segment_fixed_size: 0
    .sgpr_count:     4
    .sgpr_spill_count: 0
    .symbol:         _ZN7rocprim17ROCPRIM_400000_NS6detail17trampoline_kernelINS0_14default_configENS1_35adjacent_difference_config_selectorILb1EdEEZNS1_24adjacent_difference_implIS3_Lb1ELb0EPdN6thrust23THRUST_200600_302600_NS16discard_iteratorINS9_11use_defaultEEENS9_5minusIdEEEE10hipError_tPvRmT2_T3_mT4_P12ihipStream_tbEUlT_E_NS1_11comp_targetILNS1_3genE9ELNS1_11target_archE1100ELNS1_3gpuE3ELNS1_3repE0EEENS1_30default_config_static_selectorELNS0_4arch9wavefront6targetE1EEEvT1_.kd
    .uniform_work_group_size: 1
    .uses_dynamic_stack: false
    .vgpr_count:     0
    .vgpr_spill_count: 0
    .wavefront_size: 64
  - .agpr_count:     0
    .args:
      - .offset:         0
        .size:           64
        .value_kind:     by_value
    .group_segment_fixed_size: 0
    .kernarg_segment_align: 8
    .kernarg_segment_size: 64
    .language:       OpenCL C
    .language_version:
      - 2
      - 0
    .max_flat_workgroup_size: 32
    .name:           _ZN7rocprim17ROCPRIM_400000_NS6detail17trampoline_kernelINS0_14default_configENS1_35adjacent_difference_config_selectorILb1EdEEZNS1_24adjacent_difference_implIS3_Lb1ELb0EPdN6thrust23THRUST_200600_302600_NS16discard_iteratorINS9_11use_defaultEEENS9_5minusIdEEEE10hipError_tPvRmT2_T3_mT4_P12ihipStream_tbEUlT_E_NS1_11comp_targetILNS1_3genE8ELNS1_11target_archE1030ELNS1_3gpuE2ELNS1_3repE0EEENS1_30default_config_static_selectorELNS0_4arch9wavefront6targetE1EEEvT1_
    .private_segment_fixed_size: 0
    .sgpr_count:     4
    .sgpr_spill_count: 0
    .symbol:         _ZN7rocprim17ROCPRIM_400000_NS6detail17trampoline_kernelINS0_14default_configENS1_35adjacent_difference_config_selectorILb1EdEEZNS1_24adjacent_difference_implIS3_Lb1ELb0EPdN6thrust23THRUST_200600_302600_NS16discard_iteratorINS9_11use_defaultEEENS9_5minusIdEEEE10hipError_tPvRmT2_T3_mT4_P12ihipStream_tbEUlT_E_NS1_11comp_targetILNS1_3genE8ELNS1_11target_archE1030ELNS1_3gpuE2ELNS1_3repE0EEENS1_30default_config_static_selectorELNS0_4arch9wavefront6targetE1EEEvT1_.kd
    .uniform_work_group_size: 1
    .uses_dynamic_stack: false
    .vgpr_count:     0
    .vgpr_spill_count: 0
    .wavefront_size: 64
  - .agpr_count:     0
    .args:
      - .offset:         0
        .size:           16
        .value_kind:     by_value
      - .offset:         16
        .size:           8
        .value_kind:     by_value
      - .offset:         24
        .size:           8
        .value_kind:     by_value
    .group_segment_fixed_size: 0
    .kernarg_segment_align: 8
    .kernarg_segment_size: 32
    .language:       OpenCL C
    .language_version:
      - 2
      - 0
    .max_flat_workgroup_size: 256
    .name:           _ZN6thrust23THRUST_200600_302600_NS11hip_rocprim14__parallel_for6kernelILj256ENS1_20__uninitialized_fill7functorINS0_10device_ptrIiEEiEEmLj1EEEvT0_T1_SA_
    .private_segment_fixed_size: 0
    .sgpr_count:     16
    .sgpr_spill_count: 0
    .symbol:         _ZN6thrust23THRUST_200600_302600_NS11hip_rocprim14__parallel_for6kernelILj256ENS1_20__uninitialized_fill7functorINS0_10device_ptrIiEEiEEmLj1EEEvT0_T1_SA_.kd
    .uniform_work_group_size: 1
    .uses_dynamic_stack: false
    .vgpr_count:     4
    .vgpr_spill_count: 0
    .wavefront_size: 64
amdhsa.target:   amdgcn-amd-amdhsa--gfx90a
amdhsa.version:
  - 1
  - 2
...

	.end_amdgpu_metadata
